;; amdgpu-corpus repo=vllm-project/vllm kind=compiled arch=gfx1100 opt=O3
	.text
	.amdgcn_target "amdgcn-amd-amdhsa--gfx1100"
	.amdhsa_code_object_version 6
	.section	.text._ZN4vllm3moe10topkGatingILi1ELi1ELi4ELi4ELi64EifLNS0_11ScoringFuncE0EEEvPKT5_PKbPfiPT4_PiiiibPKf,"axG",@progbits,_ZN4vllm3moe10topkGatingILi1ELi1ELi4ELi4ELi64EifLNS0_11ScoringFuncE0EEEvPKT5_PKbPfiPT4_PiiiibPKf,comdat
	.protected	_ZN4vllm3moe10topkGatingILi1ELi1ELi4ELi4ELi64EifLNS0_11ScoringFuncE0EEEvPKT5_PKbPfiPT4_PiiiibPKf ; -- Begin function _ZN4vllm3moe10topkGatingILi1ELi1ELi4ELi4ELi64EifLNS0_11ScoringFuncE0EEEvPKT5_PKbPfiPT4_PiiiibPKf
	.globl	_ZN4vllm3moe10topkGatingILi1ELi1ELi4ELi4ELi64EifLNS0_11ScoringFuncE0EEEvPKT5_PKbPfiPT4_PiiiibPKf
	.p2align	8
	.type	_ZN4vllm3moe10topkGatingILi1ELi1ELi4ELi4ELi64EifLNS0_11ScoringFuncE0EEEvPKT5_PKbPfiPT4_PiiiibPKf,@function
_ZN4vllm3moe10topkGatingILi1ELi1ELi4ELi4ELi64EifLNS0_11ScoringFuncE0EEEvPKT5_PKbPfiPT4_PiiiibPKf: ; @_ZN4vllm3moe10topkGatingILi1ELi1ELi4ELi4ELi64EifLNS0_11ScoringFuncE0EEEvPKT5_PKbPfiPT4_PiiiibPKf
; %bb.0:
	s_load_b32 s3, s[0:1], 0x18
	v_bfe_u32 v1, v0, 10, 10
	v_and_b32_e32 v0, 0x3ff, v0
	s_lshl_b32 s2, s15, 8
	s_delay_alu instid0(VALU_DEP_2) | instskip(NEXT) | instid1(VALU_DEP_1)
	v_lshlrev_b32_e32 v1, 6, v1
	v_add3_u32 v0, v1, v0, s2
	s_mov_b32 s2, exec_lo
	s_waitcnt lgkmcnt(0)
	s_delay_alu instid0(VALU_DEP_1)
	v_cmpx_gt_i32_e64 s3, v0
	s_cbranch_execz .LBB0_12
; %bb.1:
	s_clause 0x1
	s_load_b128 s[8:11], s[0:1], 0x0
	s_load_b64 s[12:13], s[0:1], 0x10
	v_ashrrev_i32_e32 v1, 31, v0
	s_waitcnt lgkmcnt(0)
	s_cmp_eq_u64 s[10:11], 0
	s_cbranch_scc1 .LBB0_3
; %bb.2:
	v_add_co_u32 v2, vcc_lo, s10, v0
	v_add_co_ci_u32_e32 v3, vcc_lo, s11, v1, vcc_lo
	global_load_u8 v2, v[2:3], off
	s_waitcnt vmcnt(0)
	v_and_b32_e32 v2, 1, v2
	s_delay_alu instid0(VALU_DEP_1) | instskip(SKIP_1) | instid1(SALU_CYCLE_1)
	v_cmp_eq_u32_e32 vcc_lo, 1, v2
	s_xor_b32 s2, vcc_lo, -1
	s_or_not1_b32 s10, s2, exec_lo
	s_branch .LBB0_4
.LBB0_3:
	s_mov_b32 s10, -1
.LBB0_4:
	s_load_b128 s[4:7], s[0:1], 0x30
	s_waitcnt lgkmcnt(0)
	s_bitcmp1_b32 s7, 0
	s_cselect_b32 s2, -1, 0
	s_cmp_gt_i32 s4, 0
	s_cselect_b32 s7, -1, 0
	s_cmp_lt_i32 s4, 1
	s_cbranch_scc1 .LBB0_8
; %bb.5:
	v_lshlrev_b64 v[1:2], 2, v[0:1]
	s_load_b128 s[16:19], s[0:1], 0x20
	s_cmp_lt_i32 s5, 1
	v_mov_b32_e32 v7, 0
	s_cselect_b32 s0, -1, 0
	s_cmp_gt_i32 s6, 0
	v_add_co_u32 v1, vcc_lo, s8, v1
	v_add_co_ci_u32_e32 v2, vcc_lo, s9, v2, vcc_lo
	s_cselect_b32 s1, -1, 0
	s_sub_i32 s5, 0, s5
	s_and_b32 s0, s0, s1
	global_load_b32 v1, v[1:2], off
	s_and_b32 s0, s10, s0
	s_waitcnt vmcnt(0)
	v_sub_f32_e32 v1, v1, v1
	s_delay_alu instid0(VALU_DEP_1) | instskip(NEXT) | instid1(VALU_DEP_1)
	v_mul_f32_e32 v2, 0x3fb8aa3b, v1
	v_fma_f32 v3, 0x3fb8aa3b, v1, -v2
	v_rndne_f32_e32 v4, v2
	s_delay_alu instid0(VALU_DEP_1) | instskip(SKIP_1) | instid1(VALU_DEP_4)
	v_sub_f32_e32 v2, v2, v4
	v_cmp_ngt_f32_e32 vcc_lo, 0xc2ce8ed0, v1
	v_fmamk_f32 v3, v1, 0x32a5705f, v3
	s_delay_alu instid0(VALU_DEP_1) | instskip(SKIP_1) | instid1(VALU_DEP_2)
	v_add_f32_e32 v2, v2, v3
	v_cvt_i32_f32_e32 v3, v4
	v_exp_f32_e32 v2, v2
	s_waitcnt_depctr 0xfff
	v_ldexp_f32 v2, v2, v3
	s_delay_alu instid0(VALU_DEP_1) | instskip(SKIP_1) | instid1(VALU_DEP_2)
	v_cndmask_b32_e32 v2, 0, v2, vcc_lo
	v_cmp_nlt_f32_e32 vcc_lo, 0x42b17218, v1
	v_cndmask_b32_e32 v9, 0x7f800000, v2, vcc_lo
	s_delay_alu instid0(VALU_DEP_1) | instskip(NEXT) | instid1(VALU_DEP_1)
	v_div_scale_f32 v3, null, v9, v9, 1.0
	v_rcp_f32_e32 v4, v3
	s_waitcnt_depctr 0xfff
	v_fma_f32 v1, -v3, v4, 1.0
	s_delay_alu instid0(VALU_DEP_1) | instskip(SKIP_2) | instid1(VALU_DEP_2)
	v_fmac_f32_e32 v4, v1, v4
	v_div_scale_f32 v8, vcc_lo, 1.0, v9, 1.0
	v_mul_lo_u32 v1, v0, s4
	v_mul_f32_e32 v10, v8, v4
	s_delay_alu instid0(VALU_DEP_1) | instskip(NEXT) | instid1(VALU_DEP_3)
	v_fma_f32 v5, -v3, v10, v8
	v_ashrrev_i32_e32 v2, 31, v1
	s_delay_alu instid0(VALU_DEP_2) | instskip(NEXT) | instid1(VALU_DEP_2)
	v_fmac_f32_e32 v10, v5, v4
	v_lshlrev_b64 v[5:6], 2, v[1:2]
	s_delay_alu instid0(VALU_DEP_2) | instskip(SKIP_2) | instid1(VALU_DEP_2)
	v_fma_f32 v1, -v3, v10, v8
	v_cndmask_b32_e64 v8, 1, s5, s0
	s_mov_b32 s0, s4
	v_div_fmas_f32 v3, v1, v4, v10
	s_delay_alu instid0(VALU_DEP_4) | instskip(SKIP_1) | instid1(VALU_DEP_3)
	v_add_co_u32 v1, vcc_lo, s12, v5
	v_add_co_ci_u32_e32 v2, vcc_lo, s13, v6, vcc_lo
	v_div_fixup_f32 v10, v3, v9, 1.0
	s_waitcnt lgkmcnt(0)
	v_add_co_u32 v3, vcc_lo, s16, v5
	v_add_co_ci_u32_e32 v4, vcc_lo, s17, v6, vcc_lo
	s_delay_alu instid0(VALU_DEP_3) | instskip(SKIP_2) | instid1(VALU_DEP_3)
	v_mul_f32_e32 v9, v9, v10
	v_add_co_u32 v5, vcc_lo, s18, v5
	v_add_co_ci_u32_e32 v6, vcc_lo, s19, v6, vcc_lo
	v_cmp_class_f32_e64 vcc_lo, v9, 0x1f8
	v_dual_mov_b32 v10, v0 :: v_dual_cndmask_b32 v9, 0, v9
	.p2align	6
.LBB0_6:                                ; =>This Inner Loop Header: Depth=1
	global_store_b32 v[1:2], v9, off
	global_store_b32 v[3:4], v8, off
	;; [unrolled: 1-line block ×3, first 2 shown]
	v_add_co_u32 v1, vcc_lo, v1, 4
	v_add_co_ci_u32_e32 v2, vcc_lo, 0, v2, vcc_lo
	v_dual_add_f32 v11, v7, v9 :: v_dual_add_nc_u32 v10, s3, v10
	v_add_co_u32 v3, vcc_lo, v3, 4
	v_add_co_ci_u32_e32 v4, vcc_lo, 0, v4, vcc_lo
	v_add_co_u32 v5, vcc_lo, v5, 4
	s_delay_alu instid0(VALU_DEP_4) | instskip(SKIP_2) | instid1(SALU_CYCLE_1)
	v_cndmask_b32_e64 v7, v7, v11, s2
	v_add_co_ci_u32_e32 v6, vcc_lo, 0, v6, vcc_lo
	s_add_i32 s0, s0, -1
	s_cmp_lg_u32 s0, 0
	s_cbranch_scc1 .LBB0_6
; %bb.7:
	s_and_not1_b32 vcc_lo, exec_lo, s2
	s_cbranch_vccz .LBB0_9
	s_branch .LBB0_12
.LBB0_8:
	v_mov_b32_e32 v7, 0
	s_and_not1_b32 vcc_lo, exec_lo, s2
	s_cbranch_vccnz .LBB0_12
.LBB0_9:
	s_and_not1_b32 vcc_lo, exec_lo, s7
	s_cbranch_vccnz .LBB0_12
; %bb.10:
	v_mul_lo_u32 v0, v0, s4
	v_cmp_lt_f32_e32 vcc_lo, 0, v7
	v_cndmask_b32_e32 v2, 1.0, v7, vcc_lo
	s_delay_alu instid0(VALU_DEP_3) | instskip(NEXT) | instid1(VALU_DEP_1)
	v_ashrrev_i32_e32 v1, 31, v0
	v_lshlrev_b64 v[0:1], 2, v[0:1]
	s_delay_alu instid0(VALU_DEP_1) | instskip(NEXT) | instid1(VALU_DEP_2)
	v_add_co_u32 v0, vcc_lo, s12, v0
	v_add_co_ci_u32_e32 v1, vcc_lo, s13, v1, vcc_lo
	.p2align	6
.LBB0_11:                               ; =>This Inner Loop Header: Depth=1
	global_load_b32 v3, v[0:1], off
	s_add_i32 s4, s4, -1
	s_delay_alu instid0(SALU_CYCLE_1) | instskip(SKIP_3) | instid1(VALU_DEP_2)
	s_cmp_lg_u32 s4, 0
	s_waitcnt vmcnt(0)
	v_div_scale_f32 v4, null, v2, v2, v3
	v_div_scale_f32 v7, vcc_lo, v3, v2, v3
	v_rcp_f32_e32 v5, v4
	s_waitcnt_depctr 0xfff
	v_fma_f32 v6, -v4, v5, 1.0
	s_delay_alu instid0(VALU_DEP_1) | instskip(NEXT) | instid1(VALU_DEP_1)
	v_fmac_f32_e32 v5, v6, v5
	v_mul_f32_e32 v6, v7, v5
	s_delay_alu instid0(VALU_DEP_1) | instskip(NEXT) | instid1(VALU_DEP_1)
	v_fma_f32 v8, -v4, v6, v7
	v_fmac_f32_e32 v6, v8, v5
	s_delay_alu instid0(VALU_DEP_1) | instskip(NEXT) | instid1(VALU_DEP_1)
	v_fma_f32 v4, -v4, v6, v7
	v_div_fmas_f32 v4, v4, v5, v6
	s_delay_alu instid0(VALU_DEP_1)
	v_div_fixup_f32 v3, v4, v2, v3
	global_store_b32 v[0:1], v3, off
	v_add_co_u32 v0, vcc_lo, v0, 4
	v_add_co_ci_u32_e32 v1, vcc_lo, 0, v1, vcc_lo
	s_cbranch_scc1 .LBB0_11
.LBB0_12:
	s_nop 0
	s_sendmsg sendmsg(MSG_DEALLOC_VGPRS)
	s_endpgm
	.section	.rodata,"a",@progbits
	.p2align	6, 0x0
	.amdhsa_kernel _ZN4vllm3moe10topkGatingILi1ELi1ELi4ELi4ELi64EifLNS0_11ScoringFuncE0EEEvPKT5_PKbPfiPT4_PiiiibPKf
		.amdhsa_group_segment_fixed_size 0
		.amdhsa_private_segment_fixed_size 0
		.amdhsa_kernarg_size 72
		.amdhsa_user_sgpr_count 15
		.amdhsa_user_sgpr_dispatch_ptr 0
		.amdhsa_user_sgpr_queue_ptr 0
		.amdhsa_user_sgpr_kernarg_segment_ptr 1
		.amdhsa_user_sgpr_dispatch_id 0
		.amdhsa_user_sgpr_private_segment_size 0
		.amdhsa_wavefront_size32 1
		.amdhsa_uses_dynamic_stack 0
		.amdhsa_enable_private_segment 0
		.amdhsa_system_sgpr_workgroup_id_x 1
		.amdhsa_system_sgpr_workgroup_id_y 0
		.amdhsa_system_sgpr_workgroup_id_z 0
		.amdhsa_system_sgpr_workgroup_info 0
		.amdhsa_system_vgpr_workitem_id 1
		.amdhsa_next_free_vgpr 12
		.amdhsa_next_free_sgpr 20
		.amdhsa_reserve_vcc 1
		.amdhsa_float_round_mode_32 0
		.amdhsa_float_round_mode_16_64 0
		.amdhsa_float_denorm_mode_32 3
		.amdhsa_float_denorm_mode_16_64 3
		.amdhsa_dx10_clamp 1
		.amdhsa_ieee_mode 1
		.amdhsa_fp16_overflow 0
		.amdhsa_workgroup_processor_mode 1
		.amdhsa_memory_ordered 1
		.amdhsa_forward_progress 0
		.amdhsa_shared_vgpr_count 0
		.amdhsa_exception_fp_ieee_invalid_op 0
		.amdhsa_exception_fp_denorm_src 0
		.amdhsa_exception_fp_ieee_div_zero 0
		.amdhsa_exception_fp_ieee_overflow 0
		.amdhsa_exception_fp_ieee_underflow 0
		.amdhsa_exception_fp_ieee_inexact 0
		.amdhsa_exception_int_div_zero 0
	.end_amdhsa_kernel
	.section	.text._ZN4vllm3moe10topkGatingILi1ELi1ELi4ELi4ELi64EifLNS0_11ScoringFuncE0EEEvPKT5_PKbPfiPT4_PiiiibPKf,"axG",@progbits,_ZN4vllm3moe10topkGatingILi1ELi1ELi4ELi4ELi64EifLNS0_11ScoringFuncE0EEEvPKT5_PKbPfiPT4_PiiiibPKf,comdat
.Lfunc_end0:
	.size	_ZN4vllm3moe10topkGatingILi1ELi1ELi4ELi4ELi64EifLNS0_11ScoringFuncE0EEEvPKT5_PKbPfiPT4_PiiiibPKf, .Lfunc_end0-_ZN4vllm3moe10topkGatingILi1ELi1ELi4ELi4ELi64EifLNS0_11ScoringFuncE0EEEvPKT5_PKbPfiPT4_PiiiibPKf
                                        ; -- End function
	.section	.AMDGPU.csdata,"",@progbits
; Kernel info:
; codeLenInByte = 896
; NumSgprs: 22
; NumVgprs: 12
; ScratchSize: 0
; MemoryBound: 0
; FloatMode: 240
; IeeeMode: 1
; LDSByteSize: 0 bytes/workgroup (compile time only)
; SGPRBlocks: 2
; VGPRBlocks: 1
; NumSGPRsForWavesPerEU: 22
; NumVGPRsForWavesPerEU: 12
; Occupancy: 16
; WaveLimiterHint : 0
; COMPUTE_PGM_RSRC2:SCRATCH_EN: 0
; COMPUTE_PGM_RSRC2:USER_SGPR: 15
; COMPUTE_PGM_RSRC2:TRAP_HANDLER: 0
; COMPUTE_PGM_RSRC2:TGID_X_EN: 1
; COMPUTE_PGM_RSRC2:TGID_Y_EN: 0
; COMPUTE_PGM_RSRC2:TGID_Z_EN: 0
; COMPUTE_PGM_RSRC2:TIDIG_COMP_CNT: 1
	.section	.text._ZN4vllm3moe10topkGatingILi1ELi1ELi4ELi4ELi32EifLNS0_11ScoringFuncE0EEEvPKT5_PKbPfiPT4_PiiiibPKf,"axG",@progbits,_ZN4vllm3moe10topkGatingILi1ELi1ELi4ELi4ELi32EifLNS0_11ScoringFuncE0EEEvPKT5_PKbPfiPT4_PiiiibPKf,comdat
	.protected	_ZN4vllm3moe10topkGatingILi1ELi1ELi4ELi4ELi32EifLNS0_11ScoringFuncE0EEEvPKT5_PKbPfiPT4_PiiiibPKf ; -- Begin function _ZN4vllm3moe10topkGatingILi1ELi1ELi4ELi4ELi32EifLNS0_11ScoringFuncE0EEEvPKT5_PKbPfiPT4_PiiiibPKf
	.globl	_ZN4vllm3moe10topkGatingILi1ELi1ELi4ELi4ELi32EifLNS0_11ScoringFuncE0EEEvPKT5_PKbPfiPT4_PiiiibPKf
	.p2align	8
	.type	_ZN4vllm3moe10topkGatingILi1ELi1ELi4ELi4ELi32EifLNS0_11ScoringFuncE0EEEvPKT5_PKbPfiPT4_PiiiibPKf,@function
_ZN4vllm3moe10topkGatingILi1ELi1ELi4ELi4ELi32EifLNS0_11ScoringFuncE0EEEvPKT5_PKbPfiPT4_PiiiibPKf: ; @_ZN4vllm3moe10topkGatingILi1ELi1ELi4ELi4ELi32EifLNS0_11ScoringFuncE0EEEvPKT5_PKbPfiPT4_PiiiibPKf
; %bb.0:
	s_load_b32 s3, s[0:1], 0x18
	v_bfe_u32 v1, v0, 10, 10
	v_and_b32_e32 v0, 0x3ff, v0
	s_lshl_b32 s2, s15, 7
	s_delay_alu instid0(VALU_DEP_2) | instskip(NEXT) | instid1(VALU_DEP_1)
	v_lshlrev_b32_e32 v1, 5, v1
	v_add3_u32 v0, v1, v0, s2
	s_mov_b32 s2, exec_lo
	s_waitcnt lgkmcnt(0)
	s_delay_alu instid0(VALU_DEP_1)
	v_cmpx_gt_i32_e64 s3, v0
	s_cbranch_execz .LBB1_12
; %bb.1:
	s_clause 0x1
	s_load_b128 s[8:11], s[0:1], 0x0
	s_load_b64 s[12:13], s[0:1], 0x10
	v_ashrrev_i32_e32 v1, 31, v0
	s_waitcnt lgkmcnt(0)
	s_cmp_eq_u64 s[10:11], 0
	s_cbranch_scc1 .LBB1_3
; %bb.2:
	v_add_co_u32 v2, vcc_lo, s10, v0
	v_add_co_ci_u32_e32 v3, vcc_lo, s11, v1, vcc_lo
	global_load_u8 v2, v[2:3], off
	s_waitcnt vmcnt(0)
	v_and_b32_e32 v2, 1, v2
	s_delay_alu instid0(VALU_DEP_1) | instskip(SKIP_1) | instid1(SALU_CYCLE_1)
	v_cmp_eq_u32_e32 vcc_lo, 1, v2
	s_xor_b32 s2, vcc_lo, -1
	s_or_not1_b32 s10, s2, exec_lo
	s_branch .LBB1_4
.LBB1_3:
	s_mov_b32 s10, -1
.LBB1_4:
	s_load_b128 s[4:7], s[0:1], 0x30
	s_waitcnt lgkmcnt(0)
	s_bitcmp1_b32 s7, 0
	s_cselect_b32 s2, -1, 0
	s_cmp_gt_i32 s4, 0
	s_cselect_b32 s7, -1, 0
	s_cmp_lt_i32 s4, 1
	s_cbranch_scc1 .LBB1_8
; %bb.5:
	v_lshlrev_b64 v[1:2], 2, v[0:1]
	s_load_b128 s[16:19], s[0:1], 0x20
	s_cmp_lt_i32 s5, 1
	v_mov_b32_e32 v7, 0
	s_cselect_b32 s0, -1, 0
	s_cmp_gt_i32 s6, 0
	v_add_co_u32 v1, vcc_lo, s8, v1
	v_add_co_ci_u32_e32 v2, vcc_lo, s9, v2, vcc_lo
	s_cselect_b32 s1, -1, 0
	s_sub_i32 s5, 0, s5
	s_and_b32 s0, s0, s1
	global_load_b32 v1, v[1:2], off
	s_and_b32 s0, s10, s0
	s_waitcnt vmcnt(0)
	v_sub_f32_e32 v1, v1, v1
	s_delay_alu instid0(VALU_DEP_1) | instskip(NEXT) | instid1(VALU_DEP_1)
	v_mul_f32_e32 v2, 0x3fb8aa3b, v1
	v_fma_f32 v3, 0x3fb8aa3b, v1, -v2
	v_rndne_f32_e32 v4, v2
	s_delay_alu instid0(VALU_DEP_1) | instskip(SKIP_1) | instid1(VALU_DEP_4)
	v_sub_f32_e32 v2, v2, v4
	v_cmp_ngt_f32_e32 vcc_lo, 0xc2ce8ed0, v1
	v_fmamk_f32 v3, v1, 0x32a5705f, v3
	s_delay_alu instid0(VALU_DEP_1) | instskip(SKIP_1) | instid1(VALU_DEP_2)
	v_add_f32_e32 v2, v2, v3
	v_cvt_i32_f32_e32 v3, v4
	v_exp_f32_e32 v2, v2
	s_waitcnt_depctr 0xfff
	v_ldexp_f32 v2, v2, v3
	s_delay_alu instid0(VALU_DEP_1) | instskip(SKIP_1) | instid1(VALU_DEP_2)
	v_cndmask_b32_e32 v2, 0, v2, vcc_lo
	v_cmp_nlt_f32_e32 vcc_lo, 0x42b17218, v1
	v_cndmask_b32_e32 v9, 0x7f800000, v2, vcc_lo
	s_delay_alu instid0(VALU_DEP_1) | instskip(NEXT) | instid1(VALU_DEP_1)
	v_div_scale_f32 v3, null, v9, v9, 1.0
	v_rcp_f32_e32 v4, v3
	s_waitcnt_depctr 0xfff
	v_fma_f32 v1, -v3, v4, 1.0
	s_delay_alu instid0(VALU_DEP_1) | instskip(SKIP_2) | instid1(VALU_DEP_2)
	v_fmac_f32_e32 v4, v1, v4
	v_div_scale_f32 v8, vcc_lo, 1.0, v9, 1.0
	v_mul_lo_u32 v1, v0, s4
	v_mul_f32_e32 v10, v8, v4
	s_delay_alu instid0(VALU_DEP_1) | instskip(NEXT) | instid1(VALU_DEP_3)
	v_fma_f32 v5, -v3, v10, v8
	v_ashrrev_i32_e32 v2, 31, v1
	s_delay_alu instid0(VALU_DEP_2) | instskip(NEXT) | instid1(VALU_DEP_2)
	v_fmac_f32_e32 v10, v5, v4
	v_lshlrev_b64 v[5:6], 2, v[1:2]
	s_delay_alu instid0(VALU_DEP_2) | instskip(SKIP_2) | instid1(VALU_DEP_2)
	v_fma_f32 v1, -v3, v10, v8
	v_cndmask_b32_e64 v8, 1, s5, s0
	s_mov_b32 s0, s4
	v_div_fmas_f32 v3, v1, v4, v10
	s_delay_alu instid0(VALU_DEP_4) | instskip(SKIP_1) | instid1(VALU_DEP_3)
	v_add_co_u32 v1, vcc_lo, s12, v5
	v_add_co_ci_u32_e32 v2, vcc_lo, s13, v6, vcc_lo
	v_div_fixup_f32 v10, v3, v9, 1.0
	s_waitcnt lgkmcnt(0)
	v_add_co_u32 v3, vcc_lo, s16, v5
	v_add_co_ci_u32_e32 v4, vcc_lo, s17, v6, vcc_lo
	s_delay_alu instid0(VALU_DEP_3) | instskip(SKIP_2) | instid1(VALU_DEP_3)
	v_mul_f32_e32 v9, v9, v10
	v_add_co_u32 v5, vcc_lo, s18, v5
	v_add_co_ci_u32_e32 v6, vcc_lo, s19, v6, vcc_lo
	v_cmp_class_f32_e64 vcc_lo, v9, 0x1f8
	v_dual_mov_b32 v10, v0 :: v_dual_cndmask_b32 v9, 0, v9
	.p2align	6
.LBB1_6:                                ; =>This Inner Loop Header: Depth=1
	global_store_b32 v[1:2], v9, off
	global_store_b32 v[3:4], v8, off
	;; [unrolled: 1-line block ×3, first 2 shown]
	v_add_co_u32 v1, vcc_lo, v1, 4
	v_add_co_ci_u32_e32 v2, vcc_lo, 0, v2, vcc_lo
	v_dual_add_f32 v11, v7, v9 :: v_dual_add_nc_u32 v10, s3, v10
	v_add_co_u32 v3, vcc_lo, v3, 4
	v_add_co_ci_u32_e32 v4, vcc_lo, 0, v4, vcc_lo
	v_add_co_u32 v5, vcc_lo, v5, 4
	s_delay_alu instid0(VALU_DEP_4) | instskip(SKIP_2) | instid1(SALU_CYCLE_1)
	v_cndmask_b32_e64 v7, v7, v11, s2
	v_add_co_ci_u32_e32 v6, vcc_lo, 0, v6, vcc_lo
	s_add_i32 s0, s0, -1
	s_cmp_lg_u32 s0, 0
	s_cbranch_scc1 .LBB1_6
; %bb.7:
	s_and_not1_b32 vcc_lo, exec_lo, s2
	s_cbranch_vccz .LBB1_9
	s_branch .LBB1_12
.LBB1_8:
	v_mov_b32_e32 v7, 0
	s_and_not1_b32 vcc_lo, exec_lo, s2
	s_cbranch_vccnz .LBB1_12
.LBB1_9:
	s_and_not1_b32 vcc_lo, exec_lo, s7
	s_cbranch_vccnz .LBB1_12
; %bb.10:
	v_mul_lo_u32 v0, v0, s4
	v_cmp_lt_f32_e32 vcc_lo, 0, v7
	v_cndmask_b32_e32 v2, 1.0, v7, vcc_lo
	s_delay_alu instid0(VALU_DEP_3) | instskip(NEXT) | instid1(VALU_DEP_1)
	v_ashrrev_i32_e32 v1, 31, v0
	v_lshlrev_b64 v[0:1], 2, v[0:1]
	s_delay_alu instid0(VALU_DEP_1) | instskip(NEXT) | instid1(VALU_DEP_2)
	v_add_co_u32 v0, vcc_lo, s12, v0
	v_add_co_ci_u32_e32 v1, vcc_lo, s13, v1, vcc_lo
	.p2align	6
.LBB1_11:                               ; =>This Inner Loop Header: Depth=1
	global_load_b32 v3, v[0:1], off
	s_add_i32 s4, s4, -1
	s_delay_alu instid0(SALU_CYCLE_1) | instskip(SKIP_3) | instid1(VALU_DEP_2)
	s_cmp_lg_u32 s4, 0
	s_waitcnt vmcnt(0)
	v_div_scale_f32 v4, null, v2, v2, v3
	v_div_scale_f32 v7, vcc_lo, v3, v2, v3
	v_rcp_f32_e32 v5, v4
	s_waitcnt_depctr 0xfff
	v_fma_f32 v6, -v4, v5, 1.0
	s_delay_alu instid0(VALU_DEP_1) | instskip(NEXT) | instid1(VALU_DEP_1)
	v_fmac_f32_e32 v5, v6, v5
	v_mul_f32_e32 v6, v7, v5
	s_delay_alu instid0(VALU_DEP_1) | instskip(NEXT) | instid1(VALU_DEP_1)
	v_fma_f32 v8, -v4, v6, v7
	v_fmac_f32_e32 v6, v8, v5
	s_delay_alu instid0(VALU_DEP_1) | instskip(NEXT) | instid1(VALU_DEP_1)
	v_fma_f32 v4, -v4, v6, v7
	v_div_fmas_f32 v4, v4, v5, v6
	s_delay_alu instid0(VALU_DEP_1)
	v_div_fixup_f32 v3, v4, v2, v3
	global_store_b32 v[0:1], v3, off
	v_add_co_u32 v0, vcc_lo, v0, 4
	v_add_co_ci_u32_e32 v1, vcc_lo, 0, v1, vcc_lo
	s_cbranch_scc1 .LBB1_11
.LBB1_12:
	s_nop 0
	s_sendmsg sendmsg(MSG_DEALLOC_VGPRS)
	s_endpgm
	.section	.rodata,"a",@progbits
	.p2align	6, 0x0
	.amdhsa_kernel _ZN4vllm3moe10topkGatingILi1ELi1ELi4ELi4ELi32EifLNS0_11ScoringFuncE0EEEvPKT5_PKbPfiPT4_PiiiibPKf
		.amdhsa_group_segment_fixed_size 0
		.amdhsa_private_segment_fixed_size 0
		.amdhsa_kernarg_size 72
		.amdhsa_user_sgpr_count 15
		.amdhsa_user_sgpr_dispatch_ptr 0
		.amdhsa_user_sgpr_queue_ptr 0
		.amdhsa_user_sgpr_kernarg_segment_ptr 1
		.amdhsa_user_sgpr_dispatch_id 0
		.amdhsa_user_sgpr_private_segment_size 0
		.amdhsa_wavefront_size32 1
		.amdhsa_uses_dynamic_stack 0
		.amdhsa_enable_private_segment 0
		.amdhsa_system_sgpr_workgroup_id_x 1
		.amdhsa_system_sgpr_workgroup_id_y 0
		.amdhsa_system_sgpr_workgroup_id_z 0
		.amdhsa_system_sgpr_workgroup_info 0
		.amdhsa_system_vgpr_workitem_id 1
		.amdhsa_next_free_vgpr 12
		.amdhsa_next_free_sgpr 20
		.amdhsa_reserve_vcc 1
		.amdhsa_float_round_mode_32 0
		.amdhsa_float_round_mode_16_64 0
		.amdhsa_float_denorm_mode_32 3
		.amdhsa_float_denorm_mode_16_64 3
		.amdhsa_dx10_clamp 1
		.amdhsa_ieee_mode 1
		.amdhsa_fp16_overflow 0
		.amdhsa_workgroup_processor_mode 1
		.amdhsa_memory_ordered 1
		.amdhsa_forward_progress 0
		.amdhsa_shared_vgpr_count 0
		.amdhsa_exception_fp_ieee_invalid_op 0
		.amdhsa_exception_fp_denorm_src 0
		.amdhsa_exception_fp_ieee_div_zero 0
		.amdhsa_exception_fp_ieee_overflow 0
		.amdhsa_exception_fp_ieee_underflow 0
		.amdhsa_exception_fp_ieee_inexact 0
		.amdhsa_exception_int_div_zero 0
	.end_amdhsa_kernel
	.section	.text._ZN4vllm3moe10topkGatingILi1ELi1ELi4ELi4ELi32EifLNS0_11ScoringFuncE0EEEvPKT5_PKbPfiPT4_PiiiibPKf,"axG",@progbits,_ZN4vllm3moe10topkGatingILi1ELi1ELi4ELi4ELi32EifLNS0_11ScoringFuncE0EEEvPKT5_PKbPfiPT4_PiiiibPKf,comdat
.Lfunc_end1:
	.size	_ZN4vllm3moe10topkGatingILi1ELi1ELi4ELi4ELi32EifLNS0_11ScoringFuncE0EEEvPKT5_PKbPfiPT4_PiiiibPKf, .Lfunc_end1-_ZN4vllm3moe10topkGatingILi1ELi1ELi4ELi4ELi32EifLNS0_11ScoringFuncE0EEEvPKT5_PKbPfiPT4_PiiiibPKf
                                        ; -- End function
	.section	.AMDGPU.csdata,"",@progbits
; Kernel info:
; codeLenInByte = 896
; NumSgprs: 22
; NumVgprs: 12
; ScratchSize: 0
; MemoryBound: 0
; FloatMode: 240
; IeeeMode: 1
; LDSByteSize: 0 bytes/workgroup (compile time only)
; SGPRBlocks: 2
; VGPRBlocks: 1
; NumSGPRsForWavesPerEU: 22
; NumVGPRsForWavesPerEU: 12
; Occupancy: 16
; WaveLimiterHint : 0
; COMPUTE_PGM_RSRC2:SCRATCH_EN: 0
; COMPUTE_PGM_RSRC2:USER_SGPR: 15
; COMPUTE_PGM_RSRC2:TRAP_HANDLER: 0
; COMPUTE_PGM_RSRC2:TGID_X_EN: 1
; COMPUTE_PGM_RSRC2:TGID_Y_EN: 0
; COMPUTE_PGM_RSRC2:TGID_Z_EN: 0
; COMPUTE_PGM_RSRC2:TIDIG_COMP_CNT: 1
	.section	.text._ZN4vllm3moe10topkGatingILi2ELi2ELi4ELi8ELi64EifLNS0_11ScoringFuncE0EEEvPKT5_PKbPfiPT4_PiiiibPKf,"axG",@progbits,_ZN4vllm3moe10topkGatingILi2ELi2ELi4ELi8ELi64EifLNS0_11ScoringFuncE0EEEvPKT5_PKbPfiPT4_PiiiibPKf,comdat
	.protected	_ZN4vllm3moe10topkGatingILi2ELi2ELi4ELi8ELi64EifLNS0_11ScoringFuncE0EEEvPKT5_PKbPfiPT4_PiiiibPKf ; -- Begin function _ZN4vllm3moe10topkGatingILi2ELi2ELi4ELi8ELi64EifLNS0_11ScoringFuncE0EEEvPKT5_PKbPfiPT4_PiiiibPKf
	.globl	_ZN4vllm3moe10topkGatingILi2ELi2ELi4ELi8ELi64EifLNS0_11ScoringFuncE0EEEvPKT5_PKbPfiPT4_PiiiibPKf
	.p2align	8
	.type	_ZN4vllm3moe10topkGatingILi2ELi2ELi4ELi8ELi64EifLNS0_11ScoringFuncE0EEEvPKT5_PKbPfiPT4_PiiiibPKf,@function
_ZN4vllm3moe10topkGatingILi2ELi2ELi4ELi8ELi64EifLNS0_11ScoringFuncE0EEEvPKT5_PKbPfiPT4_PiiiibPKf: ; @_ZN4vllm3moe10topkGatingILi2ELi2ELi4ELi8ELi64EifLNS0_11ScoringFuncE0EEEvPKT5_PKbPfiPT4_PiiiibPKf
; %bb.0:
	s_load_b32 s10, s[0:1], 0x18
	v_bfe_u32 v1, v0, 10, 10
	v_and_b32_e32 v0, 0x3ff, v0
	s_lshl_b32 s2, s15, 8
	s_delay_alu instid0(VALU_DEP_2) | instskip(NEXT) | instid1(VALU_DEP_1)
	v_lshlrev_b32_e32 v1, 6, v1
	v_add3_u32 v10, v1, v0, s2
	s_mov_b32 s2, exec_lo
	s_waitcnt lgkmcnt(0)
	s_delay_alu instid0(VALU_DEP_1)
	v_cmpx_gt_i32_e64 s10, v10
	s_cbranch_execz .LBB2_14
; %bb.1:
	s_clause 0x1
	s_load_b128 s[4:7], s[0:1], 0x0
	s_load_b64 s[8:9], s[0:1], 0x10
	s_waitcnt lgkmcnt(0)
	s_cmp_eq_u64 s[6:7], 0
	s_cbranch_scc1 .LBB2_3
; %bb.2:
	v_ashrrev_i32_e32 v1, 31, v10
	v_add_co_u32 v0, vcc_lo, s6, v10
	s_delay_alu instid0(VALU_DEP_2) | instskip(SKIP_3) | instid1(VALU_DEP_1)
	v_add_co_ci_u32_e32 v1, vcc_lo, s7, v1, vcc_lo
	global_load_u8 v0, v[0:1], off
	s_waitcnt vmcnt(0)
	v_and_b32_e32 v0, 1, v0
	v_cmp_eq_u32_e32 vcc_lo, 1, v0
	s_xor_b32 s2, vcc_lo, -1
	s_delay_alu instid0(SALU_CYCLE_1)
	s_or_not1_b32 s11, s2, exec_lo
	s_branch .LBB2_4
.LBB2_3:
	s_mov_b32 s11, -1
.LBB2_4:
	v_lshlrev_b32_e32 v0, 1, v10
	s_load_b64 s[2:3], s[0:1], 0x40
	s_delay_alu instid0(VALU_DEP_1) | instskip(NEXT) | instid1(VALU_DEP_1)
	v_ashrrev_i32_e32 v1, 31, v0
	v_lshlrev_b64 v[0:1], 2, v[0:1]
	s_delay_alu instid0(VALU_DEP_1) | instskip(NEXT) | instid1(VALU_DEP_2)
	v_add_co_u32 v0, vcc_lo, s4, v0
	v_add_co_ci_u32_e32 v1, vcc_lo, s5, v1, vcc_lo
	s_waitcnt lgkmcnt(0)
	s_cmp_eq_u64 s[2:3], 0
	global_load_b64 v[0:1], v[0:1], off
	s_waitcnt vmcnt(0)
	v_dual_max_f32 v2, v1, v1 :: v_dual_max_f32 v3, v0, v0
	s_delay_alu instid0(VALU_DEP_1) | instskip(NEXT) | instid1(VALU_DEP_1)
	v_max_f32_e32 v2, v3, v2
	v_sub_f32_e32 v1, v1, v2
	s_delay_alu instid0(VALU_DEP_1) | instskip(NEXT) | instid1(VALU_DEP_1)
	v_mul_f32_e32 v3, 0x3fb8aa3b, v1
	v_rndne_f32_e32 v7, v3
	v_sub_f32_e32 v0, v0, v2
	v_fma_f32 v6, 0x3fb8aa3b, v1, -v3
	s_delay_alu instid0(VALU_DEP_2) | instskip(NEXT) | instid1(VALU_DEP_2)
	v_dual_sub_f32 v3, v3, v7 :: v_dual_mul_f32 v2, 0x3fb8aa3b, v0
	v_fmac_f32_e32 v6, 0x32a5705f, v1
	v_cmp_ngt_f32_e32 vcc_lo, 0xc2ce8ed0, v0
	s_delay_alu instid0(VALU_DEP_3) | instskip(SKIP_1) | instid1(VALU_DEP_2)
	v_fma_f32 v4, 0x3fb8aa3b, v0, -v2
	v_rndne_f32_e32 v5, v2
	v_dual_add_f32 v3, v3, v6 :: v_dual_fmac_f32 v4, 0x32a5705f, v0
	s_delay_alu instid0(VALU_DEP_2) | instskip(NEXT) | instid1(VALU_DEP_2)
	v_sub_f32_e32 v2, v2, v5
	v_exp_f32_e32 v3, v3
	s_delay_alu instid0(VALU_DEP_1) | instskip(SKIP_2) | instid1(VALU_DEP_3)
	v_add_f32_e32 v2, v2, v4
	v_cvt_i32_f32_e32 v4, v5
	v_cvt_i32_f32_e32 v5, v7
	v_exp_f32_e32 v2, v2
	s_waitcnt_depctr 0xfff
	v_ldexp_f32 v3, v3, v5
	v_ldexp_f32 v2, v2, v4
	s_delay_alu instid0(VALU_DEP_1) | instskip(SKIP_1) | instid1(VALU_DEP_4)
	v_cndmask_b32_e32 v2, 0, v2, vcc_lo
	v_cmp_ngt_f32_e32 vcc_lo, 0xc2ce8ed0, v1
	v_cndmask_b32_e32 v3, 0, v3, vcc_lo
	v_cmp_nlt_f32_e32 vcc_lo, 0x42b17218, v0
	s_delay_alu instid0(VALU_DEP_4) | instskip(SKIP_1) | instid1(VALU_DEP_4)
	v_cndmask_b32_e32 v0, 0x7f800000, v2, vcc_lo
	v_cmp_nlt_f32_e32 vcc_lo, 0x42b17218, v1
	v_cndmask_b32_e32 v1, 0x7f800000, v3, vcc_lo
	s_delay_alu instid0(VALU_DEP_1) | instskip(NEXT) | instid1(VALU_DEP_1)
	v_add_f32_e32 v2, v0, v1
	v_div_scale_f32 v3, null, v2, v2, 1.0
	v_div_scale_f32 v6, vcc_lo, 1.0, v2, 1.0
	s_delay_alu instid0(VALU_DEP_2) | instskip(SKIP_2) | instid1(VALU_DEP_1)
	v_rcp_f32_e32 v4, v3
	s_waitcnt_depctr 0xfff
	v_fma_f32 v5, -v3, v4, 1.0
	v_fmac_f32_e32 v4, v5, v4
	s_delay_alu instid0(VALU_DEP_1) | instskip(NEXT) | instid1(VALU_DEP_1)
	v_mul_f32_e32 v5, v6, v4
	v_fma_f32 v7, -v3, v5, v6
	s_delay_alu instid0(VALU_DEP_1) | instskip(NEXT) | instid1(VALU_DEP_1)
	v_fmac_f32_e32 v5, v7, v4
	v_fma_f32 v3, -v3, v5, v6
	s_delay_alu instid0(VALU_DEP_1) | instskip(NEXT) | instid1(VALU_DEP_1)
	v_div_fmas_f32 v3, v3, v4, v5
	v_div_fixup_f32 v2, v3, v2, 1.0
	s_delay_alu instid0(VALU_DEP_1) | instskip(SKIP_1) | instid1(VALU_DEP_1)
	v_mul_f32_e32 v1, v2, v1
	v_mul_f32_e32 v0, v2, v0
	v_cmp_class_f32_e64 vcc_lo, v0, 0x1f8
	v_cndmask_b32_e32 v0, 0, v0, vcc_lo
	s_delay_alu instid0(VALU_DEP_4) | instskip(SKIP_1) | instid1(VALU_DEP_1)
	v_cmp_class_f32_e64 vcc_lo, v1, 0x1f8
	v_cndmask_b32_e32 v1, 0, v1, vcc_lo
	v_dual_mov_b32 v3, v1 :: v_dual_mov_b32 v2, v0
	s_cbranch_scc1 .LBB2_6
; %bb.5:
	s_load_b64 s[2:3], s[2:3], 0x0
	s_waitcnt lgkmcnt(0)
	v_dual_add_f32 v2, s2, v0 :: v_dual_add_f32 v3, s3, v1
.LBB2_6:
	s_load_b128 s[4:7], s[0:1], 0x30
	s_waitcnt lgkmcnt(0)
	s_bitcmp1_b32 s7, 0
	s_cselect_b32 vcc_lo, -1, 0
	s_cmp_gt_i32 s4, 0
	s_cselect_b32 s3, -1, 0
	s_cmp_lt_i32 s4, 1
	s_cbranch_scc1 .LBB2_10
; %bb.7:
	v_mul_lo_u32 v4, v10, s4
	s_load_b128 s[12:15], s[0:1], 0x20
	v_dual_mov_b32 v11, 0 :: v_dual_mov_b32 v12, v10
	s_mov_b32 s7, 0
	s_delay_alu instid0(VALU_DEP_2) | instskip(NEXT) | instid1(VALU_DEP_1)
	v_ashrrev_i32_e32 v5, 31, v4
	v_lshlrev_b64 v[8:9], 2, v[4:5]
	s_delay_alu instid0(VALU_DEP_1) | instskip(NEXT) | instid1(VALU_DEP_1)
	v_add_co_u32 v4, s0, s8, v8
	v_add_co_ci_u32_e64 v5, s0, s9, v9, s0
	s_waitcnt lgkmcnt(0)
	v_add_co_u32 v6, s0, s12, v8
	s_delay_alu instid0(VALU_DEP_1) | instskip(SKIP_1) | instid1(VALU_DEP_1)
	v_add_co_ci_u32_e64 v7, s0, s13, v9, s0
	v_add_co_u32 v8, s0, s14, v8
	v_add_co_ci_u32_e64 v9, s0, s15, v9, s0
.LBB2_8:                                ; =>This Inner Loop Header: Depth=1
	v_cmp_gt_f32_e64 s0, v3, v2
	s_add_i32 s7, s7, 1
	s_delay_alu instid0(VALU_DEP_1) | instskip(SKIP_3) | instid1(VALU_DEP_4)
	v_cndmask_b32_e64 v14, 0, 1, s0
	v_cndmask_b32_e64 v13, v0, v1, s0
	v_cndmask_b32_e64 v15, 0xc61c4000, v2, s0
	v_cndmask_b32_e64 v16, v3, 0xc61c4000, s0
	v_cmp_le_i32_e64 s1, s5, v14
	v_cmp_gt_i32_e64 s2, s6, v14
	v_subrev_nc_u32_e32 v14, s5, v14
	global_store_b32 v[4:5], v13, off
	v_add_f32_e32 v13, v11, v13
	s_and_b32 s1, s1, s2
	s_delay_alu instid0(SALU_CYCLE_1)
	s_and_b32 s0, s11, s1
	s_cmp_lt_i32 s7, s4
	v_cndmask_b32_e64 v14, 2, v14, s0
	s_cselect_b32 s0, -1, 0
	s_cmp_eq_u32 s4, s7
	v_cndmask_b32_e64 v3, v3, v16, s0
	v_cndmask_b32_e64 v2, v2, v15, s0
	v_add_co_u32 v4, s0, v4, 4
	s_delay_alu instid0(VALU_DEP_1) | instskip(SKIP_4) | instid1(VALU_DEP_1)
	v_add_co_ci_u32_e64 v5, s0, 0, v5, s0
	global_store_b32 v[6:7], v14, off
	global_store_b32 v[8:9], v12, off
	v_add_nc_u32_e32 v12, s10, v12
	v_add_co_u32 v6, s0, v6, 4
	v_add_co_ci_u32_e64 v7, s0, 0, v7, s0
	v_add_co_u32 v8, s0, v8, 4
	v_cndmask_b32_e32 v11, v11, v13, vcc_lo
	v_add_co_ci_u32_e64 v9, s0, 0, v9, s0
	s_cbranch_scc0 .LBB2_8
; %bb.9:
	s_and_b32 vcc_lo, exec_lo, vcc_lo
	s_cbranch_vccnz .LBB2_11
	s_branch .LBB2_14
.LBB2_10:
	v_mov_b32_e32 v11, 0
	s_and_b32 vcc_lo, exec_lo, vcc_lo
	s_cbranch_vccz .LBB2_14
.LBB2_11:
	s_and_not1_b32 vcc_lo, exec_lo, s3
	s_cbranch_vccnz .LBB2_14
; %bb.12:
	v_mul_lo_u32 v0, v10, s4
	v_cmp_lt_f32_e32 vcc_lo, 0, v11
	v_cndmask_b32_e32 v2, 1.0, v11, vcc_lo
	s_delay_alu instid0(VALU_DEP_3) | instskip(NEXT) | instid1(VALU_DEP_1)
	v_ashrrev_i32_e32 v1, 31, v0
	v_lshlrev_b64 v[0:1], 2, v[0:1]
	s_delay_alu instid0(VALU_DEP_1) | instskip(NEXT) | instid1(VALU_DEP_2)
	v_add_co_u32 v0, vcc_lo, s8, v0
	v_add_co_ci_u32_e32 v1, vcc_lo, s9, v1, vcc_lo
	.p2align	6
.LBB2_13:                               ; =>This Inner Loop Header: Depth=1
	global_load_b32 v3, v[0:1], off
	s_add_i32 s4, s4, -1
	s_delay_alu instid0(SALU_CYCLE_1) | instskip(SKIP_3) | instid1(VALU_DEP_2)
	s_cmp_lg_u32 s4, 0
	s_waitcnt vmcnt(0)
	v_div_scale_f32 v4, null, v2, v2, v3
	v_div_scale_f32 v7, vcc_lo, v3, v2, v3
	v_rcp_f32_e32 v5, v4
	s_waitcnt_depctr 0xfff
	v_fma_f32 v6, -v4, v5, 1.0
	s_delay_alu instid0(VALU_DEP_1) | instskip(NEXT) | instid1(VALU_DEP_1)
	v_fmac_f32_e32 v5, v6, v5
	v_mul_f32_e32 v6, v7, v5
	s_delay_alu instid0(VALU_DEP_1) | instskip(NEXT) | instid1(VALU_DEP_1)
	v_fma_f32 v8, -v4, v6, v7
	v_fmac_f32_e32 v6, v8, v5
	s_delay_alu instid0(VALU_DEP_1) | instskip(NEXT) | instid1(VALU_DEP_1)
	v_fma_f32 v4, -v4, v6, v7
	v_div_fmas_f32 v4, v4, v5, v6
	s_delay_alu instid0(VALU_DEP_1)
	v_div_fixup_f32 v3, v4, v2, v3
	global_store_b32 v[0:1], v3, off
	v_add_co_u32 v0, vcc_lo, v0, 4
	v_add_co_ci_u32_e32 v1, vcc_lo, 0, v1, vcc_lo
	s_cbranch_scc1 .LBB2_13
.LBB2_14:
	s_nop 0
	s_sendmsg sendmsg(MSG_DEALLOC_VGPRS)
	s_endpgm
	.section	.rodata,"a",@progbits
	.p2align	6, 0x0
	.amdhsa_kernel _ZN4vllm3moe10topkGatingILi2ELi2ELi4ELi8ELi64EifLNS0_11ScoringFuncE0EEEvPKT5_PKbPfiPT4_PiiiibPKf
		.amdhsa_group_segment_fixed_size 0
		.amdhsa_private_segment_fixed_size 0
		.amdhsa_kernarg_size 72
		.amdhsa_user_sgpr_count 15
		.amdhsa_user_sgpr_dispatch_ptr 0
		.amdhsa_user_sgpr_queue_ptr 0
		.amdhsa_user_sgpr_kernarg_segment_ptr 1
		.amdhsa_user_sgpr_dispatch_id 0
		.amdhsa_user_sgpr_private_segment_size 0
		.amdhsa_wavefront_size32 1
		.amdhsa_uses_dynamic_stack 0
		.amdhsa_enable_private_segment 0
		.amdhsa_system_sgpr_workgroup_id_x 1
		.amdhsa_system_sgpr_workgroup_id_y 0
		.amdhsa_system_sgpr_workgroup_id_z 0
		.amdhsa_system_sgpr_workgroup_info 0
		.amdhsa_system_vgpr_workitem_id 1
		.amdhsa_next_free_vgpr 17
		.amdhsa_next_free_sgpr 16
		.amdhsa_reserve_vcc 1
		.amdhsa_float_round_mode_32 0
		.amdhsa_float_round_mode_16_64 0
		.amdhsa_float_denorm_mode_32 3
		.amdhsa_float_denorm_mode_16_64 3
		.amdhsa_dx10_clamp 1
		.amdhsa_ieee_mode 1
		.amdhsa_fp16_overflow 0
		.amdhsa_workgroup_processor_mode 1
		.amdhsa_memory_ordered 1
		.amdhsa_forward_progress 0
		.amdhsa_shared_vgpr_count 0
		.amdhsa_exception_fp_ieee_invalid_op 0
		.amdhsa_exception_fp_denorm_src 0
		.amdhsa_exception_fp_ieee_div_zero 0
		.amdhsa_exception_fp_ieee_overflow 0
		.amdhsa_exception_fp_ieee_underflow 0
		.amdhsa_exception_fp_ieee_inexact 0
		.amdhsa_exception_int_div_zero 0
	.end_amdhsa_kernel
	.section	.text._ZN4vllm3moe10topkGatingILi2ELi2ELi4ELi8ELi64EifLNS0_11ScoringFuncE0EEEvPKT5_PKbPfiPT4_PiiiibPKf,"axG",@progbits,_ZN4vllm3moe10topkGatingILi2ELi2ELi4ELi8ELi64EifLNS0_11ScoringFuncE0EEEvPKT5_PKbPfiPT4_PiiiibPKf,comdat
.Lfunc_end2:
	.size	_ZN4vllm3moe10topkGatingILi2ELi2ELi4ELi8ELi64EifLNS0_11ScoringFuncE0EEEvPKT5_PKbPfiPT4_PiiiibPKf, .Lfunc_end2-_ZN4vllm3moe10topkGatingILi2ELi2ELi4ELi8ELi64EifLNS0_11ScoringFuncE0EEEvPKT5_PKbPfiPT4_PiiiibPKf
                                        ; -- End function
	.section	.AMDGPU.csdata,"",@progbits
; Kernel info:
; codeLenInByte = 1216
; NumSgprs: 18
; NumVgprs: 17
; ScratchSize: 0
; MemoryBound: 0
; FloatMode: 240
; IeeeMode: 1
; LDSByteSize: 0 bytes/workgroup (compile time only)
; SGPRBlocks: 2
; VGPRBlocks: 2
; NumSGPRsForWavesPerEU: 18
; NumVGPRsForWavesPerEU: 17
; Occupancy: 16
; WaveLimiterHint : 0
; COMPUTE_PGM_RSRC2:SCRATCH_EN: 0
; COMPUTE_PGM_RSRC2:USER_SGPR: 15
; COMPUTE_PGM_RSRC2:TRAP_HANDLER: 0
; COMPUTE_PGM_RSRC2:TGID_X_EN: 1
; COMPUTE_PGM_RSRC2:TGID_Y_EN: 0
; COMPUTE_PGM_RSRC2:TGID_Z_EN: 0
; COMPUTE_PGM_RSRC2:TIDIG_COMP_CNT: 1
	.section	.text._ZN4vllm3moe10topkGatingILi2ELi2ELi4ELi8ELi32EifLNS0_11ScoringFuncE0EEEvPKT5_PKbPfiPT4_PiiiibPKf,"axG",@progbits,_ZN4vllm3moe10topkGatingILi2ELi2ELi4ELi8ELi32EifLNS0_11ScoringFuncE0EEEvPKT5_PKbPfiPT4_PiiiibPKf,comdat
	.protected	_ZN4vllm3moe10topkGatingILi2ELi2ELi4ELi8ELi32EifLNS0_11ScoringFuncE0EEEvPKT5_PKbPfiPT4_PiiiibPKf ; -- Begin function _ZN4vllm3moe10topkGatingILi2ELi2ELi4ELi8ELi32EifLNS0_11ScoringFuncE0EEEvPKT5_PKbPfiPT4_PiiiibPKf
	.globl	_ZN4vllm3moe10topkGatingILi2ELi2ELi4ELi8ELi32EifLNS0_11ScoringFuncE0EEEvPKT5_PKbPfiPT4_PiiiibPKf
	.p2align	8
	.type	_ZN4vllm3moe10topkGatingILi2ELi2ELi4ELi8ELi32EifLNS0_11ScoringFuncE0EEEvPKT5_PKbPfiPT4_PiiiibPKf,@function
_ZN4vllm3moe10topkGatingILi2ELi2ELi4ELi8ELi32EifLNS0_11ScoringFuncE0EEEvPKT5_PKbPfiPT4_PiiiibPKf: ; @_ZN4vllm3moe10topkGatingILi2ELi2ELi4ELi8ELi32EifLNS0_11ScoringFuncE0EEEvPKT5_PKbPfiPT4_PiiiibPKf
; %bb.0:
	s_load_b32 s10, s[0:1], 0x18
	v_bfe_u32 v1, v0, 10, 10
	v_and_b32_e32 v0, 0x3ff, v0
	s_lshl_b32 s2, s15, 7
	s_delay_alu instid0(VALU_DEP_2) | instskip(NEXT) | instid1(VALU_DEP_1)
	v_lshlrev_b32_e32 v1, 5, v1
	v_add3_u32 v10, v1, v0, s2
	s_mov_b32 s2, exec_lo
	s_waitcnt lgkmcnt(0)
	s_delay_alu instid0(VALU_DEP_1)
	v_cmpx_gt_i32_e64 s10, v10
	s_cbranch_execz .LBB3_14
; %bb.1:
	s_clause 0x1
	s_load_b128 s[4:7], s[0:1], 0x0
	s_load_b64 s[8:9], s[0:1], 0x10
	s_waitcnt lgkmcnt(0)
	s_cmp_eq_u64 s[6:7], 0
	s_cbranch_scc1 .LBB3_3
; %bb.2:
	v_ashrrev_i32_e32 v1, 31, v10
	v_add_co_u32 v0, vcc_lo, s6, v10
	s_delay_alu instid0(VALU_DEP_2) | instskip(SKIP_3) | instid1(VALU_DEP_1)
	v_add_co_ci_u32_e32 v1, vcc_lo, s7, v1, vcc_lo
	global_load_u8 v0, v[0:1], off
	s_waitcnt vmcnt(0)
	v_and_b32_e32 v0, 1, v0
	v_cmp_eq_u32_e32 vcc_lo, 1, v0
	s_xor_b32 s2, vcc_lo, -1
	s_delay_alu instid0(SALU_CYCLE_1)
	s_or_not1_b32 s11, s2, exec_lo
	s_branch .LBB3_4
.LBB3_3:
	s_mov_b32 s11, -1
.LBB3_4:
	v_lshlrev_b32_e32 v0, 1, v10
	s_load_b64 s[2:3], s[0:1], 0x40
	s_delay_alu instid0(VALU_DEP_1) | instskip(NEXT) | instid1(VALU_DEP_1)
	v_ashrrev_i32_e32 v1, 31, v0
	v_lshlrev_b64 v[0:1], 2, v[0:1]
	s_delay_alu instid0(VALU_DEP_1) | instskip(NEXT) | instid1(VALU_DEP_2)
	v_add_co_u32 v0, vcc_lo, s4, v0
	v_add_co_ci_u32_e32 v1, vcc_lo, s5, v1, vcc_lo
	s_waitcnt lgkmcnt(0)
	s_cmp_eq_u64 s[2:3], 0
	global_load_b64 v[0:1], v[0:1], off
	s_waitcnt vmcnt(0)
	v_dual_max_f32 v2, v1, v1 :: v_dual_max_f32 v3, v0, v0
	s_delay_alu instid0(VALU_DEP_1) | instskip(NEXT) | instid1(VALU_DEP_1)
	v_max_f32_e32 v2, v3, v2
	v_sub_f32_e32 v1, v1, v2
	s_delay_alu instid0(VALU_DEP_1) | instskip(NEXT) | instid1(VALU_DEP_1)
	v_mul_f32_e32 v3, 0x3fb8aa3b, v1
	v_rndne_f32_e32 v7, v3
	v_sub_f32_e32 v0, v0, v2
	v_fma_f32 v6, 0x3fb8aa3b, v1, -v3
	s_delay_alu instid0(VALU_DEP_2) | instskip(NEXT) | instid1(VALU_DEP_2)
	v_dual_sub_f32 v3, v3, v7 :: v_dual_mul_f32 v2, 0x3fb8aa3b, v0
	v_fmac_f32_e32 v6, 0x32a5705f, v1
	v_cmp_ngt_f32_e32 vcc_lo, 0xc2ce8ed0, v0
	s_delay_alu instid0(VALU_DEP_3) | instskip(SKIP_1) | instid1(VALU_DEP_2)
	v_fma_f32 v4, 0x3fb8aa3b, v0, -v2
	v_rndne_f32_e32 v5, v2
	v_dual_add_f32 v3, v3, v6 :: v_dual_fmac_f32 v4, 0x32a5705f, v0
	s_delay_alu instid0(VALU_DEP_2) | instskip(NEXT) | instid1(VALU_DEP_2)
	v_sub_f32_e32 v2, v2, v5
	v_exp_f32_e32 v3, v3
	s_delay_alu instid0(VALU_DEP_1) | instskip(SKIP_2) | instid1(VALU_DEP_3)
	v_add_f32_e32 v2, v2, v4
	v_cvt_i32_f32_e32 v4, v5
	v_cvt_i32_f32_e32 v5, v7
	v_exp_f32_e32 v2, v2
	s_waitcnt_depctr 0xfff
	v_ldexp_f32 v3, v3, v5
	v_ldexp_f32 v2, v2, v4
	s_delay_alu instid0(VALU_DEP_1) | instskip(SKIP_1) | instid1(VALU_DEP_4)
	v_cndmask_b32_e32 v2, 0, v2, vcc_lo
	v_cmp_ngt_f32_e32 vcc_lo, 0xc2ce8ed0, v1
	v_cndmask_b32_e32 v3, 0, v3, vcc_lo
	v_cmp_nlt_f32_e32 vcc_lo, 0x42b17218, v0
	s_delay_alu instid0(VALU_DEP_4) | instskip(SKIP_1) | instid1(VALU_DEP_4)
	v_cndmask_b32_e32 v0, 0x7f800000, v2, vcc_lo
	v_cmp_nlt_f32_e32 vcc_lo, 0x42b17218, v1
	v_cndmask_b32_e32 v1, 0x7f800000, v3, vcc_lo
	s_delay_alu instid0(VALU_DEP_1) | instskip(NEXT) | instid1(VALU_DEP_1)
	v_add_f32_e32 v2, v0, v1
	v_div_scale_f32 v3, null, v2, v2, 1.0
	v_div_scale_f32 v6, vcc_lo, 1.0, v2, 1.0
	s_delay_alu instid0(VALU_DEP_2) | instskip(SKIP_2) | instid1(VALU_DEP_1)
	v_rcp_f32_e32 v4, v3
	s_waitcnt_depctr 0xfff
	v_fma_f32 v5, -v3, v4, 1.0
	v_fmac_f32_e32 v4, v5, v4
	s_delay_alu instid0(VALU_DEP_1) | instskip(NEXT) | instid1(VALU_DEP_1)
	v_mul_f32_e32 v5, v6, v4
	v_fma_f32 v7, -v3, v5, v6
	s_delay_alu instid0(VALU_DEP_1) | instskip(NEXT) | instid1(VALU_DEP_1)
	v_fmac_f32_e32 v5, v7, v4
	v_fma_f32 v3, -v3, v5, v6
	s_delay_alu instid0(VALU_DEP_1) | instskip(NEXT) | instid1(VALU_DEP_1)
	v_div_fmas_f32 v3, v3, v4, v5
	v_div_fixup_f32 v2, v3, v2, 1.0
	s_delay_alu instid0(VALU_DEP_1) | instskip(SKIP_1) | instid1(VALU_DEP_1)
	v_mul_f32_e32 v1, v2, v1
	v_mul_f32_e32 v0, v2, v0
	v_cmp_class_f32_e64 vcc_lo, v0, 0x1f8
	v_cndmask_b32_e32 v0, 0, v0, vcc_lo
	s_delay_alu instid0(VALU_DEP_4) | instskip(SKIP_1) | instid1(VALU_DEP_1)
	v_cmp_class_f32_e64 vcc_lo, v1, 0x1f8
	v_cndmask_b32_e32 v1, 0, v1, vcc_lo
	v_dual_mov_b32 v3, v1 :: v_dual_mov_b32 v2, v0
	s_cbranch_scc1 .LBB3_6
; %bb.5:
	s_load_b64 s[2:3], s[2:3], 0x0
	s_waitcnt lgkmcnt(0)
	v_dual_add_f32 v2, s2, v0 :: v_dual_add_f32 v3, s3, v1
.LBB3_6:
	s_load_b128 s[4:7], s[0:1], 0x30
	s_waitcnt lgkmcnt(0)
	s_bitcmp1_b32 s7, 0
	s_cselect_b32 vcc_lo, -1, 0
	s_cmp_gt_i32 s4, 0
	s_cselect_b32 s3, -1, 0
	s_cmp_lt_i32 s4, 1
	s_cbranch_scc1 .LBB3_10
; %bb.7:
	v_mul_lo_u32 v4, v10, s4
	s_load_b128 s[12:15], s[0:1], 0x20
	v_dual_mov_b32 v11, 0 :: v_dual_mov_b32 v12, v10
	s_mov_b32 s7, 0
	s_delay_alu instid0(VALU_DEP_2) | instskip(NEXT) | instid1(VALU_DEP_1)
	v_ashrrev_i32_e32 v5, 31, v4
	v_lshlrev_b64 v[8:9], 2, v[4:5]
	s_delay_alu instid0(VALU_DEP_1) | instskip(NEXT) | instid1(VALU_DEP_1)
	v_add_co_u32 v4, s0, s8, v8
	v_add_co_ci_u32_e64 v5, s0, s9, v9, s0
	s_waitcnt lgkmcnt(0)
	v_add_co_u32 v6, s0, s12, v8
	s_delay_alu instid0(VALU_DEP_1) | instskip(SKIP_1) | instid1(VALU_DEP_1)
	v_add_co_ci_u32_e64 v7, s0, s13, v9, s0
	v_add_co_u32 v8, s0, s14, v8
	v_add_co_ci_u32_e64 v9, s0, s15, v9, s0
.LBB3_8:                                ; =>This Inner Loop Header: Depth=1
	v_cmp_gt_f32_e64 s0, v3, v2
	s_add_i32 s7, s7, 1
	s_delay_alu instid0(VALU_DEP_1) | instskip(SKIP_3) | instid1(VALU_DEP_4)
	v_cndmask_b32_e64 v14, 0, 1, s0
	v_cndmask_b32_e64 v13, v0, v1, s0
	v_cndmask_b32_e64 v15, 0xc61c4000, v2, s0
	v_cndmask_b32_e64 v16, v3, 0xc61c4000, s0
	v_cmp_le_i32_e64 s1, s5, v14
	v_cmp_gt_i32_e64 s2, s6, v14
	v_subrev_nc_u32_e32 v14, s5, v14
	global_store_b32 v[4:5], v13, off
	v_add_f32_e32 v13, v11, v13
	s_and_b32 s1, s1, s2
	s_delay_alu instid0(SALU_CYCLE_1)
	s_and_b32 s0, s11, s1
	s_cmp_lt_i32 s7, s4
	v_cndmask_b32_e64 v14, 2, v14, s0
	s_cselect_b32 s0, -1, 0
	s_cmp_eq_u32 s4, s7
	v_cndmask_b32_e64 v3, v3, v16, s0
	v_cndmask_b32_e64 v2, v2, v15, s0
	v_add_co_u32 v4, s0, v4, 4
	s_delay_alu instid0(VALU_DEP_1) | instskip(SKIP_4) | instid1(VALU_DEP_1)
	v_add_co_ci_u32_e64 v5, s0, 0, v5, s0
	global_store_b32 v[6:7], v14, off
	global_store_b32 v[8:9], v12, off
	v_add_nc_u32_e32 v12, s10, v12
	v_add_co_u32 v6, s0, v6, 4
	v_add_co_ci_u32_e64 v7, s0, 0, v7, s0
	v_add_co_u32 v8, s0, v8, 4
	v_cndmask_b32_e32 v11, v11, v13, vcc_lo
	v_add_co_ci_u32_e64 v9, s0, 0, v9, s0
	s_cbranch_scc0 .LBB3_8
; %bb.9:
	s_and_b32 vcc_lo, exec_lo, vcc_lo
	s_cbranch_vccnz .LBB3_11
	s_branch .LBB3_14
.LBB3_10:
	v_mov_b32_e32 v11, 0
	s_and_b32 vcc_lo, exec_lo, vcc_lo
	s_cbranch_vccz .LBB3_14
.LBB3_11:
	s_and_not1_b32 vcc_lo, exec_lo, s3
	s_cbranch_vccnz .LBB3_14
; %bb.12:
	v_mul_lo_u32 v0, v10, s4
	v_cmp_lt_f32_e32 vcc_lo, 0, v11
	v_cndmask_b32_e32 v2, 1.0, v11, vcc_lo
	s_delay_alu instid0(VALU_DEP_3) | instskip(NEXT) | instid1(VALU_DEP_1)
	v_ashrrev_i32_e32 v1, 31, v0
	v_lshlrev_b64 v[0:1], 2, v[0:1]
	s_delay_alu instid0(VALU_DEP_1) | instskip(NEXT) | instid1(VALU_DEP_2)
	v_add_co_u32 v0, vcc_lo, s8, v0
	v_add_co_ci_u32_e32 v1, vcc_lo, s9, v1, vcc_lo
	.p2align	6
.LBB3_13:                               ; =>This Inner Loop Header: Depth=1
	global_load_b32 v3, v[0:1], off
	s_add_i32 s4, s4, -1
	s_delay_alu instid0(SALU_CYCLE_1) | instskip(SKIP_3) | instid1(VALU_DEP_2)
	s_cmp_lg_u32 s4, 0
	s_waitcnt vmcnt(0)
	v_div_scale_f32 v4, null, v2, v2, v3
	v_div_scale_f32 v7, vcc_lo, v3, v2, v3
	v_rcp_f32_e32 v5, v4
	s_waitcnt_depctr 0xfff
	v_fma_f32 v6, -v4, v5, 1.0
	s_delay_alu instid0(VALU_DEP_1) | instskip(NEXT) | instid1(VALU_DEP_1)
	v_fmac_f32_e32 v5, v6, v5
	v_mul_f32_e32 v6, v7, v5
	s_delay_alu instid0(VALU_DEP_1) | instskip(NEXT) | instid1(VALU_DEP_1)
	v_fma_f32 v8, -v4, v6, v7
	v_fmac_f32_e32 v6, v8, v5
	s_delay_alu instid0(VALU_DEP_1) | instskip(NEXT) | instid1(VALU_DEP_1)
	v_fma_f32 v4, -v4, v6, v7
	v_div_fmas_f32 v4, v4, v5, v6
	s_delay_alu instid0(VALU_DEP_1)
	v_div_fixup_f32 v3, v4, v2, v3
	global_store_b32 v[0:1], v3, off
	v_add_co_u32 v0, vcc_lo, v0, 4
	v_add_co_ci_u32_e32 v1, vcc_lo, 0, v1, vcc_lo
	s_cbranch_scc1 .LBB3_13
.LBB3_14:
	s_nop 0
	s_sendmsg sendmsg(MSG_DEALLOC_VGPRS)
	s_endpgm
	.section	.rodata,"a",@progbits
	.p2align	6, 0x0
	.amdhsa_kernel _ZN4vllm3moe10topkGatingILi2ELi2ELi4ELi8ELi32EifLNS0_11ScoringFuncE0EEEvPKT5_PKbPfiPT4_PiiiibPKf
		.amdhsa_group_segment_fixed_size 0
		.amdhsa_private_segment_fixed_size 0
		.amdhsa_kernarg_size 72
		.amdhsa_user_sgpr_count 15
		.amdhsa_user_sgpr_dispatch_ptr 0
		.amdhsa_user_sgpr_queue_ptr 0
		.amdhsa_user_sgpr_kernarg_segment_ptr 1
		.amdhsa_user_sgpr_dispatch_id 0
		.amdhsa_user_sgpr_private_segment_size 0
		.amdhsa_wavefront_size32 1
		.amdhsa_uses_dynamic_stack 0
		.amdhsa_enable_private_segment 0
		.amdhsa_system_sgpr_workgroup_id_x 1
		.amdhsa_system_sgpr_workgroup_id_y 0
		.amdhsa_system_sgpr_workgroup_id_z 0
		.amdhsa_system_sgpr_workgroup_info 0
		.amdhsa_system_vgpr_workitem_id 1
		.amdhsa_next_free_vgpr 17
		.amdhsa_next_free_sgpr 16
		.amdhsa_reserve_vcc 1
		.amdhsa_float_round_mode_32 0
		.amdhsa_float_round_mode_16_64 0
		.amdhsa_float_denorm_mode_32 3
		.amdhsa_float_denorm_mode_16_64 3
		.amdhsa_dx10_clamp 1
		.amdhsa_ieee_mode 1
		.amdhsa_fp16_overflow 0
		.amdhsa_workgroup_processor_mode 1
		.amdhsa_memory_ordered 1
		.amdhsa_forward_progress 0
		.amdhsa_shared_vgpr_count 0
		.amdhsa_exception_fp_ieee_invalid_op 0
		.amdhsa_exception_fp_denorm_src 0
		.amdhsa_exception_fp_ieee_div_zero 0
		.amdhsa_exception_fp_ieee_overflow 0
		.amdhsa_exception_fp_ieee_underflow 0
		.amdhsa_exception_fp_ieee_inexact 0
		.amdhsa_exception_int_div_zero 0
	.end_amdhsa_kernel
	.section	.text._ZN4vllm3moe10topkGatingILi2ELi2ELi4ELi8ELi32EifLNS0_11ScoringFuncE0EEEvPKT5_PKbPfiPT4_PiiiibPKf,"axG",@progbits,_ZN4vllm3moe10topkGatingILi2ELi2ELi4ELi8ELi32EifLNS0_11ScoringFuncE0EEEvPKT5_PKbPfiPT4_PiiiibPKf,comdat
.Lfunc_end3:
	.size	_ZN4vllm3moe10topkGatingILi2ELi2ELi4ELi8ELi32EifLNS0_11ScoringFuncE0EEEvPKT5_PKbPfiPT4_PiiiibPKf, .Lfunc_end3-_ZN4vllm3moe10topkGatingILi2ELi2ELi4ELi8ELi32EifLNS0_11ScoringFuncE0EEEvPKT5_PKbPfiPT4_PiiiibPKf
                                        ; -- End function
	.section	.AMDGPU.csdata,"",@progbits
; Kernel info:
; codeLenInByte = 1216
; NumSgprs: 18
; NumVgprs: 17
; ScratchSize: 0
; MemoryBound: 0
; FloatMode: 240
; IeeeMode: 1
; LDSByteSize: 0 bytes/workgroup (compile time only)
; SGPRBlocks: 2
; VGPRBlocks: 2
; NumSGPRsForWavesPerEU: 18
; NumVGPRsForWavesPerEU: 17
; Occupancy: 16
; WaveLimiterHint : 0
; COMPUTE_PGM_RSRC2:SCRATCH_EN: 0
; COMPUTE_PGM_RSRC2:USER_SGPR: 15
; COMPUTE_PGM_RSRC2:TRAP_HANDLER: 0
; COMPUTE_PGM_RSRC2:TGID_X_EN: 1
; COMPUTE_PGM_RSRC2:TGID_Y_EN: 0
; COMPUTE_PGM_RSRC2:TGID_Z_EN: 0
; COMPUTE_PGM_RSRC2:TIDIG_COMP_CNT: 1
	.section	.text._ZN4vllm3moe10topkGatingILi4ELi4ELi4ELi16ELi64EifLNS0_11ScoringFuncE0EEEvPKT5_PKbPfiPT4_PiiiibPKf,"axG",@progbits,_ZN4vllm3moe10topkGatingILi4ELi4ELi4ELi16ELi64EifLNS0_11ScoringFuncE0EEEvPKT5_PKbPfiPT4_PiiiibPKf,comdat
	.protected	_ZN4vllm3moe10topkGatingILi4ELi4ELi4ELi16ELi64EifLNS0_11ScoringFuncE0EEEvPKT5_PKbPfiPT4_PiiiibPKf ; -- Begin function _ZN4vllm3moe10topkGatingILi4ELi4ELi4ELi16ELi64EifLNS0_11ScoringFuncE0EEEvPKT5_PKbPfiPT4_PiiiibPKf
	.globl	_ZN4vllm3moe10topkGatingILi4ELi4ELi4ELi16ELi64EifLNS0_11ScoringFuncE0EEEvPKT5_PKbPfiPT4_PiiiibPKf
	.p2align	8
	.type	_ZN4vllm3moe10topkGatingILi4ELi4ELi4ELi16ELi64EifLNS0_11ScoringFuncE0EEEvPKT5_PKbPfiPT4_PiiiibPKf,@function
_ZN4vllm3moe10topkGatingILi4ELi4ELi4ELi16ELi64EifLNS0_11ScoringFuncE0EEEvPKT5_PKbPfiPT4_PiiiibPKf: ; @_ZN4vllm3moe10topkGatingILi4ELi4ELi4ELi16ELi64EifLNS0_11ScoringFuncE0EEEvPKT5_PKbPfiPT4_PiiiibPKf
; %bb.0:
	s_load_b32 s10, s[0:1], 0x18
	v_bfe_u32 v1, v0, 10, 10
	v_and_b32_e32 v0, 0x3ff, v0
	s_lshl_b32 s2, s15, 8
	s_delay_alu instid0(VALU_DEP_2) | instskip(NEXT) | instid1(VALU_DEP_1)
	v_lshlrev_b32_e32 v1, 6, v1
	v_add3_u32 v14, v1, v0, s2
	s_mov_b32 s2, exec_lo
	s_waitcnt lgkmcnt(0)
	s_delay_alu instid0(VALU_DEP_1)
	v_cmpx_gt_i32_e64 s10, v14
	s_cbranch_execz .LBB4_15
; %bb.1:
	s_clause 0x1
	s_load_b128 s[4:7], s[0:1], 0x0
	s_load_b64 s[8:9], s[0:1], 0x10
	s_mov_b32 s12, -1
	s_mov_b32 s11, -1
	s_waitcnt lgkmcnt(0)
	s_cmp_eq_u64 s[6:7], 0
	s_cbranch_scc1 .LBB4_3
; %bb.2:
	v_ashrrev_i32_e32 v1, 31, v14
	v_add_co_u32 v0, vcc_lo, s6, v14
	s_delay_alu instid0(VALU_DEP_2) | instskip(SKIP_3) | instid1(VALU_DEP_1)
	v_add_co_ci_u32_e32 v1, vcc_lo, s7, v1, vcc_lo
	global_load_u8 v0, v[0:1], off
	s_waitcnt vmcnt(0)
	v_and_b32_e32 v0, 1, v0
	v_cmp_eq_u32_e32 vcc_lo, 1, v0
	s_xor_b32 s2, vcc_lo, -1
	s_delay_alu instid0(SALU_CYCLE_1)
	s_or_not1_b32 s11, s2, exec_lo
.LBB4_3:
	v_lshlrev_b32_e32 v0, 2, v14
	s_load_b64 s[2:3], s[0:1], 0x40
	s_delay_alu instid0(VALU_DEP_1) | instskip(NEXT) | instid1(VALU_DEP_1)
	v_ashrrev_i32_e32 v1, 31, v0
	v_lshlrev_b64 v[0:1], 2, v[0:1]
	s_delay_alu instid0(VALU_DEP_1) | instskip(NEXT) | instid1(VALU_DEP_2)
	v_add_co_u32 v0, vcc_lo, s4, v0
	v_add_co_ci_u32_e32 v1, vcc_lo, s5, v1, vcc_lo
	s_waitcnt lgkmcnt(0)
	s_cmp_eq_u64 s[2:3], 0
	global_load_b128 v[0:3], v[0:1], off
	s_waitcnt vmcnt(0)
	v_dual_max_f32 v4, v1, v1 :: v_dual_max_f32 v5, v0, v0
	s_delay_alu instid0(VALU_DEP_1) | instskip(NEXT) | instid1(VALU_DEP_1)
	v_max_f32_e32 v4, v5, v4
	v_max3_f32 v4, v4, v2, v3
	s_delay_alu instid0(VALU_DEP_1) | instskip(NEXT) | instid1(VALU_DEP_1)
	v_sub_f32_e32 v1, v1, v4
	v_mul_f32_e32 v5, 0x3fb8aa3b, v1
	s_delay_alu instid0(VALU_DEP_1) | instskip(SKIP_2) | instid1(VALU_DEP_3)
	v_rndne_f32_e32 v11, v5
	v_sub_f32_e32 v2, v2, v4
	v_fma_f32 v10, 0x3fb8aa3b, v1, -v5
	v_sub_f32_e32 v5, v5, v11
	s_delay_alu instid0(VALU_DEP_3) | instskip(SKIP_1) | instid1(VALU_DEP_4)
	v_dual_sub_f32 v3, v3, v4 :: v_dual_mul_f32 v6, 0x3fb8aa3b, v2
	v_sub_f32_e32 v0, v0, v4
	v_fmac_f32_e32 v10, 0x32a5705f, v1
	s_delay_alu instid0(VALU_DEP_3) | instskip(NEXT) | instid1(VALU_DEP_4)
	v_mul_f32_e32 v7, 0x3fb8aa3b, v3
	v_fma_f32 v12, 0x3fb8aa3b, v2, -v6
	s_delay_alu instid0(VALU_DEP_3) | instskip(SKIP_1) | instid1(VALU_DEP_4)
	v_dual_mul_f32 v4, 0x3fb8aa3b, v0 :: v_dual_add_f32 v5, v5, v10
	v_rndne_f32_e32 v13, v6
	v_fma_f32 v15, 0x3fb8aa3b, v3, -v7
	v_rndne_f32_e32 v16, v7
	s_delay_alu instid0(VALU_DEP_4)
	v_fma_f32 v8, 0x3fb8aa3b, v0, -v4
	v_rndne_f32_e32 v9, v4
	v_exp_f32_e32 v5, v5
	v_fmac_f32_e32 v15, 0x32a5705f, v3
	v_sub_f32_e32 v7, v7, v16
	v_fmac_f32_e32 v8, 0x32a5705f, v0
	v_sub_f32_e32 v4, v4, v9
	v_cmp_ngt_f32_e32 vcc_lo, 0xc2ce8ed0, v0
	v_sub_f32_e32 v6, v6, v13
	v_cvt_i32_f32_e32 v10, v13
	s_delay_alu instid0(VALU_DEP_4) | instskip(SKIP_3) | instid1(VALU_DEP_4)
	v_dual_add_f32 v7, v7, v15 :: v_dual_add_f32 v4, v4, v8
	v_cvt_i32_f32_e32 v8, v9
	v_cvt_i32_f32_e32 v9, v11
	;; [unrolled: 1-line block ×3, first 2 shown]
	v_exp_f32_e32 v7, v7
	v_exp_f32_e32 v4, v4
	s_delay_alu instid0(VALU_DEP_2) | instskip(SKIP_3) | instid1(VALU_DEP_1)
	v_ldexp_f32 v5, v5, v9
	s_waitcnt_depctr 0xfff
	v_ldexp_f32 v7, v7, v11
	v_ldexp_f32 v4, v4, v8
	v_cndmask_b32_e32 v4, 0, v4, vcc_lo
	v_cmp_ngt_f32_e32 vcc_lo, 0xc2ce8ed0, v1
	v_dual_fmac_f32 v12, 0x32a5705f, v2 :: v_dual_cndmask_b32 v5, 0, v5
	s_delay_alu instid0(VALU_DEP_1) | instskip(SKIP_1) | instid1(VALU_DEP_2)
	v_add_f32_e32 v6, v6, v12
	v_cmp_ngt_f32_e32 vcc_lo, 0xc2ce8ed0, v2
	v_exp_f32_e32 v6, v6
	s_waitcnt_depctr 0xfff
	v_ldexp_f32 v6, v6, v10
	s_delay_alu instid0(VALU_DEP_1)
	v_cndmask_b32_e32 v6, 0, v6, vcc_lo
	v_cmp_nlt_f32_e32 vcc_lo, 0x42b17218, v0
	v_cndmask_b32_e32 v0, 0x7f800000, v4, vcc_lo
	v_cmp_nlt_f32_e32 vcc_lo, 0x42b17218, v1
	v_cndmask_b32_e32 v1, 0x7f800000, v5, vcc_lo
	v_cmp_ngt_f32_e32 vcc_lo, 0xc2ce8ed0, v3
	s_delay_alu instid0(VALU_DEP_2) | instskip(SKIP_3) | instid1(VALU_DEP_2)
	v_dual_add_f32 v5, v0, v1 :: v_dual_cndmask_b32 v4, 0, v7
	v_cmp_nlt_f32_e32 vcc_lo, 0x42b17218, v2
	v_cndmask_b32_e32 v2, 0x7f800000, v6, vcc_lo
	v_cmp_nlt_f32_e32 vcc_lo, 0x42b17218, v3
	v_dual_cndmask_b32 v3, 0x7f800000, v4 :: v_dual_add_f32 v4, v5, v2
	s_delay_alu instid0(VALU_DEP_1) | instskip(NEXT) | instid1(VALU_DEP_1)
	v_add_f32_e32 v4, v4, v3
	v_div_scale_f32 v5, null, v4, v4, 1.0
	v_div_scale_f32 v8, vcc_lo, 1.0, v4, 1.0
	s_delay_alu instid0(VALU_DEP_2) | instskip(SKIP_2) | instid1(VALU_DEP_1)
	v_rcp_f32_e32 v6, v5
	s_waitcnt_depctr 0xfff
	v_fma_f32 v7, -v5, v6, 1.0
	v_fmac_f32_e32 v6, v7, v6
	s_delay_alu instid0(VALU_DEP_1) | instskip(NEXT) | instid1(VALU_DEP_1)
	v_mul_f32_e32 v7, v8, v6
	v_fma_f32 v9, -v5, v7, v8
	s_delay_alu instid0(VALU_DEP_1) | instskip(NEXT) | instid1(VALU_DEP_1)
	v_fmac_f32_e32 v7, v9, v6
	v_fma_f32 v5, -v5, v7, v8
	s_delay_alu instid0(VALU_DEP_1) | instskip(NEXT) | instid1(VALU_DEP_1)
	v_div_fmas_f32 v5, v5, v6, v7
	v_div_fixup_f32 v4, v5, v4, 1.0
	s_delay_alu instid0(VALU_DEP_1) | instskip(SKIP_3) | instid1(VALU_DEP_4)
	v_mul_f32_e32 v0, v4, v0
	v_mul_f32_e32 v1, v4, v1
	;; [unrolled: 1-line block ×4, first 2 shown]
	v_cmp_class_f32_e64 vcc_lo, v0, 0x1f8
	v_cndmask_b32_e32 v0, 0, v0, vcc_lo
	v_cmp_class_f32_e64 vcc_lo, v1, 0x1f8
	v_cndmask_b32_e32 v1, 0, v1, vcc_lo
	;; [unrolled: 2-line block ×4, first 2 shown]
	s_cbranch_scc1 .LBB4_10
; %bb.4:
	s_load_b128 s[4:7], s[2:3], 0x0
	s_waitcnt lgkmcnt(0)
	v_dual_add_f32 v4, s4, v0 :: v_dual_add_f32 v5, s5, v1
	v_dual_add_f32 v6, s6, v2 :: v_dual_add_f32 v7, s7, v3
	s_cbranch_execnz .LBB4_6
.LBB4_5:
	v_dual_mov_b32 v7, v3 :: v_dual_mov_b32 v6, v2
	v_dual_mov_b32 v5, v1 :: v_dual_mov_b32 v4, v0
.LBB4_6:
	s_load_b128 s[4:7], s[0:1], 0x30
	s_waitcnt lgkmcnt(0)
	s_bitcmp1_b32 s7, 0
	s_mov_b32 s7, 0
	s_cselect_b32 vcc_lo, -1, 0
	s_cmp_gt_i32 s4, 0
	s_cselect_b32 s3, -1, 0
	s_cmp_lt_i32 s4, 1
	s_cbranch_scc1 .LBB4_11
; %bb.7:
	v_mul_lo_u32 v8, v14, s4
	s_load_b128 s[12:15], s[0:1], 0x20
	v_dual_mov_b32 v15, 0 :: v_dual_mov_b32 v16, v14
	s_delay_alu instid0(VALU_DEP_2) | instskip(NEXT) | instid1(VALU_DEP_1)
	v_ashrrev_i32_e32 v9, 31, v8
	v_lshlrev_b64 v[12:13], 2, v[8:9]
	s_delay_alu instid0(VALU_DEP_1) | instskip(NEXT) | instid1(VALU_DEP_1)
	v_add_co_u32 v8, s0, s8, v12
	v_add_co_ci_u32_e64 v9, s0, s9, v13, s0
	s_waitcnt lgkmcnt(0)
	v_add_co_u32 v10, s0, s12, v12
	s_delay_alu instid0(VALU_DEP_1) | instskip(SKIP_1) | instid1(VALU_DEP_1)
	v_add_co_ci_u32_e64 v11, s0, s13, v13, s0
	v_add_co_u32 v12, s0, s14, v12
	v_add_co_ci_u32_e64 v13, s0, s15, v13, s0
.LBB4_8:                                ; =>This Inner Loop Header: Depth=1
	v_cmp_gt_f32_e64 s0, v5, v4
	s_add_i32 s7, s7, 1
	s_delay_alu instid0(VALU_DEP_1) | instskip(SKIP_2) | instid1(VALU_DEP_3)
	v_cndmask_b32_e64 v17, v4, v5, s0
	v_cndmask_b32_e64 v18, v0, v1, s0
	;; [unrolled: 1-line block ×3, first 2 shown]
	v_cmp_gt_f32_e64 s1, v6, v17
	s_delay_alu instid0(VALU_DEP_1) | instskip(NEXT) | instid1(VALU_DEP_4)
	v_cndmask_b32_e64 v17, v17, v6, s1
	v_cndmask_b32_e64 v18, v18, v2, s1
	s_delay_alu instid0(VALU_DEP_4) | instskip(NEXT) | instid1(VALU_DEP_3)
	v_cndmask_b32_e64 v19, v19, 2, s1
	v_cmp_gt_f32_e64 s0, v7, v17
	s_delay_alu instid0(VALU_DEP_1) | instskip(NEXT) | instid1(VALU_DEP_3)
	v_cndmask_b32_e64 v17, v18, v3, s0
	v_cndmask_b32_e64 v18, v19, 3, s0
	global_store_b32 v[8:9], v17, off
	v_cmp_le_i32_e64 s0, s5, v18
	v_cmp_gt_i32_e64 s1, s6, v18
	v_subrev_nc_u32_e32 v19, s5, v18
	v_cmp_ne_u32_e64 s2, 0, v18
	v_add_f32_e32 v17, v15, v17
	s_delay_alu instid0(VALU_DEP_4) | instskip(SKIP_1) | instid1(VALU_DEP_3)
	s_and_b32 s1, s0, s1
	v_cmp_ne_u32_e64 s0, 2, v18
	v_cndmask_b32_e64 v20, 0xc61c4000, v4, s2
	v_cmp_ne_u32_e64 s2, 1, v18
	s_delay_alu instid0(VALU_DEP_3) | instskip(SKIP_1) | instid1(VALU_DEP_2)
	v_cndmask_b32_e64 v22, 0xc61c4000, v6, s0
	s_and_b32 s0, s11, s1
	v_cndmask_b32_e64 v21, 0xc61c4000, v5, s2
	v_cndmask_b32_e64 v19, 4, v19, s0
	v_cmp_ne_u32_e64 s0, 3, v18
	s_cmp_lt_i32 s7, s4
	global_store_b32 v[10:11], v19, off
	global_store_b32 v[12:13], v16, off
	v_add_nc_u32_e32 v16, s10, v16
	v_cndmask_b32_e64 v18, 0xc61c4000, v7, s0
	s_cselect_b32 s0, -1, 0
	v_cndmask_b32_e32 v15, v15, v17, vcc_lo
	v_cndmask_b32_e64 v6, v6, v22, s0
	v_cndmask_b32_e64 v5, v5, v21, s0
	;; [unrolled: 1-line block ×4, first 2 shown]
	v_add_co_u32 v8, s0, v8, 4
	s_delay_alu instid0(VALU_DEP_1) | instskip(SKIP_1) | instid1(VALU_DEP_1)
	v_add_co_ci_u32_e64 v9, s0, 0, v9, s0
	v_add_co_u32 v10, s0, v10, 4
	v_add_co_ci_u32_e64 v11, s0, 0, v11, s0
	v_add_co_u32 v12, s0, v12, 4
	s_delay_alu instid0(VALU_DEP_1)
	v_add_co_ci_u32_e64 v13, s0, 0, v13, s0
	s_cmp_eq_u32 s4, s7
	s_cbranch_scc0 .LBB4_8
; %bb.9:
	s_and_b32 vcc_lo, exec_lo, vcc_lo
	s_cbranch_vccnz .LBB4_12
	s_branch .LBB4_15
.LBB4_10:
                                        ; implicit-def: $vgpr4_vgpr5_vgpr6_vgpr7
	s_and_not1_b32 vcc_lo, exec_lo, s12
	s_cbranch_vccz .LBB4_5
	s_branch .LBB4_6
.LBB4_11:
	v_mov_b32_e32 v15, 0
	s_and_b32 vcc_lo, exec_lo, vcc_lo
	s_cbranch_vccz .LBB4_15
.LBB4_12:
	s_and_not1_b32 vcc_lo, exec_lo, s3
	s_cbranch_vccnz .LBB4_15
; %bb.13:
	v_mul_lo_u32 v0, v14, s4
	v_cmp_lt_f32_e32 vcc_lo, 0, v15
	v_cndmask_b32_e32 v2, 1.0, v15, vcc_lo
	s_delay_alu instid0(VALU_DEP_3) | instskip(NEXT) | instid1(VALU_DEP_1)
	v_ashrrev_i32_e32 v1, 31, v0
	v_lshlrev_b64 v[0:1], 2, v[0:1]
	s_delay_alu instid0(VALU_DEP_1) | instskip(NEXT) | instid1(VALU_DEP_2)
	v_add_co_u32 v0, vcc_lo, s8, v0
	v_add_co_ci_u32_e32 v1, vcc_lo, s9, v1, vcc_lo
	.p2align	6
.LBB4_14:                               ; =>This Inner Loop Header: Depth=1
	global_load_b32 v3, v[0:1], off
	s_add_i32 s4, s4, -1
	s_delay_alu instid0(SALU_CYCLE_1) | instskip(SKIP_3) | instid1(VALU_DEP_2)
	s_cmp_lg_u32 s4, 0
	s_waitcnt vmcnt(0)
	v_div_scale_f32 v4, null, v2, v2, v3
	v_div_scale_f32 v7, vcc_lo, v3, v2, v3
	v_rcp_f32_e32 v5, v4
	s_waitcnt_depctr 0xfff
	v_fma_f32 v6, -v4, v5, 1.0
	s_delay_alu instid0(VALU_DEP_1) | instskip(NEXT) | instid1(VALU_DEP_1)
	v_fmac_f32_e32 v5, v6, v5
	v_mul_f32_e32 v6, v7, v5
	s_delay_alu instid0(VALU_DEP_1) | instskip(NEXT) | instid1(VALU_DEP_1)
	v_fma_f32 v8, -v4, v6, v7
	v_fmac_f32_e32 v6, v8, v5
	s_delay_alu instid0(VALU_DEP_1) | instskip(NEXT) | instid1(VALU_DEP_1)
	v_fma_f32 v4, -v4, v6, v7
	v_div_fmas_f32 v4, v4, v5, v6
	s_delay_alu instid0(VALU_DEP_1)
	v_div_fixup_f32 v3, v4, v2, v3
	global_store_b32 v[0:1], v3, off
	v_add_co_u32 v0, vcc_lo, v0, 4
	v_add_co_ci_u32_e32 v1, vcc_lo, 0, v1, vcc_lo
	s_cbranch_scc1 .LBB4_14
.LBB4_15:
	s_nop 0
	s_sendmsg sendmsg(MSG_DEALLOC_VGPRS)
	s_endpgm
	.section	.rodata,"a",@progbits
	.p2align	6, 0x0
	.amdhsa_kernel _ZN4vllm3moe10topkGatingILi4ELi4ELi4ELi16ELi64EifLNS0_11ScoringFuncE0EEEvPKT5_PKbPfiPT4_PiiiibPKf
		.amdhsa_group_segment_fixed_size 0
		.amdhsa_private_segment_fixed_size 0
		.amdhsa_kernarg_size 72
		.amdhsa_user_sgpr_count 15
		.amdhsa_user_sgpr_dispatch_ptr 0
		.amdhsa_user_sgpr_queue_ptr 0
		.amdhsa_user_sgpr_kernarg_segment_ptr 1
		.amdhsa_user_sgpr_dispatch_id 0
		.amdhsa_user_sgpr_private_segment_size 0
		.amdhsa_wavefront_size32 1
		.amdhsa_uses_dynamic_stack 0
		.amdhsa_enable_private_segment 0
		.amdhsa_system_sgpr_workgroup_id_x 1
		.amdhsa_system_sgpr_workgroup_id_y 0
		.amdhsa_system_sgpr_workgroup_id_z 0
		.amdhsa_system_sgpr_workgroup_info 0
		.amdhsa_system_vgpr_workitem_id 1
		.amdhsa_next_free_vgpr 23
		.amdhsa_next_free_sgpr 16
		.amdhsa_reserve_vcc 1
		.amdhsa_float_round_mode_32 0
		.amdhsa_float_round_mode_16_64 0
		.amdhsa_float_denorm_mode_32 3
		.amdhsa_float_denorm_mode_16_64 3
		.amdhsa_dx10_clamp 1
		.amdhsa_ieee_mode 1
		.amdhsa_fp16_overflow 0
		.amdhsa_workgroup_processor_mode 1
		.amdhsa_memory_ordered 1
		.amdhsa_forward_progress 0
		.amdhsa_shared_vgpr_count 0
		.amdhsa_exception_fp_ieee_invalid_op 0
		.amdhsa_exception_fp_denorm_src 0
		.amdhsa_exception_fp_ieee_div_zero 0
		.amdhsa_exception_fp_ieee_overflow 0
		.amdhsa_exception_fp_ieee_underflow 0
		.amdhsa_exception_fp_ieee_inexact 0
		.amdhsa_exception_int_div_zero 0
	.end_amdhsa_kernel
	.section	.text._ZN4vllm3moe10topkGatingILi4ELi4ELi4ELi16ELi64EifLNS0_11ScoringFuncE0EEEvPKT5_PKbPfiPT4_PiiiibPKf,"axG",@progbits,_ZN4vllm3moe10topkGatingILi4ELi4ELi4ELi16ELi64EifLNS0_11ScoringFuncE0EEEvPKT5_PKbPfiPT4_PiiiibPKf,comdat
.Lfunc_end4:
	.size	_ZN4vllm3moe10topkGatingILi4ELi4ELi4ELi16ELi64EifLNS0_11ScoringFuncE0EEEvPKT5_PKbPfiPT4_PiiiibPKf, .Lfunc_end4-_ZN4vllm3moe10topkGatingILi4ELi4ELi4ELi16ELi64EifLNS0_11ScoringFuncE0EEEvPKT5_PKbPfiPT4_PiiiibPKf
                                        ; -- End function
	.section	.AMDGPU.csdata,"",@progbits
; Kernel info:
; codeLenInByte = 1652
; NumSgprs: 18
; NumVgprs: 23
; ScratchSize: 0
; MemoryBound: 0
; FloatMode: 240
; IeeeMode: 1
; LDSByteSize: 0 bytes/workgroup (compile time only)
; SGPRBlocks: 2
; VGPRBlocks: 2
; NumSGPRsForWavesPerEU: 18
; NumVGPRsForWavesPerEU: 23
; Occupancy: 16
; WaveLimiterHint : 0
; COMPUTE_PGM_RSRC2:SCRATCH_EN: 0
; COMPUTE_PGM_RSRC2:USER_SGPR: 15
; COMPUTE_PGM_RSRC2:TRAP_HANDLER: 0
; COMPUTE_PGM_RSRC2:TGID_X_EN: 1
; COMPUTE_PGM_RSRC2:TGID_Y_EN: 0
; COMPUTE_PGM_RSRC2:TGID_Z_EN: 0
; COMPUTE_PGM_RSRC2:TIDIG_COMP_CNT: 1
	.section	.text._ZN4vllm3moe10topkGatingILi4ELi4ELi4ELi16ELi32EifLNS0_11ScoringFuncE0EEEvPKT5_PKbPfiPT4_PiiiibPKf,"axG",@progbits,_ZN4vllm3moe10topkGatingILi4ELi4ELi4ELi16ELi32EifLNS0_11ScoringFuncE0EEEvPKT5_PKbPfiPT4_PiiiibPKf,comdat
	.protected	_ZN4vllm3moe10topkGatingILi4ELi4ELi4ELi16ELi32EifLNS0_11ScoringFuncE0EEEvPKT5_PKbPfiPT4_PiiiibPKf ; -- Begin function _ZN4vllm3moe10topkGatingILi4ELi4ELi4ELi16ELi32EifLNS0_11ScoringFuncE0EEEvPKT5_PKbPfiPT4_PiiiibPKf
	.globl	_ZN4vllm3moe10topkGatingILi4ELi4ELi4ELi16ELi32EifLNS0_11ScoringFuncE0EEEvPKT5_PKbPfiPT4_PiiiibPKf
	.p2align	8
	.type	_ZN4vllm3moe10topkGatingILi4ELi4ELi4ELi16ELi32EifLNS0_11ScoringFuncE0EEEvPKT5_PKbPfiPT4_PiiiibPKf,@function
_ZN4vllm3moe10topkGatingILi4ELi4ELi4ELi16ELi32EifLNS0_11ScoringFuncE0EEEvPKT5_PKbPfiPT4_PiiiibPKf: ; @_ZN4vllm3moe10topkGatingILi4ELi4ELi4ELi16ELi32EifLNS0_11ScoringFuncE0EEEvPKT5_PKbPfiPT4_PiiiibPKf
; %bb.0:
	s_load_b32 s10, s[0:1], 0x18
	v_bfe_u32 v1, v0, 10, 10
	v_and_b32_e32 v0, 0x3ff, v0
	s_lshl_b32 s2, s15, 7
	s_delay_alu instid0(VALU_DEP_2) | instskip(NEXT) | instid1(VALU_DEP_1)
	v_lshlrev_b32_e32 v1, 5, v1
	v_add3_u32 v14, v1, v0, s2
	s_mov_b32 s2, exec_lo
	s_waitcnt lgkmcnt(0)
	s_delay_alu instid0(VALU_DEP_1)
	v_cmpx_gt_i32_e64 s10, v14
	s_cbranch_execz .LBB5_15
; %bb.1:
	s_clause 0x1
	s_load_b128 s[4:7], s[0:1], 0x0
	s_load_b64 s[8:9], s[0:1], 0x10
	s_mov_b32 s12, -1
	s_mov_b32 s11, -1
	s_waitcnt lgkmcnt(0)
	s_cmp_eq_u64 s[6:7], 0
	s_cbranch_scc1 .LBB5_3
; %bb.2:
	v_ashrrev_i32_e32 v1, 31, v14
	v_add_co_u32 v0, vcc_lo, s6, v14
	s_delay_alu instid0(VALU_DEP_2) | instskip(SKIP_3) | instid1(VALU_DEP_1)
	v_add_co_ci_u32_e32 v1, vcc_lo, s7, v1, vcc_lo
	global_load_u8 v0, v[0:1], off
	s_waitcnt vmcnt(0)
	v_and_b32_e32 v0, 1, v0
	v_cmp_eq_u32_e32 vcc_lo, 1, v0
	s_xor_b32 s2, vcc_lo, -1
	s_delay_alu instid0(SALU_CYCLE_1)
	s_or_not1_b32 s11, s2, exec_lo
.LBB5_3:
	v_lshlrev_b32_e32 v0, 2, v14
	s_load_b64 s[2:3], s[0:1], 0x40
	s_delay_alu instid0(VALU_DEP_1) | instskip(NEXT) | instid1(VALU_DEP_1)
	v_ashrrev_i32_e32 v1, 31, v0
	v_lshlrev_b64 v[0:1], 2, v[0:1]
	s_delay_alu instid0(VALU_DEP_1) | instskip(NEXT) | instid1(VALU_DEP_2)
	v_add_co_u32 v0, vcc_lo, s4, v0
	v_add_co_ci_u32_e32 v1, vcc_lo, s5, v1, vcc_lo
	s_waitcnt lgkmcnt(0)
	s_cmp_eq_u64 s[2:3], 0
	global_load_b128 v[0:3], v[0:1], off
	s_waitcnt vmcnt(0)
	v_dual_max_f32 v4, v1, v1 :: v_dual_max_f32 v5, v0, v0
	s_delay_alu instid0(VALU_DEP_1) | instskip(NEXT) | instid1(VALU_DEP_1)
	v_max_f32_e32 v4, v5, v4
	v_max3_f32 v4, v4, v2, v3
	s_delay_alu instid0(VALU_DEP_1) | instskip(NEXT) | instid1(VALU_DEP_1)
	v_sub_f32_e32 v1, v1, v4
	v_mul_f32_e32 v5, 0x3fb8aa3b, v1
	s_delay_alu instid0(VALU_DEP_1) | instskip(SKIP_2) | instid1(VALU_DEP_3)
	v_rndne_f32_e32 v11, v5
	v_sub_f32_e32 v2, v2, v4
	v_fma_f32 v10, 0x3fb8aa3b, v1, -v5
	v_sub_f32_e32 v5, v5, v11
	s_delay_alu instid0(VALU_DEP_3) | instskip(SKIP_1) | instid1(VALU_DEP_4)
	v_dual_sub_f32 v3, v3, v4 :: v_dual_mul_f32 v6, 0x3fb8aa3b, v2
	v_sub_f32_e32 v0, v0, v4
	v_fmac_f32_e32 v10, 0x32a5705f, v1
	s_delay_alu instid0(VALU_DEP_3) | instskip(NEXT) | instid1(VALU_DEP_4)
	v_mul_f32_e32 v7, 0x3fb8aa3b, v3
	v_fma_f32 v12, 0x3fb8aa3b, v2, -v6
	s_delay_alu instid0(VALU_DEP_3) | instskip(SKIP_1) | instid1(VALU_DEP_4)
	v_dual_mul_f32 v4, 0x3fb8aa3b, v0 :: v_dual_add_f32 v5, v5, v10
	v_rndne_f32_e32 v13, v6
	v_fma_f32 v15, 0x3fb8aa3b, v3, -v7
	v_rndne_f32_e32 v16, v7
	s_delay_alu instid0(VALU_DEP_4)
	v_fma_f32 v8, 0x3fb8aa3b, v0, -v4
	v_rndne_f32_e32 v9, v4
	v_exp_f32_e32 v5, v5
	v_fmac_f32_e32 v15, 0x32a5705f, v3
	v_sub_f32_e32 v7, v7, v16
	v_fmac_f32_e32 v8, 0x32a5705f, v0
	v_sub_f32_e32 v4, v4, v9
	v_cmp_ngt_f32_e32 vcc_lo, 0xc2ce8ed0, v0
	v_sub_f32_e32 v6, v6, v13
	v_cvt_i32_f32_e32 v10, v13
	s_delay_alu instid0(VALU_DEP_4) | instskip(SKIP_3) | instid1(VALU_DEP_4)
	v_dual_add_f32 v7, v7, v15 :: v_dual_add_f32 v4, v4, v8
	v_cvt_i32_f32_e32 v8, v9
	v_cvt_i32_f32_e32 v9, v11
	;; [unrolled: 1-line block ×3, first 2 shown]
	v_exp_f32_e32 v7, v7
	v_exp_f32_e32 v4, v4
	s_delay_alu instid0(VALU_DEP_2) | instskip(SKIP_3) | instid1(VALU_DEP_1)
	v_ldexp_f32 v5, v5, v9
	s_waitcnt_depctr 0xfff
	v_ldexp_f32 v7, v7, v11
	v_ldexp_f32 v4, v4, v8
	v_cndmask_b32_e32 v4, 0, v4, vcc_lo
	v_cmp_ngt_f32_e32 vcc_lo, 0xc2ce8ed0, v1
	v_dual_fmac_f32 v12, 0x32a5705f, v2 :: v_dual_cndmask_b32 v5, 0, v5
	s_delay_alu instid0(VALU_DEP_1) | instskip(SKIP_1) | instid1(VALU_DEP_2)
	v_add_f32_e32 v6, v6, v12
	v_cmp_ngt_f32_e32 vcc_lo, 0xc2ce8ed0, v2
	v_exp_f32_e32 v6, v6
	s_waitcnt_depctr 0xfff
	v_ldexp_f32 v6, v6, v10
	s_delay_alu instid0(VALU_DEP_1)
	v_cndmask_b32_e32 v6, 0, v6, vcc_lo
	v_cmp_nlt_f32_e32 vcc_lo, 0x42b17218, v0
	v_cndmask_b32_e32 v0, 0x7f800000, v4, vcc_lo
	v_cmp_nlt_f32_e32 vcc_lo, 0x42b17218, v1
	v_cndmask_b32_e32 v1, 0x7f800000, v5, vcc_lo
	v_cmp_ngt_f32_e32 vcc_lo, 0xc2ce8ed0, v3
	s_delay_alu instid0(VALU_DEP_2) | instskip(SKIP_3) | instid1(VALU_DEP_2)
	v_dual_add_f32 v5, v0, v1 :: v_dual_cndmask_b32 v4, 0, v7
	v_cmp_nlt_f32_e32 vcc_lo, 0x42b17218, v2
	v_cndmask_b32_e32 v2, 0x7f800000, v6, vcc_lo
	v_cmp_nlt_f32_e32 vcc_lo, 0x42b17218, v3
	v_dual_cndmask_b32 v3, 0x7f800000, v4 :: v_dual_add_f32 v4, v5, v2
	s_delay_alu instid0(VALU_DEP_1) | instskip(NEXT) | instid1(VALU_DEP_1)
	v_add_f32_e32 v4, v4, v3
	v_div_scale_f32 v5, null, v4, v4, 1.0
	v_div_scale_f32 v8, vcc_lo, 1.0, v4, 1.0
	s_delay_alu instid0(VALU_DEP_2) | instskip(SKIP_2) | instid1(VALU_DEP_1)
	v_rcp_f32_e32 v6, v5
	s_waitcnt_depctr 0xfff
	v_fma_f32 v7, -v5, v6, 1.0
	v_fmac_f32_e32 v6, v7, v6
	s_delay_alu instid0(VALU_DEP_1) | instskip(NEXT) | instid1(VALU_DEP_1)
	v_mul_f32_e32 v7, v8, v6
	v_fma_f32 v9, -v5, v7, v8
	s_delay_alu instid0(VALU_DEP_1) | instskip(NEXT) | instid1(VALU_DEP_1)
	v_fmac_f32_e32 v7, v9, v6
	v_fma_f32 v5, -v5, v7, v8
	s_delay_alu instid0(VALU_DEP_1) | instskip(NEXT) | instid1(VALU_DEP_1)
	v_div_fmas_f32 v5, v5, v6, v7
	v_div_fixup_f32 v4, v5, v4, 1.0
	s_delay_alu instid0(VALU_DEP_1) | instskip(SKIP_3) | instid1(VALU_DEP_4)
	v_mul_f32_e32 v0, v4, v0
	v_mul_f32_e32 v1, v4, v1
	;; [unrolled: 1-line block ×4, first 2 shown]
	v_cmp_class_f32_e64 vcc_lo, v0, 0x1f8
	v_cndmask_b32_e32 v0, 0, v0, vcc_lo
	v_cmp_class_f32_e64 vcc_lo, v1, 0x1f8
	v_cndmask_b32_e32 v1, 0, v1, vcc_lo
	v_cmp_class_f32_e64 vcc_lo, v2, 0x1f8
	v_cndmask_b32_e32 v2, 0, v2, vcc_lo
	v_cmp_class_f32_e64 vcc_lo, v3, 0x1f8
	v_cndmask_b32_e32 v3, 0, v3, vcc_lo
	s_cbranch_scc1 .LBB5_10
; %bb.4:
	s_load_b128 s[4:7], s[2:3], 0x0
	s_waitcnt lgkmcnt(0)
	v_dual_add_f32 v4, s4, v0 :: v_dual_add_f32 v5, s5, v1
	v_dual_add_f32 v6, s6, v2 :: v_dual_add_f32 v7, s7, v3
	s_cbranch_execnz .LBB5_6
.LBB5_5:
	v_dual_mov_b32 v7, v3 :: v_dual_mov_b32 v6, v2
	v_dual_mov_b32 v5, v1 :: v_dual_mov_b32 v4, v0
.LBB5_6:
	s_load_b128 s[4:7], s[0:1], 0x30
	s_waitcnt lgkmcnt(0)
	s_bitcmp1_b32 s7, 0
	s_mov_b32 s7, 0
	s_cselect_b32 vcc_lo, -1, 0
	s_cmp_gt_i32 s4, 0
	s_cselect_b32 s3, -1, 0
	s_cmp_lt_i32 s4, 1
	s_cbranch_scc1 .LBB5_11
; %bb.7:
	v_mul_lo_u32 v8, v14, s4
	s_load_b128 s[12:15], s[0:1], 0x20
	v_dual_mov_b32 v15, 0 :: v_dual_mov_b32 v16, v14
	s_delay_alu instid0(VALU_DEP_2) | instskip(NEXT) | instid1(VALU_DEP_1)
	v_ashrrev_i32_e32 v9, 31, v8
	v_lshlrev_b64 v[12:13], 2, v[8:9]
	s_delay_alu instid0(VALU_DEP_1) | instskip(NEXT) | instid1(VALU_DEP_1)
	v_add_co_u32 v8, s0, s8, v12
	v_add_co_ci_u32_e64 v9, s0, s9, v13, s0
	s_waitcnt lgkmcnt(0)
	v_add_co_u32 v10, s0, s12, v12
	s_delay_alu instid0(VALU_DEP_1) | instskip(SKIP_1) | instid1(VALU_DEP_1)
	v_add_co_ci_u32_e64 v11, s0, s13, v13, s0
	v_add_co_u32 v12, s0, s14, v12
	v_add_co_ci_u32_e64 v13, s0, s15, v13, s0
.LBB5_8:                                ; =>This Inner Loop Header: Depth=1
	v_cmp_gt_f32_e64 s0, v5, v4
	s_add_i32 s7, s7, 1
	s_delay_alu instid0(VALU_DEP_1) | instskip(SKIP_2) | instid1(VALU_DEP_3)
	v_cndmask_b32_e64 v17, v4, v5, s0
	v_cndmask_b32_e64 v18, v0, v1, s0
	;; [unrolled: 1-line block ×3, first 2 shown]
	v_cmp_gt_f32_e64 s1, v6, v17
	s_delay_alu instid0(VALU_DEP_1) | instskip(NEXT) | instid1(VALU_DEP_4)
	v_cndmask_b32_e64 v17, v17, v6, s1
	v_cndmask_b32_e64 v18, v18, v2, s1
	s_delay_alu instid0(VALU_DEP_4) | instskip(NEXT) | instid1(VALU_DEP_3)
	v_cndmask_b32_e64 v19, v19, 2, s1
	v_cmp_gt_f32_e64 s0, v7, v17
	s_delay_alu instid0(VALU_DEP_1) | instskip(NEXT) | instid1(VALU_DEP_3)
	v_cndmask_b32_e64 v17, v18, v3, s0
	v_cndmask_b32_e64 v18, v19, 3, s0
	global_store_b32 v[8:9], v17, off
	v_cmp_le_i32_e64 s0, s5, v18
	v_cmp_gt_i32_e64 s1, s6, v18
	v_subrev_nc_u32_e32 v19, s5, v18
	v_cmp_ne_u32_e64 s2, 0, v18
	v_add_f32_e32 v17, v15, v17
	s_delay_alu instid0(VALU_DEP_4) | instskip(SKIP_1) | instid1(VALU_DEP_3)
	s_and_b32 s1, s0, s1
	v_cmp_ne_u32_e64 s0, 2, v18
	v_cndmask_b32_e64 v20, 0xc61c4000, v4, s2
	v_cmp_ne_u32_e64 s2, 1, v18
	s_delay_alu instid0(VALU_DEP_3) | instskip(SKIP_1) | instid1(VALU_DEP_2)
	v_cndmask_b32_e64 v22, 0xc61c4000, v6, s0
	s_and_b32 s0, s11, s1
	v_cndmask_b32_e64 v21, 0xc61c4000, v5, s2
	v_cndmask_b32_e64 v19, 4, v19, s0
	v_cmp_ne_u32_e64 s0, 3, v18
	s_cmp_lt_i32 s7, s4
	global_store_b32 v[10:11], v19, off
	global_store_b32 v[12:13], v16, off
	v_add_nc_u32_e32 v16, s10, v16
	v_cndmask_b32_e64 v18, 0xc61c4000, v7, s0
	s_cselect_b32 s0, -1, 0
	v_cndmask_b32_e32 v15, v15, v17, vcc_lo
	v_cndmask_b32_e64 v6, v6, v22, s0
	v_cndmask_b32_e64 v5, v5, v21, s0
	v_cndmask_b32_e64 v7, v7, v18, s0
	v_cndmask_b32_e64 v4, v4, v20, s0
	v_add_co_u32 v8, s0, v8, 4
	s_delay_alu instid0(VALU_DEP_1) | instskip(SKIP_1) | instid1(VALU_DEP_1)
	v_add_co_ci_u32_e64 v9, s0, 0, v9, s0
	v_add_co_u32 v10, s0, v10, 4
	v_add_co_ci_u32_e64 v11, s0, 0, v11, s0
	v_add_co_u32 v12, s0, v12, 4
	s_delay_alu instid0(VALU_DEP_1)
	v_add_co_ci_u32_e64 v13, s0, 0, v13, s0
	s_cmp_eq_u32 s4, s7
	s_cbranch_scc0 .LBB5_8
; %bb.9:
	s_and_b32 vcc_lo, exec_lo, vcc_lo
	s_cbranch_vccnz .LBB5_12
	s_branch .LBB5_15
.LBB5_10:
                                        ; implicit-def: $vgpr4_vgpr5_vgpr6_vgpr7
	s_and_not1_b32 vcc_lo, exec_lo, s12
	s_cbranch_vccz .LBB5_5
	s_branch .LBB5_6
.LBB5_11:
	v_mov_b32_e32 v15, 0
	s_and_b32 vcc_lo, exec_lo, vcc_lo
	s_cbranch_vccz .LBB5_15
.LBB5_12:
	s_and_not1_b32 vcc_lo, exec_lo, s3
	s_cbranch_vccnz .LBB5_15
; %bb.13:
	v_mul_lo_u32 v0, v14, s4
	v_cmp_lt_f32_e32 vcc_lo, 0, v15
	v_cndmask_b32_e32 v2, 1.0, v15, vcc_lo
	s_delay_alu instid0(VALU_DEP_3) | instskip(NEXT) | instid1(VALU_DEP_1)
	v_ashrrev_i32_e32 v1, 31, v0
	v_lshlrev_b64 v[0:1], 2, v[0:1]
	s_delay_alu instid0(VALU_DEP_1) | instskip(NEXT) | instid1(VALU_DEP_2)
	v_add_co_u32 v0, vcc_lo, s8, v0
	v_add_co_ci_u32_e32 v1, vcc_lo, s9, v1, vcc_lo
	.p2align	6
.LBB5_14:                               ; =>This Inner Loop Header: Depth=1
	global_load_b32 v3, v[0:1], off
	s_add_i32 s4, s4, -1
	s_delay_alu instid0(SALU_CYCLE_1) | instskip(SKIP_3) | instid1(VALU_DEP_2)
	s_cmp_lg_u32 s4, 0
	s_waitcnt vmcnt(0)
	v_div_scale_f32 v4, null, v2, v2, v3
	v_div_scale_f32 v7, vcc_lo, v3, v2, v3
	v_rcp_f32_e32 v5, v4
	s_waitcnt_depctr 0xfff
	v_fma_f32 v6, -v4, v5, 1.0
	s_delay_alu instid0(VALU_DEP_1) | instskip(NEXT) | instid1(VALU_DEP_1)
	v_fmac_f32_e32 v5, v6, v5
	v_mul_f32_e32 v6, v7, v5
	s_delay_alu instid0(VALU_DEP_1) | instskip(NEXT) | instid1(VALU_DEP_1)
	v_fma_f32 v8, -v4, v6, v7
	v_fmac_f32_e32 v6, v8, v5
	s_delay_alu instid0(VALU_DEP_1) | instskip(NEXT) | instid1(VALU_DEP_1)
	v_fma_f32 v4, -v4, v6, v7
	v_div_fmas_f32 v4, v4, v5, v6
	s_delay_alu instid0(VALU_DEP_1)
	v_div_fixup_f32 v3, v4, v2, v3
	global_store_b32 v[0:1], v3, off
	v_add_co_u32 v0, vcc_lo, v0, 4
	v_add_co_ci_u32_e32 v1, vcc_lo, 0, v1, vcc_lo
	s_cbranch_scc1 .LBB5_14
.LBB5_15:
	s_nop 0
	s_sendmsg sendmsg(MSG_DEALLOC_VGPRS)
	s_endpgm
	.section	.rodata,"a",@progbits
	.p2align	6, 0x0
	.amdhsa_kernel _ZN4vllm3moe10topkGatingILi4ELi4ELi4ELi16ELi32EifLNS0_11ScoringFuncE0EEEvPKT5_PKbPfiPT4_PiiiibPKf
		.amdhsa_group_segment_fixed_size 0
		.amdhsa_private_segment_fixed_size 0
		.amdhsa_kernarg_size 72
		.amdhsa_user_sgpr_count 15
		.amdhsa_user_sgpr_dispatch_ptr 0
		.amdhsa_user_sgpr_queue_ptr 0
		.amdhsa_user_sgpr_kernarg_segment_ptr 1
		.amdhsa_user_sgpr_dispatch_id 0
		.amdhsa_user_sgpr_private_segment_size 0
		.amdhsa_wavefront_size32 1
		.amdhsa_uses_dynamic_stack 0
		.amdhsa_enable_private_segment 0
		.amdhsa_system_sgpr_workgroup_id_x 1
		.amdhsa_system_sgpr_workgroup_id_y 0
		.amdhsa_system_sgpr_workgroup_id_z 0
		.amdhsa_system_sgpr_workgroup_info 0
		.amdhsa_system_vgpr_workitem_id 1
		.amdhsa_next_free_vgpr 23
		.amdhsa_next_free_sgpr 16
		.amdhsa_reserve_vcc 1
		.amdhsa_float_round_mode_32 0
		.amdhsa_float_round_mode_16_64 0
		.amdhsa_float_denorm_mode_32 3
		.amdhsa_float_denorm_mode_16_64 3
		.amdhsa_dx10_clamp 1
		.amdhsa_ieee_mode 1
		.amdhsa_fp16_overflow 0
		.amdhsa_workgroup_processor_mode 1
		.amdhsa_memory_ordered 1
		.amdhsa_forward_progress 0
		.amdhsa_shared_vgpr_count 0
		.amdhsa_exception_fp_ieee_invalid_op 0
		.amdhsa_exception_fp_denorm_src 0
		.amdhsa_exception_fp_ieee_div_zero 0
		.amdhsa_exception_fp_ieee_overflow 0
		.amdhsa_exception_fp_ieee_underflow 0
		.amdhsa_exception_fp_ieee_inexact 0
		.amdhsa_exception_int_div_zero 0
	.end_amdhsa_kernel
	.section	.text._ZN4vllm3moe10topkGatingILi4ELi4ELi4ELi16ELi32EifLNS0_11ScoringFuncE0EEEvPKT5_PKbPfiPT4_PiiiibPKf,"axG",@progbits,_ZN4vllm3moe10topkGatingILi4ELi4ELi4ELi16ELi32EifLNS0_11ScoringFuncE0EEEvPKT5_PKbPfiPT4_PiiiibPKf,comdat
.Lfunc_end5:
	.size	_ZN4vllm3moe10topkGatingILi4ELi4ELi4ELi16ELi32EifLNS0_11ScoringFuncE0EEEvPKT5_PKbPfiPT4_PiiiibPKf, .Lfunc_end5-_ZN4vllm3moe10topkGatingILi4ELi4ELi4ELi16ELi32EifLNS0_11ScoringFuncE0EEEvPKT5_PKbPfiPT4_PiiiibPKf
                                        ; -- End function
	.section	.AMDGPU.csdata,"",@progbits
; Kernel info:
; codeLenInByte = 1652
; NumSgprs: 18
; NumVgprs: 23
; ScratchSize: 0
; MemoryBound: 0
; FloatMode: 240
; IeeeMode: 1
; LDSByteSize: 0 bytes/workgroup (compile time only)
; SGPRBlocks: 2
; VGPRBlocks: 2
; NumSGPRsForWavesPerEU: 18
; NumVGPRsForWavesPerEU: 23
; Occupancy: 16
; WaveLimiterHint : 0
; COMPUTE_PGM_RSRC2:SCRATCH_EN: 0
; COMPUTE_PGM_RSRC2:USER_SGPR: 15
; COMPUTE_PGM_RSRC2:TRAP_HANDLER: 0
; COMPUTE_PGM_RSRC2:TGID_X_EN: 1
; COMPUTE_PGM_RSRC2:TGID_Y_EN: 0
; COMPUTE_PGM_RSRC2:TGID_Z_EN: 0
; COMPUTE_PGM_RSRC2:TIDIG_COMP_CNT: 1
	.section	.text._ZN4vllm3moe10topkGatingILi4ELi8ELi4ELi16ELi64EifLNS0_11ScoringFuncE0EEEvPKT5_PKbPfiPT4_PiiiibPKf,"axG",@progbits,_ZN4vllm3moe10topkGatingILi4ELi8ELi4ELi16ELi64EifLNS0_11ScoringFuncE0EEEvPKT5_PKbPfiPT4_PiiiibPKf,comdat
	.protected	_ZN4vllm3moe10topkGatingILi4ELi8ELi4ELi16ELi64EifLNS0_11ScoringFuncE0EEEvPKT5_PKbPfiPT4_PiiiibPKf ; -- Begin function _ZN4vllm3moe10topkGatingILi4ELi8ELi4ELi16ELi64EifLNS0_11ScoringFuncE0EEEvPKT5_PKbPfiPT4_PiiiibPKf
	.globl	_ZN4vllm3moe10topkGatingILi4ELi8ELi4ELi16ELi64EifLNS0_11ScoringFuncE0EEEvPKT5_PKbPfiPT4_PiiiibPKf
	.p2align	8
	.type	_ZN4vllm3moe10topkGatingILi4ELi8ELi4ELi16ELi64EifLNS0_11ScoringFuncE0EEEvPKT5_PKbPfiPT4_PiiiibPKf,@function
_ZN4vllm3moe10topkGatingILi4ELi8ELi4ELi16ELi64EifLNS0_11ScoringFuncE0EEEvPKT5_PKbPfiPT4_PiiiibPKf: ; @_ZN4vllm3moe10topkGatingILi4ELi8ELi4ELi16ELi64EifLNS0_11ScoringFuncE0EEEvPKT5_PKbPfiPT4_PiiiibPKf
; %bb.0:
	s_load_b32 s14, s[0:1], 0x18
	v_bfe_u32 v1, v0, 10, 10
	v_and_b32_e32 v0, 0x3ff, v0
	s_lshl_b32 s2, s15, 7
	s_delay_alu instid0(VALU_DEP_2) | instskip(NEXT) | instid1(VALU_DEP_2)
	v_lshlrev_b32_e32 v1, 5, v1
	v_lshrrev_b32_e32 v2, 1, v0
	s_delay_alu instid0(VALU_DEP_1) | instskip(SKIP_2) | instid1(VALU_DEP_1)
	v_add3_u32 v8, s2, v1, v2
	s_mov_b32 s2, exec_lo
	s_waitcnt lgkmcnt(0)
	v_cmpx_gt_i32_e64 s14, v8
	s_cbranch_execz .LBB6_25
; %bb.1:
	s_clause 0x1
	s_load_b128 s[4:7], s[0:1], 0x0
	s_load_b64 s[12:13], s[0:1], 0x10
	s_mov_b32 s8, -1
	s_mov_b32 s15, -1
	s_waitcnt lgkmcnt(0)
	s_cmp_eq_u64 s[6:7], 0
	s_cbranch_scc1 .LBB6_3
; %bb.2:
	v_ashrrev_i32_e32 v2, 31, v8
	v_add_co_u32 v1, vcc_lo, s6, v8
	s_delay_alu instid0(VALU_DEP_2) | instskip(SKIP_3) | instid1(VALU_DEP_1)
	v_add_co_ci_u32_e32 v2, vcc_lo, s7, v2, vcc_lo
	global_load_u8 v1, v[1:2], off
	s_waitcnt vmcnt(0)
	v_and_b32_e32 v1, 1, v1
	v_cmp_eq_u32_e32 vcc_lo, 1, v1
	s_xor_b32 s2, vcc_lo, -1
	s_delay_alu instid0(SALU_CYCLE_1)
	s_or_not1_b32 s15, s2, exec_lo
.LBB6_3:
	v_mbcnt_lo_u32_b32 v4, -1, 0
	v_and_b32_e32 v9, 1, v0
	s_load_b64 s[2:3], s[0:1], 0x40
	s_delay_alu instid0(VALU_DEP_2) | instskip(SKIP_2) | instid1(VALU_DEP_2)
	v_xor_b32_e32 v6, 1, v4
	v_lshlrev_b32_e32 v1, 3, v8
	v_and_b32_e32 v5, 30, v4
	v_ashrrev_i32_e32 v2, 31, v1
	s_delay_alu instid0(VALU_DEP_1) | instskip(SKIP_3) | instid1(VALU_DEP_2)
	v_lshlrev_b64 v[0:1], 2, v[1:2]
	v_lshlrev_b32_e32 v2, 4, v9
	s_waitcnt lgkmcnt(0)
	s_cmp_eq_u64 s[2:3], 0
	v_add_co_u32 v0, vcc_lo, s4, v0
	s_delay_alu instid0(VALU_DEP_3) | instskip(NEXT) | instid1(VALU_DEP_2)
	v_add_co_ci_u32_e32 v1, vcc_lo, s5, v1, vcc_lo
	v_add_co_u32 v0, vcc_lo, v0, v2
	s_delay_alu instid0(VALU_DEP_2) | instskip(SKIP_3) | instid1(VALU_DEP_1)
	v_add_co_ci_u32_e32 v1, vcc_lo, 0, v1, vcc_lo
	global_load_b128 v[0:3], v[0:1], off
	s_waitcnt vmcnt(0)
	v_dual_max_f32 v10, v0, v0 :: v_dual_add_nc_u32 v5, 2, v5
	v_cmp_lt_i32_e32 vcc_lo, v6, v5
	v_dual_cndmask_b32 v4, v4, v6 :: v_dual_max_f32 v7, v1, v1
	s_delay_alu instid0(VALU_DEP_1) | instskip(NEXT) | instid1(VALU_DEP_1)
	v_dual_max_f32 v5, v10, v7 :: v_dual_lshlrev_b32 v10, 2, v4
	v_max3_f32 v4, v5, v2, v3
	ds_bpermute_b32 v5, v10, v4
	s_waitcnt lgkmcnt(0)
	v_max_f32_e32 v5, v5, v5
	s_delay_alu instid0(VALU_DEP_1) | instskip(NEXT) | instid1(VALU_DEP_1)
	v_max_f32_e32 v4, v4, v5
	v_sub_f32_e32 v0, v0, v4
	v_sub_f32_e32 v1, v1, v4
	;; [unrolled: 1-line block ×4, first 2 shown]
	s_delay_alu instid0(VALU_DEP_4) | instskip(SKIP_1) | instid1(VALU_DEP_2)
	v_mul_f32_e32 v4, 0x3fb8aa3b, v0
	v_cmp_ngt_f32_e32 vcc_lo, 0xc2ce8ed0, v0
	v_fma_f32 v11, 0x3fb8aa3b, v0, -v4
	v_rndne_f32_e32 v12, v4
	s_delay_alu instid0(VALU_DEP_2) | instskip(NEXT) | instid1(VALU_DEP_2)
	v_fmac_f32_e32 v11, 0x32a5705f, v0
	v_sub_f32_e32 v4, v4, v12
	s_delay_alu instid0(VALU_DEP_1) | instskip(SKIP_2) | instid1(VALU_DEP_3)
	v_dual_add_f32 v4, v4, v11 :: v_dual_mul_f32 v5, 0x3fb8aa3b, v1
	v_mul_f32_e32 v6, 0x3fb8aa3b, v2
	v_cvt_i32_f32_e32 v11, v12
	v_exp_f32_e32 v4, v4
	s_delay_alu instid0(VALU_DEP_3) | instskip(SKIP_3) | instid1(VALU_DEP_4)
	v_fma_f32 v13, 0x3fb8aa3b, v1, -v5
	v_rndne_f32_e32 v14, v5
	v_fma_f32 v15, 0x3fb8aa3b, v2, -v6
	v_rndne_f32_e32 v16, v6
	v_fmac_f32_e32 v13, 0x32a5705f, v1
	s_delay_alu instid0(VALU_DEP_4) | instskip(SKIP_1) | instid1(VALU_DEP_4)
	v_sub_f32_e32 v5, v5, v14
	v_cvt_i32_f32_e32 v12, v14
	v_sub_f32_e32 v6, v6, v16
	s_delay_alu instid0(TRANS32_DEP_1) | instskip(SKIP_3) | instid1(VALU_DEP_4)
	v_ldexp_f32 v4, v4, v11
	v_fmac_f32_e32 v15, 0x32a5705f, v2
	v_add_f32_e32 v5, v5, v13
	v_cvt_i32_f32_e32 v13, v16
	v_cndmask_b32_e32 v4, 0, v4, vcc_lo
	s_delay_alu instid0(VALU_DEP_4) | instskip(NEXT) | instid1(VALU_DEP_4)
	v_add_f32_e32 v6, v6, v15
	v_exp_f32_e32 v5, v5
	v_cmp_ngt_f32_e32 vcc_lo, 0xc2ce8ed0, v1
	v_mul_f32_e32 v7, 0x3fb8aa3b, v3
	s_delay_alu instid0(VALU_DEP_3) | instskip(NEXT) | instid1(VALU_DEP_1)
	v_exp_f32_e32 v6, v6
	v_rndne_f32_e32 v18, v7
	v_fma_f32 v17, 0x3fb8aa3b, v3, -v7
	s_waitcnt_depctr 0xfff
	v_ldexp_f32 v5, v5, v12
	v_cvt_i32_f32_e32 v14, v18
	v_ldexp_f32 v6, v6, v13
	s_delay_alu instid0(VALU_DEP_3) | instskip(SKIP_1) | instid1(VALU_DEP_3)
	v_cndmask_b32_e32 v5, 0, v5, vcc_lo
	v_cmp_ngt_f32_e32 vcc_lo, 0xc2ce8ed0, v2
	v_cndmask_b32_e32 v6, 0, v6, vcc_lo
	v_cmp_nlt_f32_e32 vcc_lo, 0x42b17218, v0
	v_dual_sub_f32 v7, v7, v18 :: v_dual_cndmask_b32 v0, 0x7f800000, v4
	v_cmp_nlt_f32_e32 vcc_lo, 0x42b17218, v1
	v_cndmask_b32_e32 v1, 0x7f800000, v5, vcc_lo
	v_cmp_ngt_f32_e32 vcc_lo, 0xc2ce8ed0, v3
	s_delay_alu instid0(VALU_DEP_2) | instskip(SKIP_1) | instid1(VALU_DEP_1)
	v_add_f32_e32 v5, v0, v1
	v_fmac_f32_e32 v17, 0x32a5705f, v3
	v_add_f32_e32 v7, v7, v17
	s_delay_alu instid0(VALU_DEP_1) | instskip(SKIP_2) | instid1(VALU_DEP_1)
	v_exp_f32_e32 v7, v7
	s_waitcnt_depctr 0xfff
	v_ldexp_f32 v7, v7, v14
	v_cndmask_b32_e32 v4, 0, v7, vcc_lo
	v_cmp_nlt_f32_e32 vcc_lo, 0x42b17218, v2
	v_cndmask_b32_e32 v2, 0x7f800000, v6, vcc_lo
	v_cmp_nlt_f32_e32 vcc_lo, 0x42b17218, v3
	s_delay_alu instid0(VALU_DEP_2) | instskip(NEXT) | instid1(VALU_DEP_1)
	v_dual_cndmask_b32 v3, 0x7f800000, v4 :: v_dual_add_f32 v4, v5, v2
	v_add_f32_e32 v4, v4, v3
	ds_bpermute_b32 v5, v10, v4
	s_waitcnt lgkmcnt(0)
	v_add_f32_e32 v4, v4, v5
	s_delay_alu instid0(VALU_DEP_1) | instskip(SKIP_1) | instid1(VALU_DEP_2)
	v_div_scale_f32 v5, null, v4, v4, 1.0
	v_div_scale_f32 v11, vcc_lo, 1.0, v4, 1.0
	v_rcp_f32_e32 v6, v5
	s_waitcnt_depctr 0xfff
	v_fma_f32 v7, -v5, v6, 1.0
	s_delay_alu instid0(VALU_DEP_1) | instskip(NEXT) | instid1(VALU_DEP_1)
	v_fmac_f32_e32 v6, v7, v6
	v_mul_f32_e32 v7, v11, v6
	s_delay_alu instid0(VALU_DEP_1) | instskip(NEXT) | instid1(VALU_DEP_1)
	v_fma_f32 v12, -v5, v7, v11
	v_fmac_f32_e32 v7, v12, v6
	s_delay_alu instid0(VALU_DEP_1) | instskip(NEXT) | instid1(VALU_DEP_1)
	v_fma_f32 v5, -v5, v7, v11
	v_div_fmas_f32 v5, v5, v6, v7
	s_delay_alu instid0(VALU_DEP_1) | instskip(NEXT) | instid1(VALU_DEP_1)
	v_div_fixup_f32 v4, v5, v4, 1.0
	v_dual_mul_f32 v2, v4, v2 :: v_dual_lshlrev_b32 v11, 2, v9
	v_mul_f32_e32 v0, v4, v0
	v_mul_f32_e32 v1, v4, v1
	;; [unrolled: 1-line block ×3, first 2 shown]
	s_delay_alu instid0(VALU_DEP_3) | instskip(SKIP_1) | instid1(VALU_DEP_4)
	v_cmp_class_f32_e64 vcc_lo, v0, 0x1f8
	v_cndmask_b32_e32 v0, 0, v0, vcc_lo
	v_cmp_class_f32_e64 vcc_lo, v1, 0x1f8
	v_cndmask_b32_e32 v1, 0, v1, vcc_lo
	;; [unrolled: 2-line block ×4, first 2 shown]
	s_cbranch_scc1 .LBB6_19
; %bb.4:
	v_lshlrev_b32_e32 v4, 2, v11
	global_load_b128 v[4:7], v4, s[2:3]
	s_waitcnt vmcnt(0)
	v_dual_add_f32 v5, v5, v1 :: v_dual_add_f32 v4, v4, v0
	v_dual_add_f32 v7, v7, v3 :: v_dual_add_f32 v6, v6, v2
	s_cbranch_execnz .LBB6_6
.LBB6_5:
	v_dual_mov_b32 v7, v3 :: v_dual_mov_b32 v6, v2
	v_dual_mov_b32 v5, v1 :: v_dual_mov_b32 v4, v0
.LBB6_6:
	s_load_b128 s[4:7], s[0:1], 0x30
	v_cmp_eq_u32_e64 s2, 0, v9
	s_waitcnt lgkmcnt(0)
	s_bitcmp1_b32 s7, 0
	s_mov_b32 s7, 0
	s_cselect_b32 vcc_lo, -1, 0
	s_cmp_gt_i32 s4, 0
	s_cselect_b32 s3, -1, 0
	s_cmp_lt_i32 s4, 1
	s_cbranch_scc1 .LBB6_20
; %bb.7:
	s_load_b128 s[8:11], s[0:1], 0x20
	v_mul_lo_u32 v13, v8, s4
	v_mov_b32_e32 v12, 0
	v_mov_b32_e32 v14, v8
	s_branch .LBB6_10
.LBB6_8:                                ;   in Loop: Header=BB6_10 Depth=1
	s_or_b32 exec_lo, exec_lo, s1
.LBB6_9:                                ;   in Loop: Header=BB6_10 Depth=1
	v_add_nc_u32_e32 v14, s14, v14
	s_cmp_eq_u32 s4, s7
	s_cbranch_scc1 .LBB6_21
.LBB6_10:                               ; =>This Inner Loop Header: Depth=1
	v_cmp_gt_f32_e64 s0, v5, v4
	s_mov_b32 s17, exec_lo
	s_delay_alu instid0(VALU_DEP_1) | instskip(SKIP_2) | instid1(VALU_DEP_3)
	v_cndmask_b32_e64 v15, v4, v5, s0
	v_cndmask_b32_e64 v16, 0, 1, s0
	;; [unrolled: 1-line block ×3, first 2 shown]
	v_cmp_gt_f32_e64 s1, v6, v15
	s_delay_alu instid0(VALU_DEP_1) | instskip(NEXT) | instid1(VALU_DEP_4)
	v_cndmask_b32_e64 v15, v15, v6, s1
	v_cndmask_b32_e64 v16, v16, 2, s1
	s_delay_alu instid0(VALU_DEP_4) | instskip(NEXT) | instid1(VALU_DEP_3)
	v_cndmask_b32_e64 v17, v17, v2, s1
	v_cmp_gt_f32_e64 s0, v7, v15
	s_delay_alu instid0(VALU_DEP_1) | instskip(NEXT) | instid1(VALU_DEP_4)
	v_cndmask_b32_e64 v19, v15, v7, s0
	v_cndmask_b32_e64 v15, v16, 3, s0
	s_delay_alu instid0(VALU_DEP_4)
	v_cndmask_b32_e64 v16, v17, v3, s0
	ds_bpermute_b32 v20, v10, v19
	v_or_b32_e32 v15, v11, v15
	ds_bpermute_b32 v18, v10, v16
	ds_bpermute_b32 v17, v10, v15
	s_waitcnt lgkmcnt(0)
	v_cmp_lt_f32_e64 s16, v19, v20
	v_cmpx_nlt_f32_e32 v19, v20
	s_cbranch_execnz .LBB6_14
; %bb.11:                               ;   in Loop: Header=BB6_10 Depth=1
	s_or_b32 exec_lo, exec_lo, s17
	s_delay_alu instid0(VALU_DEP_2)
	s_and_saveexec_b32 s0, s16
	s_cbranch_execnz .LBB6_15
.LBB6_12:                               ;   in Loop: Header=BB6_10 Depth=1
	s_or_b32 exec_lo, exec_lo, s0
	s_and_saveexec_b32 s16, s2
	s_cbranch_execnz .LBB6_16
.LBB6_13:                               ;   in Loop: Header=BB6_10 Depth=1
	s_or_b32 exec_lo, exec_lo, s16
	s_add_i32 s7, s7, 1
	s_delay_alu instid0(SALU_CYCLE_1)
	s_cmp_ge_i32 s7, s4
	s_cbranch_scc1 .LBB6_9
	s_branch .LBB6_17
.LBB6_14:                               ;   in Loop: Header=BB6_10 Depth=1
	v_cmp_eq_f32_e64 s0, v19, v20
	v_cmp_lt_i32_e64 s1, v17, v15
	s_delay_alu instid0(VALU_DEP_1) | instskip(SKIP_2) | instid1(SALU_CYCLE_1)
	s_and_b32 s0, s0, s1
	s_and_not1_b32 s1, s16, exec_lo
	s_and_b32 s0, s0, exec_lo
	s_or_b32 s16, s1, s0
	s_or_b32 exec_lo, exec_lo, s17
	s_and_saveexec_b32 s0, s16
	s_cbranch_execz .LBB6_12
.LBB6_15:                               ;   in Loop: Header=BB6_10 Depth=1
	v_dual_mov_b32 v16, v18 :: v_dual_mov_b32 v15, v17
	s_or_b32 exec_lo, exec_lo, s0
	s_and_saveexec_b32 s16, s2
	s_cbranch_execz .LBB6_13
.LBB6_16:                               ;   in Loop: Header=BB6_10 Depth=1
	s_delay_alu instid0(VALU_DEP_1) | instskip(SKIP_3) | instid1(VALU_DEP_4)
	v_dual_add_f32 v24, v12, v16 :: v_dual_add_nc_u32 v17, s7, v13
	v_cmp_le_i32_e64 s0, s5, v15
	v_cmp_gt_i32_e64 s1, s6, v15
	v_subrev_nc_u32_e32 v19, s5, v15
	v_ashrrev_i32_e32 v18, 31, v17
	v_cndmask_b32_e32 v12, v12, v24, vcc_lo
	s_delay_alu instid0(VALU_DEP_4) | instskip(NEXT) | instid1(SALU_CYCLE_1)
	s_and_b32 s0, s0, s1
	s_and_b32 s0, s15, s0
	s_delay_alu instid0(VALU_DEP_2) | instskip(SKIP_1) | instid1(VALU_DEP_2)
	v_lshlrev_b64 v[17:18], 2, v[17:18]
	v_cndmask_b32_e64 v23, 8, v19, s0
	v_add_co_u32 v19, s0, s12, v17
	s_delay_alu instid0(VALU_DEP_1) | instskip(SKIP_1) | instid1(VALU_DEP_1)
	v_add_co_ci_u32_e64 v20, s0, s13, v18, s0
	v_add_co_u32 v21, s0, s8, v17
	v_add_co_ci_u32_e64 v22, s0, s9, v18, s0
	v_add_co_u32 v17, s0, s10, v17
	s_delay_alu instid0(VALU_DEP_1)
	v_add_co_ci_u32_e64 v18, s0, s11, v18, s0
	global_store_b32 v[19:20], v16, off
	global_store_b32 v[21:22], v23, off
	;; [unrolled: 1-line block ×3, first 2 shown]
	s_or_b32 exec_lo, exec_lo, s16
	s_add_i32 s7, s7, 1
	s_delay_alu instid0(SALU_CYCLE_1)
	s_cmp_ge_i32 s7, s4
	s_cbranch_scc1 .LBB6_9
.LBB6_17:                               ;   in Loop: Header=BB6_10 Depth=1
	v_ashrrev_i32_e32 v17, 31, v15
	s_mov_b32 s1, exec_lo
	s_delay_alu instid0(VALU_DEP_1) | instskip(NEXT) | instid1(VALU_DEP_1)
	v_lshrrev_b32_e32 v16, 30, v17
	v_add_nc_u32_e32 v18, v15, v16
	s_delay_alu instid0(VALU_DEP_1) | instskip(SKIP_1) | instid1(VALU_DEP_1)
	v_ashrrev_i32_e32 v16, 2, v18
	v_lshrrev_b32_e32 v18, 31, v18
	v_add_nc_u32_e32 v18, v16, v18
	s_delay_alu instid0(VALU_DEP_1) | instskip(NEXT) | instid1(VALU_DEP_1)
	v_and_b32_e32 v18, -2, v18
	v_sub_nc_u32_e32 v18, v16, v18
	s_delay_alu instid0(VALU_DEP_1)
	v_cmpx_eq_u32_e64 v9, v18
	s_cbranch_execz .LBB6_8
; %bb.18:                               ;   in Loop: Header=BB6_10 Depth=1
	v_lshrrev_b32_e32 v17, 29, v17
	v_lshlrev_b32_e32 v16, 2, v16
	s_delay_alu instid0(VALU_DEP_2) | instskip(NEXT) | instid1(VALU_DEP_2)
	v_add_nc_u32_e32 v17, v15, v17
	v_sub_nc_u32_e32 v15, v15, v16
	s_delay_alu instid0(VALU_DEP_2) | instskip(NEXT) | instid1(VALU_DEP_1)
	v_ashrrev_i32_e32 v16, 3, v17
	v_lshl_add_u32 v15, v16, 2, v15
	s_delay_alu instid0(VALU_DEP_1) | instskip(NEXT) | instid1(VALU_DEP_1)
	v_cmp_ne_u32_e64 s0, 3, v15
	v_cndmask_b32_e64 v7, 0xc61c4000, v7, s0
	v_cmp_ne_u32_e64 s0, 2, v15
	s_delay_alu instid0(VALU_DEP_1) | instskip(SKIP_1) | instid1(VALU_DEP_1)
	v_cndmask_b32_e64 v6, 0xc61c4000, v6, s0
	v_cmp_ne_u32_e64 s0, 1, v15
	v_cndmask_b32_e64 v5, 0xc61c4000, v5, s0
	v_cmp_ne_u32_e64 s0, 0, v15
	s_delay_alu instid0(VALU_DEP_1)
	v_cndmask_b32_e64 v4, 0xc61c4000, v4, s0
	s_branch .LBB6_8
.LBB6_19:
                                        ; implicit-def: $vgpr4_vgpr5_vgpr6_vgpr7
	s_and_not1_b32 vcc_lo, exec_lo, s8
	s_cbranch_vccz .LBB6_5
	s_branch .LBB6_6
.LBB6_20:
	v_mov_b32_e32 v12, 0
.LBB6_21:
	v_cmp_eq_u32_e64 s0, 0, v9
	s_delay_alu instid0(VALU_DEP_1) | instskip(NEXT) | instid1(SALU_CYCLE_1)
	s_and_b32 s0, s0, vcc_lo
	s_and_b32 exec_lo, exec_lo, s0
	s_cbranch_execz .LBB6_25
; %bb.22:
	s_and_not1_b32 vcc_lo, exec_lo, s3
	s_cbranch_vccnz .LBB6_25
; %bb.23:
	v_mul_lo_u32 v0, v8, s4
	v_cmp_lt_f32_e32 vcc_lo, 0, v12
	v_cndmask_b32_e32 v2, 1.0, v12, vcc_lo
	s_delay_alu instid0(VALU_DEP_3) | instskip(NEXT) | instid1(VALU_DEP_1)
	v_ashrrev_i32_e32 v1, 31, v0
	v_lshlrev_b64 v[0:1], 2, v[0:1]
	s_delay_alu instid0(VALU_DEP_1) | instskip(NEXT) | instid1(VALU_DEP_2)
	v_add_co_u32 v0, vcc_lo, s12, v0
	v_add_co_ci_u32_e32 v1, vcc_lo, s13, v1, vcc_lo
	.p2align	6
.LBB6_24:                               ; =>This Inner Loop Header: Depth=1
	global_load_b32 v3, v[0:1], off
	s_add_i32 s4, s4, -1
	s_delay_alu instid0(SALU_CYCLE_1) | instskip(SKIP_3) | instid1(VALU_DEP_2)
	s_cmp_lg_u32 s4, 0
	s_waitcnt vmcnt(0)
	v_div_scale_f32 v4, null, v2, v2, v3
	v_div_scale_f32 v7, vcc_lo, v3, v2, v3
	v_rcp_f32_e32 v5, v4
	s_waitcnt_depctr 0xfff
	v_fma_f32 v6, -v4, v5, 1.0
	s_delay_alu instid0(VALU_DEP_1) | instskip(NEXT) | instid1(VALU_DEP_1)
	v_fmac_f32_e32 v5, v6, v5
	v_mul_f32_e32 v6, v7, v5
	s_delay_alu instid0(VALU_DEP_1) | instskip(NEXT) | instid1(VALU_DEP_1)
	v_fma_f32 v8, -v4, v6, v7
	v_fmac_f32_e32 v6, v8, v5
	s_delay_alu instid0(VALU_DEP_1) | instskip(NEXT) | instid1(VALU_DEP_1)
	v_fma_f32 v4, -v4, v6, v7
	v_div_fmas_f32 v4, v4, v5, v6
	s_delay_alu instid0(VALU_DEP_1)
	v_div_fixup_f32 v3, v4, v2, v3
	global_store_b32 v[0:1], v3, off
	v_add_co_u32 v0, vcc_lo, v0, 4
	v_add_co_ci_u32_e32 v1, vcc_lo, 0, v1, vcc_lo
	s_cbranch_scc1 .LBB6_24
.LBB6_25:
	s_nop 0
	s_sendmsg sendmsg(MSG_DEALLOC_VGPRS)
	s_endpgm
	.section	.rodata,"a",@progbits
	.p2align	6, 0x0
	.amdhsa_kernel _ZN4vllm3moe10topkGatingILi4ELi8ELi4ELi16ELi64EifLNS0_11ScoringFuncE0EEEvPKT5_PKbPfiPT4_PiiiibPKf
		.amdhsa_group_segment_fixed_size 0
		.amdhsa_private_segment_fixed_size 0
		.amdhsa_kernarg_size 72
		.amdhsa_user_sgpr_count 15
		.amdhsa_user_sgpr_dispatch_ptr 0
		.amdhsa_user_sgpr_queue_ptr 0
		.amdhsa_user_sgpr_kernarg_segment_ptr 1
		.amdhsa_user_sgpr_dispatch_id 0
		.amdhsa_user_sgpr_private_segment_size 0
		.amdhsa_wavefront_size32 1
		.amdhsa_uses_dynamic_stack 0
		.amdhsa_enable_private_segment 0
		.amdhsa_system_sgpr_workgroup_id_x 1
		.amdhsa_system_sgpr_workgroup_id_y 0
		.amdhsa_system_sgpr_workgroup_id_z 0
		.amdhsa_system_sgpr_workgroup_info 0
		.amdhsa_system_vgpr_workitem_id 1
		.amdhsa_next_free_vgpr 25
		.amdhsa_next_free_sgpr 18
		.amdhsa_reserve_vcc 1
		.amdhsa_float_round_mode_32 0
		.amdhsa_float_round_mode_16_64 0
		.amdhsa_float_denorm_mode_32 3
		.amdhsa_float_denorm_mode_16_64 3
		.amdhsa_dx10_clamp 1
		.amdhsa_ieee_mode 1
		.amdhsa_fp16_overflow 0
		.amdhsa_workgroup_processor_mode 1
		.amdhsa_memory_ordered 1
		.amdhsa_forward_progress 0
		.amdhsa_shared_vgpr_count 0
		.amdhsa_exception_fp_ieee_invalid_op 0
		.amdhsa_exception_fp_denorm_src 0
		.amdhsa_exception_fp_ieee_div_zero 0
		.amdhsa_exception_fp_ieee_overflow 0
		.amdhsa_exception_fp_ieee_underflow 0
		.amdhsa_exception_fp_ieee_inexact 0
		.amdhsa_exception_int_div_zero 0
	.end_amdhsa_kernel
	.section	.text._ZN4vllm3moe10topkGatingILi4ELi8ELi4ELi16ELi64EifLNS0_11ScoringFuncE0EEEvPKT5_PKbPfiPT4_PiiiibPKf,"axG",@progbits,_ZN4vllm3moe10topkGatingILi4ELi8ELi4ELi16ELi64EifLNS0_11ScoringFuncE0EEEvPKT5_PKbPfiPT4_PiiiibPKf,comdat
.Lfunc_end6:
	.size	_ZN4vllm3moe10topkGatingILi4ELi8ELi4ELi16ELi64EifLNS0_11ScoringFuncE0EEEvPKT5_PKbPfiPT4_PiiiibPKf, .Lfunc_end6-_ZN4vllm3moe10topkGatingILi4ELi8ELi4ELi16ELi64EifLNS0_11ScoringFuncE0EEEvPKT5_PKbPfiPT4_PiiiibPKf
                                        ; -- End function
	.section	.AMDGPU.csdata,"",@progbits
; Kernel info:
; codeLenInByte = 2008
; NumSgprs: 20
; NumVgprs: 25
; ScratchSize: 0
; MemoryBound: 0
; FloatMode: 240
; IeeeMode: 1
; LDSByteSize: 0 bytes/workgroup (compile time only)
; SGPRBlocks: 2
; VGPRBlocks: 3
; NumSGPRsForWavesPerEU: 20
; NumVGPRsForWavesPerEU: 25
; Occupancy: 16
; WaveLimiterHint : 0
; COMPUTE_PGM_RSRC2:SCRATCH_EN: 0
; COMPUTE_PGM_RSRC2:USER_SGPR: 15
; COMPUTE_PGM_RSRC2:TRAP_HANDLER: 0
; COMPUTE_PGM_RSRC2:TGID_X_EN: 1
; COMPUTE_PGM_RSRC2:TGID_Y_EN: 0
; COMPUTE_PGM_RSRC2:TGID_Z_EN: 0
; COMPUTE_PGM_RSRC2:TIDIG_COMP_CNT: 1
	.section	.text._ZN4vllm3moe10topkGatingILi4ELi8ELi4ELi16ELi32EifLNS0_11ScoringFuncE0EEEvPKT5_PKbPfiPT4_PiiiibPKf,"axG",@progbits,_ZN4vllm3moe10topkGatingILi4ELi8ELi4ELi16ELi32EifLNS0_11ScoringFuncE0EEEvPKT5_PKbPfiPT4_PiiiibPKf,comdat
	.protected	_ZN4vllm3moe10topkGatingILi4ELi8ELi4ELi16ELi32EifLNS0_11ScoringFuncE0EEEvPKT5_PKbPfiPT4_PiiiibPKf ; -- Begin function _ZN4vllm3moe10topkGatingILi4ELi8ELi4ELi16ELi32EifLNS0_11ScoringFuncE0EEEvPKT5_PKbPfiPT4_PiiiibPKf
	.globl	_ZN4vllm3moe10topkGatingILi4ELi8ELi4ELi16ELi32EifLNS0_11ScoringFuncE0EEEvPKT5_PKbPfiPT4_PiiiibPKf
	.p2align	8
	.type	_ZN4vllm3moe10topkGatingILi4ELi8ELi4ELi16ELi32EifLNS0_11ScoringFuncE0EEEvPKT5_PKbPfiPT4_PiiiibPKf,@function
_ZN4vllm3moe10topkGatingILi4ELi8ELi4ELi16ELi32EifLNS0_11ScoringFuncE0EEEvPKT5_PKbPfiPT4_PiiiibPKf: ; @_ZN4vllm3moe10topkGatingILi4ELi8ELi4ELi16ELi32EifLNS0_11ScoringFuncE0EEEvPKT5_PKbPfiPT4_PiiiibPKf
; %bb.0:
	s_load_b32 s14, s[0:1], 0x18
	v_bfe_u32 v1, v0, 10, 10
	v_and_b32_e32 v0, 0x3ff, v0
	s_lshl_b32 s2, s15, 6
	s_delay_alu instid0(VALU_DEP_2) | instskip(NEXT) | instid1(VALU_DEP_2)
	v_lshlrev_b32_e32 v1, 4, v1
	v_lshrrev_b32_e32 v2, 1, v0
	s_delay_alu instid0(VALU_DEP_1) | instskip(SKIP_2) | instid1(VALU_DEP_1)
	v_add3_u32 v8, s2, v1, v2
	s_mov_b32 s2, exec_lo
	s_waitcnt lgkmcnt(0)
	v_cmpx_gt_i32_e64 s14, v8
	s_cbranch_execz .LBB7_25
; %bb.1:
	s_clause 0x1
	s_load_b128 s[4:7], s[0:1], 0x0
	s_load_b64 s[12:13], s[0:1], 0x10
	s_mov_b32 s8, -1
	s_mov_b32 s15, -1
	s_waitcnt lgkmcnt(0)
	s_cmp_eq_u64 s[6:7], 0
	s_cbranch_scc1 .LBB7_3
; %bb.2:
	v_ashrrev_i32_e32 v2, 31, v8
	v_add_co_u32 v1, vcc_lo, s6, v8
	s_delay_alu instid0(VALU_DEP_2) | instskip(SKIP_3) | instid1(VALU_DEP_1)
	v_add_co_ci_u32_e32 v2, vcc_lo, s7, v2, vcc_lo
	global_load_u8 v1, v[1:2], off
	s_waitcnt vmcnt(0)
	v_and_b32_e32 v1, 1, v1
	v_cmp_eq_u32_e32 vcc_lo, 1, v1
	s_xor_b32 s2, vcc_lo, -1
	s_delay_alu instid0(SALU_CYCLE_1)
	s_or_not1_b32 s15, s2, exec_lo
.LBB7_3:
	v_mbcnt_lo_u32_b32 v4, -1, 0
	v_and_b32_e32 v9, 1, v0
	s_load_b64 s[2:3], s[0:1], 0x40
	s_delay_alu instid0(VALU_DEP_2) | instskip(SKIP_2) | instid1(VALU_DEP_2)
	v_xor_b32_e32 v6, 1, v4
	v_lshlrev_b32_e32 v1, 3, v8
	v_and_b32_e32 v5, 30, v4
	v_ashrrev_i32_e32 v2, 31, v1
	s_delay_alu instid0(VALU_DEP_1) | instskip(SKIP_3) | instid1(VALU_DEP_2)
	v_lshlrev_b64 v[0:1], 2, v[1:2]
	v_lshlrev_b32_e32 v2, 4, v9
	s_waitcnt lgkmcnt(0)
	s_cmp_eq_u64 s[2:3], 0
	v_add_co_u32 v0, vcc_lo, s4, v0
	s_delay_alu instid0(VALU_DEP_3) | instskip(NEXT) | instid1(VALU_DEP_2)
	v_add_co_ci_u32_e32 v1, vcc_lo, s5, v1, vcc_lo
	v_add_co_u32 v0, vcc_lo, v0, v2
	s_delay_alu instid0(VALU_DEP_2) | instskip(SKIP_3) | instid1(VALU_DEP_1)
	v_add_co_ci_u32_e32 v1, vcc_lo, 0, v1, vcc_lo
	global_load_b128 v[0:3], v[0:1], off
	s_waitcnt vmcnt(0)
	v_dual_max_f32 v10, v0, v0 :: v_dual_add_nc_u32 v5, 2, v5
	v_cmp_lt_i32_e32 vcc_lo, v6, v5
	v_dual_cndmask_b32 v4, v4, v6 :: v_dual_max_f32 v7, v1, v1
	s_delay_alu instid0(VALU_DEP_1) | instskip(NEXT) | instid1(VALU_DEP_1)
	v_dual_max_f32 v5, v10, v7 :: v_dual_lshlrev_b32 v10, 2, v4
	v_max3_f32 v4, v5, v2, v3
	ds_bpermute_b32 v5, v10, v4
	s_waitcnt lgkmcnt(0)
	v_max_f32_e32 v5, v5, v5
	s_delay_alu instid0(VALU_DEP_1) | instskip(NEXT) | instid1(VALU_DEP_1)
	v_max_f32_e32 v4, v4, v5
	v_sub_f32_e32 v0, v0, v4
	v_sub_f32_e32 v1, v1, v4
	;; [unrolled: 1-line block ×4, first 2 shown]
	s_delay_alu instid0(VALU_DEP_4) | instskip(SKIP_1) | instid1(VALU_DEP_2)
	v_mul_f32_e32 v4, 0x3fb8aa3b, v0
	v_cmp_ngt_f32_e32 vcc_lo, 0xc2ce8ed0, v0
	v_fma_f32 v11, 0x3fb8aa3b, v0, -v4
	v_rndne_f32_e32 v12, v4
	s_delay_alu instid0(VALU_DEP_2) | instskip(NEXT) | instid1(VALU_DEP_2)
	v_fmac_f32_e32 v11, 0x32a5705f, v0
	v_sub_f32_e32 v4, v4, v12
	s_delay_alu instid0(VALU_DEP_1) | instskip(SKIP_2) | instid1(VALU_DEP_3)
	v_dual_add_f32 v4, v4, v11 :: v_dual_mul_f32 v5, 0x3fb8aa3b, v1
	v_mul_f32_e32 v6, 0x3fb8aa3b, v2
	v_cvt_i32_f32_e32 v11, v12
	v_exp_f32_e32 v4, v4
	s_delay_alu instid0(VALU_DEP_3) | instskip(SKIP_3) | instid1(VALU_DEP_4)
	v_fma_f32 v13, 0x3fb8aa3b, v1, -v5
	v_rndne_f32_e32 v14, v5
	v_fma_f32 v15, 0x3fb8aa3b, v2, -v6
	v_rndne_f32_e32 v16, v6
	v_fmac_f32_e32 v13, 0x32a5705f, v1
	s_delay_alu instid0(VALU_DEP_4) | instskip(SKIP_1) | instid1(VALU_DEP_4)
	v_sub_f32_e32 v5, v5, v14
	v_cvt_i32_f32_e32 v12, v14
	v_sub_f32_e32 v6, v6, v16
	s_delay_alu instid0(TRANS32_DEP_1) | instskip(SKIP_3) | instid1(VALU_DEP_4)
	v_ldexp_f32 v4, v4, v11
	v_fmac_f32_e32 v15, 0x32a5705f, v2
	v_add_f32_e32 v5, v5, v13
	v_cvt_i32_f32_e32 v13, v16
	v_cndmask_b32_e32 v4, 0, v4, vcc_lo
	s_delay_alu instid0(VALU_DEP_4) | instskip(NEXT) | instid1(VALU_DEP_4)
	v_add_f32_e32 v6, v6, v15
	v_exp_f32_e32 v5, v5
	v_cmp_ngt_f32_e32 vcc_lo, 0xc2ce8ed0, v1
	v_mul_f32_e32 v7, 0x3fb8aa3b, v3
	s_delay_alu instid0(VALU_DEP_3) | instskip(NEXT) | instid1(VALU_DEP_1)
	v_exp_f32_e32 v6, v6
	v_rndne_f32_e32 v18, v7
	v_fma_f32 v17, 0x3fb8aa3b, v3, -v7
	s_waitcnt_depctr 0xfff
	v_ldexp_f32 v5, v5, v12
	v_cvt_i32_f32_e32 v14, v18
	v_ldexp_f32 v6, v6, v13
	s_delay_alu instid0(VALU_DEP_3) | instskip(SKIP_1) | instid1(VALU_DEP_3)
	v_cndmask_b32_e32 v5, 0, v5, vcc_lo
	v_cmp_ngt_f32_e32 vcc_lo, 0xc2ce8ed0, v2
	v_cndmask_b32_e32 v6, 0, v6, vcc_lo
	v_cmp_nlt_f32_e32 vcc_lo, 0x42b17218, v0
	v_dual_sub_f32 v7, v7, v18 :: v_dual_cndmask_b32 v0, 0x7f800000, v4
	v_cmp_nlt_f32_e32 vcc_lo, 0x42b17218, v1
	v_cndmask_b32_e32 v1, 0x7f800000, v5, vcc_lo
	v_cmp_ngt_f32_e32 vcc_lo, 0xc2ce8ed0, v3
	s_delay_alu instid0(VALU_DEP_2) | instskip(SKIP_1) | instid1(VALU_DEP_1)
	v_add_f32_e32 v5, v0, v1
	v_fmac_f32_e32 v17, 0x32a5705f, v3
	v_add_f32_e32 v7, v7, v17
	s_delay_alu instid0(VALU_DEP_1) | instskip(SKIP_2) | instid1(VALU_DEP_1)
	v_exp_f32_e32 v7, v7
	s_waitcnt_depctr 0xfff
	v_ldexp_f32 v7, v7, v14
	v_cndmask_b32_e32 v4, 0, v7, vcc_lo
	v_cmp_nlt_f32_e32 vcc_lo, 0x42b17218, v2
	v_cndmask_b32_e32 v2, 0x7f800000, v6, vcc_lo
	v_cmp_nlt_f32_e32 vcc_lo, 0x42b17218, v3
	s_delay_alu instid0(VALU_DEP_2) | instskip(NEXT) | instid1(VALU_DEP_1)
	v_dual_cndmask_b32 v3, 0x7f800000, v4 :: v_dual_add_f32 v4, v5, v2
	v_add_f32_e32 v4, v4, v3
	ds_bpermute_b32 v5, v10, v4
	s_waitcnt lgkmcnt(0)
	v_add_f32_e32 v4, v4, v5
	s_delay_alu instid0(VALU_DEP_1) | instskip(SKIP_1) | instid1(VALU_DEP_2)
	v_div_scale_f32 v5, null, v4, v4, 1.0
	v_div_scale_f32 v11, vcc_lo, 1.0, v4, 1.0
	v_rcp_f32_e32 v6, v5
	s_waitcnt_depctr 0xfff
	v_fma_f32 v7, -v5, v6, 1.0
	s_delay_alu instid0(VALU_DEP_1) | instskip(NEXT) | instid1(VALU_DEP_1)
	v_fmac_f32_e32 v6, v7, v6
	v_mul_f32_e32 v7, v11, v6
	s_delay_alu instid0(VALU_DEP_1) | instskip(NEXT) | instid1(VALU_DEP_1)
	v_fma_f32 v12, -v5, v7, v11
	v_fmac_f32_e32 v7, v12, v6
	s_delay_alu instid0(VALU_DEP_1) | instskip(NEXT) | instid1(VALU_DEP_1)
	v_fma_f32 v5, -v5, v7, v11
	v_div_fmas_f32 v5, v5, v6, v7
	s_delay_alu instid0(VALU_DEP_1) | instskip(NEXT) | instid1(VALU_DEP_1)
	v_div_fixup_f32 v4, v5, v4, 1.0
	v_dual_mul_f32 v2, v4, v2 :: v_dual_lshlrev_b32 v11, 2, v9
	v_mul_f32_e32 v0, v4, v0
	v_mul_f32_e32 v1, v4, v1
	;; [unrolled: 1-line block ×3, first 2 shown]
	s_delay_alu instid0(VALU_DEP_3) | instskip(SKIP_1) | instid1(VALU_DEP_4)
	v_cmp_class_f32_e64 vcc_lo, v0, 0x1f8
	v_cndmask_b32_e32 v0, 0, v0, vcc_lo
	v_cmp_class_f32_e64 vcc_lo, v1, 0x1f8
	v_cndmask_b32_e32 v1, 0, v1, vcc_lo
	;; [unrolled: 2-line block ×4, first 2 shown]
	s_cbranch_scc1 .LBB7_19
; %bb.4:
	v_lshlrev_b32_e32 v4, 2, v11
	global_load_b128 v[4:7], v4, s[2:3]
	s_waitcnt vmcnt(0)
	v_dual_add_f32 v5, v5, v1 :: v_dual_add_f32 v4, v4, v0
	v_dual_add_f32 v7, v7, v3 :: v_dual_add_f32 v6, v6, v2
	s_cbranch_execnz .LBB7_6
.LBB7_5:
	v_dual_mov_b32 v7, v3 :: v_dual_mov_b32 v6, v2
	v_dual_mov_b32 v5, v1 :: v_dual_mov_b32 v4, v0
.LBB7_6:
	s_load_b128 s[4:7], s[0:1], 0x30
	v_cmp_eq_u32_e64 s2, 0, v9
	s_waitcnt lgkmcnt(0)
	s_bitcmp1_b32 s7, 0
	s_mov_b32 s7, 0
	s_cselect_b32 vcc_lo, -1, 0
	s_cmp_gt_i32 s4, 0
	s_cselect_b32 s3, -1, 0
	s_cmp_lt_i32 s4, 1
	s_cbranch_scc1 .LBB7_20
; %bb.7:
	s_load_b128 s[8:11], s[0:1], 0x20
	v_mul_lo_u32 v13, v8, s4
	v_mov_b32_e32 v12, 0
	v_mov_b32_e32 v14, v8
	s_branch .LBB7_10
.LBB7_8:                                ;   in Loop: Header=BB7_10 Depth=1
	s_or_b32 exec_lo, exec_lo, s1
.LBB7_9:                                ;   in Loop: Header=BB7_10 Depth=1
	v_add_nc_u32_e32 v14, s14, v14
	s_cmp_eq_u32 s4, s7
	s_cbranch_scc1 .LBB7_21
.LBB7_10:                               ; =>This Inner Loop Header: Depth=1
	v_cmp_gt_f32_e64 s0, v5, v4
	s_mov_b32 s17, exec_lo
	s_delay_alu instid0(VALU_DEP_1) | instskip(SKIP_2) | instid1(VALU_DEP_3)
	v_cndmask_b32_e64 v15, v4, v5, s0
	v_cndmask_b32_e64 v16, 0, 1, s0
	;; [unrolled: 1-line block ×3, first 2 shown]
	v_cmp_gt_f32_e64 s1, v6, v15
	s_delay_alu instid0(VALU_DEP_1) | instskip(NEXT) | instid1(VALU_DEP_4)
	v_cndmask_b32_e64 v15, v15, v6, s1
	v_cndmask_b32_e64 v16, v16, 2, s1
	s_delay_alu instid0(VALU_DEP_4) | instskip(NEXT) | instid1(VALU_DEP_3)
	v_cndmask_b32_e64 v17, v17, v2, s1
	v_cmp_gt_f32_e64 s0, v7, v15
	s_delay_alu instid0(VALU_DEP_1) | instskip(NEXT) | instid1(VALU_DEP_4)
	v_cndmask_b32_e64 v19, v15, v7, s0
	v_cndmask_b32_e64 v15, v16, 3, s0
	s_delay_alu instid0(VALU_DEP_4)
	v_cndmask_b32_e64 v16, v17, v3, s0
	ds_bpermute_b32 v20, v10, v19
	v_or_b32_e32 v15, v11, v15
	ds_bpermute_b32 v18, v10, v16
	ds_bpermute_b32 v17, v10, v15
	s_waitcnt lgkmcnt(0)
	v_cmp_lt_f32_e64 s16, v19, v20
	v_cmpx_nlt_f32_e32 v19, v20
	s_cbranch_execnz .LBB7_14
; %bb.11:                               ;   in Loop: Header=BB7_10 Depth=1
	s_or_b32 exec_lo, exec_lo, s17
	s_delay_alu instid0(VALU_DEP_2)
	s_and_saveexec_b32 s0, s16
	s_cbranch_execnz .LBB7_15
.LBB7_12:                               ;   in Loop: Header=BB7_10 Depth=1
	s_or_b32 exec_lo, exec_lo, s0
	s_and_saveexec_b32 s16, s2
	s_cbranch_execnz .LBB7_16
.LBB7_13:                               ;   in Loop: Header=BB7_10 Depth=1
	s_or_b32 exec_lo, exec_lo, s16
	s_add_i32 s7, s7, 1
	s_delay_alu instid0(SALU_CYCLE_1)
	s_cmp_ge_i32 s7, s4
	s_cbranch_scc1 .LBB7_9
	s_branch .LBB7_17
.LBB7_14:                               ;   in Loop: Header=BB7_10 Depth=1
	v_cmp_eq_f32_e64 s0, v19, v20
	v_cmp_lt_i32_e64 s1, v17, v15
	s_delay_alu instid0(VALU_DEP_1) | instskip(SKIP_2) | instid1(SALU_CYCLE_1)
	s_and_b32 s0, s0, s1
	s_and_not1_b32 s1, s16, exec_lo
	s_and_b32 s0, s0, exec_lo
	s_or_b32 s16, s1, s0
	s_or_b32 exec_lo, exec_lo, s17
	s_and_saveexec_b32 s0, s16
	s_cbranch_execz .LBB7_12
.LBB7_15:                               ;   in Loop: Header=BB7_10 Depth=1
	v_dual_mov_b32 v16, v18 :: v_dual_mov_b32 v15, v17
	s_or_b32 exec_lo, exec_lo, s0
	s_and_saveexec_b32 s16, s2
	s_cbranch_execz .LBB7_13
.LBB7_16:                               ;   in Loop: Header=BB7_10 Depth=1
	s_delay_alu instid0(VALU_DEP_1) | instskip(SKIP_3) | instid1(VALU_DEP_4)
	v_dual_add_f32 v24, v12, v16 :: v_dual_add_nc_u32 v17, s7, v13
	v_cmp_le_i32_e64 s0, s5, v15
	v_cmp_gt_i32_e64 s1, s6, v15
	v_subrev_nc_u32_e32 v19, s5, v15
	v_ashrrev_i32_e32 v18, 31, v17
	v_cndmask_b32_e32 v12, v12, v24, vcc_lo
	s_delay_alu instid0(VALU_DEP_4) | instskip(NEXT) | instid1(SALU_CYCLE_1)
	s_and_b32 s0, s0, s1
	s_and_b32 s0, s15, s0
	s_delay_alu instid0(VALU_DEP_2) | instskip(SKIP_1) | instid1(VALU_DEP_2)
	v_lshlrev_b64 v[17:18], 2, v[17:18]
	v_cndmask_b32_e64 v23, 8, v19, s0
	v_add_co_u32 v19, s0, s12, v17
	s_delay_alu instid0(VALU_DEP_1) | instskip(SKIP_1) | instid1(VALU_DEP_1)
	v_add_co_ci_u32_e64 v20, s0, s13, v18, s0
	v_add_co_u32 v21, s0, s8, v17
	v_add_co_ci_u32_e64 v22, s0, s9, v18, s0
	v_add_co_u32 v17, s0, s10, v17
	s_delay_alu instid0(VALU_DEP_1)
	v_add_co_ci_u32_e64 v18, s0, s11, v18, s0
	global_store_b32 v[19:20], v16, off
	global_store_b32 v[21:22], v23, off
	global_store_b32 v[17:18], v14, off
	s_or_b32 exec_lo, exec_lo, s16
	s_add_i32 s7, s7, 1
	s_delay_alu instid0(SALU_CYCLE_1)
	s_cmp_ge_i32 s7, s4
	s_cbranch_scc1 .LBB7_9
.LBB7_17:                               ;   in Loop: Header=BB7_10 Depth=1
	v_ashrrev_i32_e32 v17, 31, v15
	s_mov_b32 s1, exec_lo
	s_delay_alu instid0(VALU_DEP_1) | instskip(NEXT) | instid1(VALU_DEP_1)
	v_lshrrev_b32_e32 v16, 30, v17
	v_add_nc_u32_e32 v18, v15, v16
	s_delay_alu instid0(VALU_DEP_1) | instskip(SKIP_1) | instid1(VALU_DEP_1)
	v_ashrrev_i32_e32 v16, 2, v18
	v_lshrrev_b32_e32 v18, 31, v18
	v_add_nc_u32_e32 v18, v16, v18
	s_delay_alu instid0(VALU_DEP_1) | instskip(NEXT) | instid1(VALU_DEP_1)
	v_and_b32_e32 v18, -2, v18
	v_sub_nc_u32_e32 v18, v16, v18
	s_delay_alu instid0(VALU_DEP_1)
	v_cmpx_eq_u32_e64 v9, v18
	s_cbranch_execz .LBB7_8
; %bb.18:                               ;   in Loop: Header=BB7_10 Depth=1
	v_lshrrev_b32_e32 v17, 29, v17
	v_lshlrev_b32_e32 v16, 2, v16
	s_delay_alu instid0(VALU_DEP_2) | instskip(NEXT) | instid1(VALU_DEP_2)
	v_add_nc_u32_e32 v17, v15, v17
	v_sub_nc_u32_e32 v15, v15, v16
	s_delay_alu instid0(VALU_DEP_2) | instskip(NEXT) | instid1(VALU_DEP_1)
	v_ashrrev_i32_e32 v16, 3, v17
	v_lshl_add_u32 v15, v16, 2, v15
	s_delay_alu instid0(VALU_DEP_1) | instskip(NEXT) | instid1(VALU_DEP_1)
	v_cmp_ne_u32_e64 s0, 3, v15
	v_cndmask_b32_e64 v7, 0xc61c4000, v7, s0
	v_cmp_ne_u32_e64 s0, 2, v15
	s_delay_alu instid0(VALU_DEP_1) | instskip(SKIP_1) | instid1(VALU_DEP_1)
	v_cndmask_b32_e64 v6, 0xc61c4000, v6, s0
	v_cmp_ne_u32_e64 s0, 1, v15
	v_cndmask_b32_e64 v5, 0xc61c4000, v5, s0
	v_cmp_ne_u32_e64 s0, 0, v15
	s_delay_alu instid0(VALU_DEP_1)
	v_cndmask_b32_e64 v4, 0xc61c4000, v4, s0
	s_branch .LBB7_8
.LBB7_19:
                                        ; implicit-def: $vgpr4_vgpr5_vgpr6_vgpr7
	s_and_not1_b32 vcc_lo, exec_lo, s8
	s_cbranch_vccz .LBB7_5
	s_branch .LBB7_6
.LBB7_20:
	v_mov_b32_e32 v12, 0
.LBB7_21:
	v_cmp_eq_u32_e64 s0, 0, v9
	s_delay_alu instid0(VALU_DEP_1) | instskip(NEXT) | instid1(SALU_CYCLE_1)
	s_and_b32 s0, s0, vcc_lo
	s_and_b32 exec_lo, exec_lo, s0
	s_cbranch_execz .LBB7_25
; %bb.22:
	s_and_not1_b32 vcc_lo, exec_lo, s3
	s_cbranch_vccnz .LBB7_25
; %bb.23:
	v_mul_lo_u32 v0, v8, s4
	v_cmp_lt_f32_e32 vcc_lo, 0, v12
	v_cndmask_b32_e32 v2, 1.0, v12, vcc_lo
	s_delay_alu instid0(VALU_DEP_3) | instskip(NEXT) | instid1(VALU_DEP_1)
	v_ashrrev_i32_e32 v1, 31, v0
	v_lshlrev_b64 v[0:1], 2, v[0:1]
	s_delay_alu instid0(VALU_DEP_1) | instskip(NEXT) | instid1(VALU_DEP_2)
	v_add_co_u32 v0, vcc_lo, s12, v0
	v_add_co_ci_u32_e32 v1, vcc_lo, s13, v1, vcc_lo
	.p2align	6
.LBB7_24:                               ; =>This Inner Loop Header: Depth=1
	global_load_b32 v3, v[0:1], off
	s_add_i32 s4, s4, -1
	s_delay_alu instid0(SALU_CYCLE_1) | instskip(SKIP_3) | instid1(VALU_DEP_2)
	s_cmp_lg_u32 s4, 0
	s_waitcnt vmcnt(0)
	v_div_scale_f32 v4, null, v2, v2, v3
	v_div_scale_f32 v7, vcc_lo, v3, v2, v3
	v_rcp_f32_e32 v5, v4
	s_waitcnt_depctr 0xfff
	v_fma_f32 v6, -v4, v5, 1.0
	s_delay_alu instid0(VALU_DEP_1) | instskip(NEXT) | instid1(VALU_DEP_1)
	v_fmac_f32_e32 v5, v6, v5
	v_mul_f32_e32 v6, v7, v5
	s_delay_alu instid0(VALU_DEP_1) | instskip(NEXT) | instid1(VALU_DEP_1)
	v_fma_f32 v8, -v4, v6, v7
	v_fmac_f32_e32 v6, v8, v5
	s_delay_alu instid0(VALU_DEP_1) | instskip(NEXT) | instid1(VALU_DEP_1)
	v_fma_f32 v4, -v4, v6, v7
	v_div_fmas_f32 v4, v4, v5, v6
	s_delay_alu instid0(VALU_DEP_1)
	v_div_fixup_f32 v3, v4, v2, v3
	global_store_b32 v[0:1], v3, off
	v_add_co_u32 v0, vcc_lo, v0, 4
	v_add_co_ci_u32_e32 v1, vcc_lo, 0, v1, vcc_lo
	s_cbranch_scc1 .LBB7_24
.LBB7_25:
	s_nop 0
	s_sendmsg sendmsg(MSG_DEALLOC_VGPRS)
	s_endpgm
	.section	.rodata,"a",@progbits
	.p2align	6, 0x0
	.amdhsa_kernel _ZN4vllm3moe10topkGatingILi4ELi8ELi4ELi16ELi32EifLNS0_11ScoringFuncE0EEEvPKT5_PKbPfiPT4_PiiiibPKf
		.amdhsa_group_segment_fixed_size 0
		.amdhsa_private_segment_fixed_size 0
		.amdhsa_kernarg_size 72
		.amdhsa_user_sgpr_count 15
		.amdhsa_user_sgpr_dispatch_ptr 0
		.amdhsa_user_sgpr_queue_ptr 0
		.amdhsa_user_sgpr_kernarg_segment_ptr 1
		.amdhsa_user_sgpr_dispatch_id 0
		.amdhsa_user_sgpr_private_segment_size 0
		.amdhsa_wavefront_size32 1
		.amdhsa_uses_dynamic_stack 0
		.amdhsa_enable_private_segment 0
		.amdhsa_system_sgpr_workgroup_id_x 1
		.amdhsa_system_sgpr_workgroup_id_y 0
		.amdhsa_system_sgpr_workgroup_id_z 0
		.amdhsa_system_sgpr_workgroup_info 0
		.amdhsa_system_vgpr_workitem_id 1
		.amdhsa_next_free_vgpr 25
		.amdhsa_next_free_sgpr 18
		.amdhsa_reserve_vcc 1
		.amdhsa_float_round_mode_32 0
		.amdhsa_float_round_mode_16_64 0
		.amdhsa_float_denorm_mode_32 3
		.amdhsa_float_denorm_mode_16_64 3
		.amdhsa_dx10_clamp 1
		.amdhsa_ieee_mode 1
		.amdhsa_fp16_overflow 0
		.amdhsa_workgroup_processor_mode 1
		.amdhsa_memory_ordered 1
		.amdhsa_forward_progress 0
		.amdhsa_shared_vgpr_count 0
		.amdhsa_exception_fp_ieee_invalid_op 0
		.amdhsa_exception_fp_denorm_src 0
		.amdhsa_exception_fp_ieee_div_zero 0
		.amdhsa_exception_fp_ieee_overflow 0
		.amdhsa_exception_fp_ieee_underflow 0
		.amdhsa_exception_fp_ieee_inexact 0
		.amdhsa_exception_int_div_zero 0
	.end_amdhsa_kernel
	.section	.text._ZN4vllm3moe10topkGatingILi4ELi8ELi4ELi16ELi32EifLNS0_11ScoringFuncE0EEEvPKT5_PKbPfiPT4_PiiiibPKf,"axG",@progbits,_ZN4vllm3moe10topkGatingILi4ELi8ELi4ELi16ELi32EifLNS0_11ScoringFuncE0EEEvPKT5_PKbPfiPT4_PiiiibPKf,comdat
.Lfunc_end7:
	.size	_ZN4vllm3moe10topkGatingILi4ELi8ELi4ELi16ELi32EifLNS0_11ScoringFuncE0EEEvPKT5_PKbPfiPT4_PiiiibPKf, .Lfunc_end7-_ZN4vllm3moe10topkGatingILi4ELi8ELi4ELi16ELi32EifLNS0_11ScoringFuncE0EEEvPKT5_PKbPfiPT4_PiiiibPKf
                                        ; -- End function
	.section	.AMDGPU.csdata,"",@progbits
; Kernel info:
; codeLenInByte = 2008
; NumSgprs: 20
; NumVgprs: 25
; ScratchSize: 0
; MemoryBound: 0
; FloatMode: 240
; IeeeMode: 1
; LDSByteSize: 0 bytes/workgroup (compile time only)
; SGPRBlocks: 2
; VGPRBlocks: 3
; NumSGPRsForWavesPerEU: 20
; NumVGPRsForWavesPerEU: 25
; Occupancy: 16
; WaveLimiterHint : 0
; COMPUTE_PGM_RSRC2:SCRATCH_EN: 0
; COMPUTE_PGM_RSRC2:USER_SGPR: 15
; COMPUTE_PGM_RSRC2:TRAP_HANDLER: 0
; COMPUTE_PGM_RSRC2:TGID_X_EN: 1
; COMPUTE_PGM_RSRC2:TGID_Y_EN: 0
; COMPUTE_PGM_RSRC2:TGID_Z_EN: 0
; COMPUTE_PGM_RSRC2:TIDIG_COMP_CNT: 1
	.section	.text._ZN4vllm3moe10topkGatingILi4ELi16ELi4ELi16ELi64EifLNS0_11ScoringFuncE0EEEvPKT5_PKbPfiPT4_PiiiibPKf,"axG",@progbits,_ZN4vllm3moe10topkGatingILi4ELi16ELi4ELi16ELi64EifLNS0_11ScoringFuncE0EEEvPKT5_PKbPfiPT4_PiiiibPKf,comdat
	.protected	_ZN4vllm3moe10topkGatingILi4ELi16ELi4ELi16ELi64EifLNS0_11ScoringFuncE0EEEvPKT5_PKbPfiPT4_PiiiibPKf ; -- Begin function _ZN4vllm3moe10topkGatingILi4ELi16ELi4ELi16ELi64EifLNS0_11ScoringFuncE0EEEvPKT5_PKbPfiPT4_PiiiibPKf
	.globl	_ZN4vllm3moe10topkGatingILi4ELi16ELi4ELi16ELi64EifLNS0_11ScoringFuncE0EEEvPKT5_PKbPfiPT4_PiiiibPKf
	.p2align	8
	.type	_ZN4vllm3moe10topkGatingILi4ELi16ELi4ELi16ELi64EifLNS0_11ScoringFuncE0EEEvPKT5_PKbPfiPT4_PiiiibPKf,@function
_ZN4vllm3moe10topkGatingILi4ELi16ELi4ELi16ELi64EifLNS0_11ScoringFuncE0EEEvPKT5_PKbPfiPT4_PiiiibPKf: ; @_ZN4vllm3moe10topkGatingILi4ELi16ELi4ELi16ELi64EifLNS0_11ScoringFuncE0EEEvPKT5_PKbPfiPT4_PiiiibPKf
; %bb.0:
	s_load_b32 s14, s[0:1], 0x18
	v_bfe_u32 v1, v0, 10, 10
	v_and_b32_e32 v0, 0x3ff, v0
	s_lshl_b32 s2, s15, 6
	s_delay_alu instid0(VALU_DEP_2) | instskip(NEXT) | instid1(VALU_DEP_2)
	v_lshlrev_b32_e32 v1, 4, v1
	v_lshrrev_b32_e32 v2, 2, v0
	s_delay_alu instid0(VALU_DEP_1) | instskip(SKIP_2) | instid1(VALU_DEP_1)
	v_add3_u32 v8, s2, v1, v2
	s_mov_b32 s2, exec_lo
	s_waitcnt lgkmcnt(0)
	v_cmpx_gt_i32_e64 s14, v8
	s_cbranch_execz .LBB8_29
; %bb.1:
	s_clause 0x1
	s_load_b128 s[4:7], s[0:1], 0x0
	s_load_b64 s[12:13], s[0:1], 0x10
	s_mov_b32 s8, -1
	s_mov_b32 s15, -1
	s_waitcnt lgkmcnt(0)
	s_cmp_eq_u64 s[6:7], 0
	s_cbranch_scc1 .LBB8_3
; %bb.2:
	v_ashrrev_i32_e32 v2, 31, v8
	v_add_co_u32 v1, vcc_lo, s6, v8
	s_delay_alu instid0(VALU_DEP_2) | instskip(SKIP_3) | instid1(VALU_DEP_1)
	v_add_co_ci_u32_e32 v2, vcc_lo, s7, v2, vcc_lo
	global_load_u8 v1, v[1:2], off
	s_waitcnt vmcnt(0)
	v_and_b32_e32 v1, 1, v1
	v_cmp_eq_u32_e32 vcc_lo, 1, v1
	s_xor_b32 s2, vcc_lo, -1
	s_delay_alu instid0(SALU_CYCLE_1)
	s_or_not1_b32 s15, s2, exec_lo
.LBB8_3:
	v_mbcnt_lo_u32_b32 v4, -1, 0
	s_load_b64 s[2:3], s[0:1], 0x40
	s_delay_alu instid0(VALU_DEP_1) | instskip(SKIP_4) | instid1(VALU_DEP_4)
	v_xor_b32_e32 v6, 2, v4
	v_lshlrev_b32_e32 v1, 4, v8
	v_xor_b32_e32 v11, 1, v4
	v_and_b32_e32 v9, 3, v0
	v_and_b32_e32 v5, 28, v4
	v_ashrrev_i32_e32 v2, 31, v1
	s_delay_alu instid0(VALU_DEP_1) | instskip(NEXT) | instid1(VALU_DEP_4)
	v_lshlrev_b64 v[0:1], 2, v[1:2]
	v_lshlrev_b32_e32 v2, 4, v9
	s_waitcnt lgkmcnt(0)
	s_cmp_eq_u64 s[2:3], 0
	s_delay_alu instid0(VALU_DEP_2) | instskip(NEXT) | instid1(VALU_DEP_3)
	v_add_co_u32 v0, vcc_lo, s4, v0
	v_add_co_ci_u32_e32 v1, vcc_lo, s5, v1, vcc_lo
	s_delay_alu instid0(VALU_DEP_2) | instskip(NEXT) | instid1(VALU_DEP_2)
	v_add_co_u32 v0, vcc_lo, v0, v2
	v_add_co_ci_u32_e32 v1, vcc_lo, 0, v1, vcc_lo
	global_load_b128 v[0:3], v[0:1], off
	s_waitcnt vmcnt(0)
	v_dual_max_f32 v10, v0, v0 :: v_dual_add_nc_u32 v5, 4, v5
	s_delay_alu instid0(VALU_DEP_1) | instskip(SKIP_2) | instid1(VALU_DEP_2)
	v_cmp_lt_i32_e32 vcc_lo, v6, v5
	v_dual_cndmask_b32 v6, v4, v6 :: v_dual_max_f32 v7, v1, v1
	v_cmp_lt_i32_e32 vcc_lo, v11, v5
	v_dual_max_f32 v7, v10, v7 :: v_dual_lshlrev_b32 v10, 2, v6
	v_cndmask_b32_e32 v4, v4, v11, vcc_lo
	s_delay_alu instid0(VALU_DEP_2) | instskip(SKIP_3) | instid1(VALU_DEP_1)
	v_max3_f32 v6, v7, v2, v3
	ds_bpermute_b32 v7, v10, v6
	s_waitcnt lgkmcnt(0)
	v_max_f32_e32 v5, v7, v7
	v_dual_max_f32 v4, v6, v5 :: v_dual_lshlrev_b32 v11, 2, v4
	ds_bpermute_b32 v5, v11, v4
	s_waitcnt lgkmcnt(0)
	v_max_f32_e32 v5, v5, v5
	s_delay_alu instid0(VALU_DEP_1) | instskip(NEXT) | instid1(VALU_DEP_1)
	v_max_f32_e32 v4, v4, v5
	v_sub_f32_e32 v3, v3, v4
	s_delay_alu instid0(VALU_DEP_1) | instskip(SKIP_2) | instid1(VALU_DEP_3)
	v_dual_mul_f32 v7, 0x3fb8aa3b, v3 :: v_dual_sub_f32 v0, v0, v4
	v_sub_f32_e32 v1, v1, v4
	v_sub_f32_e32 v2, v2, v4
	v_rndne_f32_e32 v19, v7
	s_delay_alu instid0(VALU_DEP_4) | instskip(SKIP_1) | instid1(VALU_DEP_4)
	v_mul_f32_e32 v4, 0x3fb8aa3b, v0
	v_cmp_ngt_f32_e32 vcc_lo, 0xc2ce8ed0, v0
	v_mul_f32_e32 v6, 0x3fb8aa3b, v2
	s_delay_alu instid0(VALU_DEP_3) | instskip(SKIP_1) | instid1(VALU_DEP_3)
	v_rndne_f32_e32 v13, v4
	v_fma_f32 v12, 0x3fb8aa3b, v0, -v4
	v_fma_f32 v16, 0x3fb8aa3b, v2, -v6
	v_rndne_f32_e32 v17, v6
	s_delay_alu instid0(VALU_DEP_4) | instskip(SKIP_1) | instid1(VALU_DEP_4)
	v_sub_f32_e32 v4, v4, v13
	v_mul_f32_e32 v5, 0x3fb8aa3b, v1
	v_fmac_f32_e32 v16, 0x32a5705f, v2
	s_delay_alu instid0(VALU_DEP_2) | instskip(SKIP_2) | instid1(VALU_DEP_2)
	v_fma_f32 v14, 0x3fb8aa3b, v1, -v5
	v_rndne_f32_e32 v15, v5
	v_fmac_f32_e32 v12, 0x32a5705f, v0
	v_dual_fmac_f32 v14, 0x32a5705f, v1 :: v_dual_sub_f32 v5, v5, v15
	v_fma_f32 v18, 0x3fb8aa3b, v3, -v7
	s_delay_alu instid0(VALU_DEP_3) | instskip(NEXT) | instid1(VALU_DEP_3)
	v_dual_sub_f32 v7, v7, v19 :: v_dual_add_f32 v4, v4, v12
	v_dual_sub_f32 v6, v6, v17 :: v_dual_add_f32 v5, v5, v14
	v_cvt_i32_f32_e32 v12, v13
	v_cvt_i32_f32_e32 v13, v15
	s_delay_alu instid0(VALU_DEP_4)
	v_exp_f32_e32 v4, v4
	v_cvt_i32_f32_e32 v14, v17
	v_exp_f32_e32 v5, v5
	v_cvt_i32_f32_e32 v15, v19
	s_waitcnt_depctr 0xfff
	v_ldexp_f32 v4, v4, v12
	v_ldexp_f32 v5, v5, v13
	s_delay_alu instid0(VALU_DEP_2) | instskip(SKIP_1) | instid1(VALU_DEP_3)
	v_cndmask_b32_e32 v4, 0, v4, vcc_lo
	v_cmp_ngt_f32_e32 vcc_lo, 0xc2ce8ed0, v1
	v_dual_fmac_f32 v18, 0x32a5705f, v3 :: v_dual_cndmask_b32 v5, 0, v5
	s_delay_alu instid0(VALU_DEP_1) | instskip(SKIP_1) | instid1(VALU_DEP_2)
	v_dual_add_f32 v6, v6, v16 :: v_dual_add_f32 v7, v7, v18
	v_cmp_ngt_f32_e32 vcc_lo, 0xc2ce8ed0, v2
	v_exp_f32_e32 v6, v6
	s_delay_alu instid0(VALU_DEP_2) | instskip(SKIP_3) | instid1(VALU_DEP_2)
	v_exp_f32_e32 v7, v7
	s_waitcnt_depctr 0xfff
	v_ldexp_f32 v6, v6, v14
	v_ldexp_f32 v7, v7, v15
	v_cndmask_b32_e32 v6, 0, v6, vcc_lo
	v_cmp_nlt_f32_e32 vcc_lo, 0x42b17218, v0
	v_cndmask_b32_e32 v0, 0x7f800000, v4, vcc_lo
	v_cmp_nlt_f32_e32 vcc_lo, 0x42b17218, v1
	v_cndmask_b32_e32 v1, 0x7f800000, v5, vcc_lo
	v_cmp_ngt_f32_e32 vcc_lo, 0xc2ce8ed0, v3
	s_delay_alu instid0(VALU_DEP_2) | instskip(SKIP_3) | instid1(VALU_DEP_2)
	v_dual_add_f32 v5, v0, v1 :: v_dual_cndmask_b32 v4, 0, v7
	v_cmp_nlt_f32_e32 vcc_lo, 0x42b17218, v2
	v_cndmask_b32_e32 v2, 0x7f800000, v6, vcc_lo
	v_cmp_nlt_f32_e32 vcc_lo, 0x42b17218, v3
	v_dual_cndmask_b32 v3, 0x7f800000, v4 :: v_dual_add_f32 v4, v5, v2
	s_delay_alu instid0(VALU_DEP_1)
	v_add_f32_e32 v4, v4, v3
	ds_bpermute_b32 v5, v10, v4
	s_waitcnt lgkmcnt(0)
	v_add_f32_e32 v4, v4, v5
	ds_bpermute_b32 v5, v11, v4
	s_waitcnt lgkmcnt(0)
	v_add_f32_e32 v4, v4, v5
	s_delay_alu instid0(VALU_DEP_1) | instskip(SKIP_1) | instid1(VALU_DEP_2)
	v_div_scale_f32 v5, null, v4, v4, 1.0
	v_div_scale_f32 v12, vcc_lo, 1.0, v4, 1.0
	v_rcp_f32_e32 v6, v5
	s_waitcnt_depctr 0xfff
	v_fma_f32 v7, -v5, v6, 1.0
	s_delay_alu instid0(VALU_DEP_1) | instskip(NEXT) | instid1(VALU_DEP_1)
	v_fmac_f32_e32 v6, v7, v6
	v_mul_f32_e32 v7, v12, v6
	s_delay_alu instid0(VALU_DEP_1) | instskip(NEXT) | instid1(VALU_DEP_1)
	v_fma_f32 v13, -v5, v7, v12
	v_fmac_f32_e32 v7, v13, v6
	s_delay_alu instid0(VALU_DEP_1) | instskip(SKIP_1) | instid1(VALU_DEP_2)
	v_fma_f32 v5, -v5, v7, v12
	v_lshlrev_b32_e32 v12, 2, v9
	v_div_fmas_f32 v5, v5, v6, v7
	s_delay_alu instid0(VALU_DEP_1) | instskip(NEXT) | instid1(VALU_DEP_1)
	v_div_fixup_f32 v4, v5, v4, 1.0
	v_mul_f32_e32 v0, v4, v0
	v_mul_f32_e32 v1, v4, v1
	;; [unrolled: 1-line block ×4, first 2 shown]
	s_delay_alu instid0(VALU_DEP_4)
	v_cmp_class_f32_e64 vcc_lo, v0, 0x1f8
	v_cndmask_b32_e32 v0, 0, v0, vcc_lo
	v_cmp_class_f32_e64 vcc_lo, v1, 0x1f8
	v_cndmask_b32_e32 v1, 0, v1, vcc_lo
	;; [unrolled: 2-line block ×4, first 2 shown]
	s_cbranch_scc1 .LBB8_23
; %bb.4:
	v_lshlrev_b32_e32 v4, 2, v12
	global_load_b128 v[4:7], v4, s[2:3]
	s_waitcnt vmcnt(0)
	v_dual_add_f32 v5, v5, v1 :: v_dual_add_f32 v4, v4, v0
	v_dual_add_f32 v7, v7, v3 :: v_dual_add_f32 v6, v6, v2
	s_cbranch_execnz .LBB8_6
.LBB8_5:
	v_dual_mov_b32 v7, v3 :: v_dual_mov_b32 v6, v2
	v_dual_mov_b32 v5, v1 :: v_dual_mov_b32 v4, v0
.LBB8_6:
	s_load_b128 s[4:7], s[0:1], 0x30
	v_cmp_eq_u32_e64 s2, 0, v9
	s_waitcnt lgkmcnt(0)
	s_bitcmp1_b32 s7, 0
	s_mov_b32 s7, 0
	s_cselect_b32 vcc_lo, -1, 0
	s_cmp_gt_i32 s4, 0
	s_cselect_b32 s3, -1, 0
	s_cmp_lt_i32 s4, 1
	s_cbranch_scc1 .LBB8_24
; %bb.7:
	s_load_b128 s[8:11], s[0:1], 0x20
	v_mul_lo_u32 v14, v8, s4
	v_mov_b32_e32 v13, 0
	v_mov_b32_e32 v15, v8
	s_branch .LBB8_10
.LBB8_8:                                ;   in Loop: Header=BB8_10 Depth=1
	s_or_b32 exec_lo, exec_lo, s1
.LBB8_9:                                ;   in Loop: Header=BB8_10 Depth=1
	v_add_nc_u32_e32 v15, s14, v15
	s_cmp_eq_u32 s4, s7
	s_cbranch_scc1 .LBB8_25
.LBB8_10:                               ; =>This Inner Loop Header: Depth=1
	v_cmp_gt_f32_e64 s0, v5, v4
	s_mov_b32 s17, exec_lo
	s_delay_alu instid0(VALU_DEP_1) | instskip(SKIP_2) | instid1(VALU_DEP_3)
	v_cndmask_b32_e64 v16, v4, v5, s0
	v_cndmask_b32_e64 v17, 0, 1, s0
	;; [unrolled: 1-line block ×3, first 2 shown]
	v_cmp_gt_f32_e64 s1, v6, v16
	s_delay_alu instid0(VALU_DEP_1) | instskip(NEXT) | instid1(VALU_DEP_4)
	v_cndmask_b32_e64 v16, v16, v6, s1
	v_cndmask_b32_e64 v17, v17, 2, s1
	s_waitcnt lgkmcnt(0)
	v_cndmask_b32_e64 v19, v18, v2, s1
	s_delay_alu instid0(VALU_DEP_3) | instskip(NEXT) | instid1(VALU_DEP_1)
	v_cmp_gt_f32_e64 s0, v7, v16
	v_cndmask_b32_e64 v18, v16, v7, s0
	v_cndmask_b32_e64 v16, v17, 3, s0
	s_delay_alu instid0(VALU_DEP_4)
	v_cndmask_b32_e64 v17, v19, v3, s0
	ds_bpermute_b32 v19, v10, v18
	v_or_b32_e32 v16, v12, v16
	ds_bpermute_b32 v21, v10, v17
	ds_bpermute_b32 v20, v10, v16
	s_waitcnt lgkmcnt(0)
	v_cmp_lt_f32_e64 s16, v18, v19
	v_cmpx_nlt_f32_e32 v18, v19
; %bb.11:                               ;   in Loop: Header=BB8_10 Depth=1
	v_cmp_eq_f32_e64 s0, v18, v19
	v_cmp_lt_i32_e64 s1, v20, v16
	s_delay_alu instid0(VALU_DEP_1) | instskip(SKIP_2) | instid1(SALU_CYCLE_1)
	s_and_b32 s0, s0, s1
	s_and_not1_b32 s1, s16, exec_lo
	s_and_b32 s0, s0, exec_lo
	s_or_b32 s16, s1, s0
; %bb.12:                               ;   in Loop: Header=BB8_10 Depth=1
	s_or_b32 exec_lo, exec_lo, s17
	s_and_saveexec_b32 s0, s16
; %bb.13:                               ;   in Loop: Header=BB8_10 Depth=1
	v_dual_mov_b32 v17, v21 :: v_dual_mov_b32 v18, v19
	v_mov_b32_e32 v16, v20
; %bb.14:                               ;   in Loop: Header=BB8_10 Depth=1
	s_or_b32 exec_lo, exec_lo, s0
	ds_bpermute_b32 v21, v11, v18
	ds_bpermute_b32 v20, v11, v17
	ds_bpermute_b32 v19, v11, v16
	s_mov_b32 s17, exec_lo
	s_waitcnt lgkmcnt(2)
	v_cmp_lt_f32_e64 s16, v18, v21
	v_cmpx_nlt_f32_e32 v18, v21
	s_cbranch_execnz .LBB8_18
; %bb.15:                               ;   in Loop: Header=BB8_10 Depth=1
	s_or_b32 exec_lo, exec_lo, s17
	s_delay_alu instid0(VALU_DEP_2)
	s_and_saveexec_b32 s0, s16
	s_cbranch_execnz .LBB8_19
.LBB8_16:                               ;   in Loop: Header=BB8_10 Depth=1
	s_or_b32 exec_lo, exec_lo, s0
	s_and_saveexec_b32 s16, s2
	s_cbranch_execnz .LBB8_20
.LBB8_17:                               ;   in Loop: Header=BB8_10 Depth=1
	s_or_b32 exec_lo, exec_lo, s16
	s_add_i32 s7, s7, 1
	s_delay_alu instid0(SALU_CYCLE_1)
	s_cmp_ge_i32 s7, s4
	s_cbranch_scc1 .LBB8_9
	s_branch .LBB8_21
.LBB8_18:                               ;   in Loop: Header=BB8_10 Depth=1
	v_cmp_eq_f32_e64 s0, v18, v21
	s_waitcnt lgkmcnt(0)
	v_cmp_lt_i32_e64 s1, v19, v16
	s_delay_alu instid0(VALU_DEP_1) | instskip(SKIP_2) | instid1(SALU_CYCLE_1)
	s_and_b32 s0, s0, s1
	s_and_not1_b32 s1, s16, exec_lo
	s_and_b32 s0, s0, exec_lo
	s_or_b32 s16, s1, s0
	s_or_b32 exec_lo, exec_lo, s17
	s_and_saveexec_b32 s0, s16
	s_cbranch_execz .LBB8_16
.LBB8_19:                               ;   in Loop: Header=BB8_10 Depth=1
	s_waitcnt lgkmcnt(0)
	v_dual_mov_b32 v17, v20 :: v_dual_mov_b32 v16, v19
	s_or_b32 exec_lo, exec_lo, s0
	s_and_saveexec_b32 s16, s2
	s_cbranch_execz .LBB8_17
.LBB8_20:                               ;   in Loop: Header=BB8_10 Depth=1
	s_delay_alu instid0(VALU_DEP_1)
	v_dual_add_f32 v25, v13, v17 :: v_dual_add_nc_u32 v18, s7, v14
	v_cmp_le_i32_e64 s0, s5, v16
	v_cmp_gt_i32_e64 s1, s6, v16
	s_waitcnt lgkmcnt(1)
	v_subrev_nc_u32_e32 v20, s5, v16
	s_waitcnt lgkmcnt(0)
	v_ashrrev_i32_e32 v19, 31, v18
	v_cndmask_b32_e32 v13, v13, v25, vcc_lo
	s_and_b32 s0, s0, s1
	s_delay_alu instid0(SALU_CYCLE_1) | instskip(NEXT) | instid1(VALU_DEP_2)
	s_and_b32 s0, s15, s0
	v_lshlrev_b64 v[18:19], 2, v[18:19]
	v_cndmask_b32_e64 v24, 16, v20, s0
	s_delay_alu instid0(VALU_DEP_2) | instskip(NEXT) | instid1(VALU_DEP_1)
	v_add_co_u32 v20, s0, s12, v18
	v_add_co_ci_u32_e64 v21, s0, s13, v19, s0
	v_add_co_u32 v22, s0, s8, v18
	s_delay_alu instid0(VALU_DEP_1) | instskip(SKIP_1) | instid1(VALU_DEP_1)
	v_add_co_ci_u32_e64 v23, s0, s9, v19, s0
	v_add_co_u32 v18, s0, s10, v18
	v_add_co_ci_u32_e64 v19, s0, s11, v19, s0
	global_store_b32 v[20:21], v17, off
	global_store_b32 v[22:23], v24, off
	;; [unrolled: 1-line block ×3, first 2 shown]
	s_or_b32 exec_lo, exec_lo, s16
	s_add_i32 s7, s7, 1
	s_delay_alu instid0(SALU_CYCLE_1)
	s_cmp_ge_i32 s7, s4
	s_cbranch_scc1 .LBB8_9
.LBB8_21:                               ;   in Loop: Header=BB8_10 Depth=1
	v_ashrrev_i32_e32 v18, 31, v16
	s_mov_b32 s1, exec_lo
	s_delay_alu instid0(VALU_DEP_1) | instskip(NEXT) | instid1(VALU_DEP_1)
	v_lshrrev_b32_e32 v17, 30, v18
	v_add_nc_u32_e32 v17, v16, v17
	s_delay_alu instid0(VALU_DEP_1) | instskip(SKIP_1) | instid1(VALU_DEP_1)
	v_ashrrev_i32_e32 v17, 2, v17
	s_waitcnt lgkmcnt(0)
	v_lshrrev_b32_e32 v19, 30, v17
	s_delay_alu instid0(VALU_DEP_1) | instskip(NEXT) | instid1(VALU_DEP_1)
	v_add_nc_u32_e32 v19, v17, v19
	v_and_b32_e32 v19, -4, v19
	s_delay_alu instid0(VALU_DEP_1) | instskip(NEXT) | instid1(VALU_DEP_1)
	v_sub_nc_u32_e32 v19, v17, v19
	v_cmpx_eq_u32_e64 v9, v19
	s_cbranch_execz .LBB8_8
; %bb.22:                               ;   in Loop: Header=BB8_10 Depth=1
	v_lshrrev_b32_e32 v18, 28, v18
	v_lshlrev_b32_e32 v17, 2, v17
	s_delay_alu instid0(VALU_DEP_2) | instskip(NEXT) | instid1(VALU_DEP_2)
	v_add_nc_u32_e32 v18, v16, v18
	v_sub_nc_u32_e32 v16, v16, v17
	s_delay_alu instid0(VALU_DEP_2) | instskip(NEXT) | instid1(VALU_DEP_1)
	v_ashrrev_i32_e32 v17, 4, v18
	v_lshl_add_u32 v16, v17, 2, v16
	s_delay_alu instid0(VALU_DEP_1) | instskip(NEXT) | instid1(VALU_DEP_1)
	v_cmp_ne_u32_e64 s0, 3, v16
	v_cndmask_b32_e64 v7, 0xc61c4000, v7, s0
	v_cmp_ne_u32_e64 s0, 2, v16
	s_delay_alu instid0(VALU_DEP_1) | instskip(SKIP_1) | instid1(VALU_DEP_1)
	v_cndmask_b32_e64 v6, 0xc61c4000, v6, s0
	v_cmp_ne_u32_e64 s0, 1, v16
	v_cndmask_b32_e64 v5, 0xc61c4000, v5, s0
	v_cmp_ne_u32_e64 s0, 0, v16
	s_delay_alu instid0(VALU_DEP_1)
	v_cndmask_b32_e64 v4, 0xc61c4000, v4, s0
	s_branch .LBB8_8
.LBB8_23:
                                        ; implicit-def: $vgpr4_vgpr5_vgpr6_vgpr7
	s_and_not1_b32 vcc_lo, exec_lo, s8
	s_cbranch_vccz .LBB8_5
	s_branch .LBB8_6
.LBB8_24:
	v_mov_b32_e32 v13, 0
.LBB8_25:
	v_cmp_eq_u32_e64 s0, 0, v9
	s_delay_alu instid0(VALU_DEP_1) | instskip(NEXT) | instid1(SALU_CYCLE_1)
	s_and_b32 s0, s0, vcc_lo
	s_and_b32 exec_lo, exec_lo, s0
	s_cbranch_execz .LBB8_29
; %bb.26:
	s_and_not1_b32 vcc_lo, exec_lo, s3
	s_cbranch_vccnz .LBB8_29
; %bb.27:
	v_mul_lo_u32 v0, v8, s4
	v_cmp_lt_f32_e32 vcc_lo, 0, v13
	v_cndmask_b32_e32 v2, 1.0, v13, vcc_lo
	s_delay_alu instid0(VALU_DEP_3) | instskip(NEXT) | instid1(VALU_DEP_1)
	v_ashrrev_i32_e32 v1, 31, v0
	v_lshlrev_b64 v[0:1], 2, v[0:1]
	s_delay_alu instid0(VALU_DEP_1) | instskip(NEXT) | instid1(VALU_DEP_2)
	v_add_co_u32 v0, vcc_lo, s12, v0
	v_add_co_ci_u32_e32 v1, vcc_lo, s13, v1, vcc_lo
	.p2align	6
.LBB8_28:                               ; =>This Inner Loop Header: Depth=1
	global_load_b32 v3, v[0:1], off
	s_add_i32 s4, s4, -1
	s_delay_alu instid0(SALU_CYCLE_1) | instskip(SKIP_3) | instid1(VALU_DEP_2)
	s_cmp_lg_u32 s4, 0
	s_waitcnt vmcnt(0)
	v_div_scale_f32 v4, null, v2, v2, v3
	v_div_scale_f32 v7, vcc_lo, v3, v2, v3
	v_rcp_f32_e32 v5, v4
	s_waitcnt_depctr 0xfff
	v_fma_f32 v6, -v4, v5, 1.0
	s_delay_alu instid0(VALU_DEP_1) | instskip(NEXT) | instid1(VALU_DEP_1)
	v_fmac_f32_e32 v5, v6, v5
	v_mul_f32_e32 v6, v7, v5
	s_delay_alu instid0(VALU_DEP_1) | instskip(NEXT) | instid1(VALU_DEP_1)
	v_fma_f32 v8, -v4, v6, v7
	v_fmac_f32_e32 v6, v8, v5
	s_delay_alu instid0(VALU_DEP_1) | instskip(NEXT) | instid1(VALU_DEP_1)
	v_fma_f32 v4, -v4, v6, v7
	v_div_fmas_f32 v4, v4, v5, v6
	s_delay_alu instid0(VALU_DEP_1)
	v_div_fixup_f32 v3, v4, v2, v3
	global_store_b32 v[0:1], v3, off
	v_add_co_u32 v0, vcc_lo, v0, 4
	v_add_co_ci_u32_e32 v1, vcc_lo, 0, v1, vcc_lo
	s_cbranch_scc1 .LBB8_28
.LBB8_29:
	s_nop 0
	s_sendmsg sendmsg(MSG_DEALLOC_VGPRS)
	s_endpgm
	.section	.rodata,"a",@progbits
	.p2align	6, 0x0
	.amdhsa_kernel _ZN4vllm3moe10topkGatingILi4ELi16ELi4ELi16ELi64EifLNS0_11ScoringFuncE0EEEvPKT5_PKbPfiPT4_PiiiibPKf
		.amdhsa_group_segment_fixed_size 0
		.amdhsa_private_segment_fixed_size 0
		.amdhsa_kernarg_size 72
		.amdhsa_user_sgpr_count 15
		.amdhsa_user_sgpr_dispatch_ptr 0
		.amdhsa_user_sgpr_queue_ptr 0
		.amdhsa_user_sgpr_kernarg_segment_ptr 1
		.amdhsa_user_sgpr_dispatch_id 0
		.amdhsa_user_sgpr_private_segment_size 0
		.amdhsa_wavefront_size32 1
		.amdhsa_uses_dynamic_stack 0
		.amdhsa_enable_private_segment 0
		.amdhsa_system_sgpr_workgroup_id_x 1
		.amdhsa_system_sgpr_workgroup_id_y 0
		.amdhsa_system_sgpr_workgroup_id_z 0
		.amdhsa_system_sgpr_workgroup_info 0
		.amdhsa_system_vgpr_workitem_id 1
		.amdhsa_next_free_vgpr 26
		.amdhsa_next_free_sgpr 18
		.amdhsa_reserve_vcc 1
		.amdhsa_float_round_mode_32 0
		.amdhsa_float_round_mode_16_64 0
		.amdhsa_float_denorm_mode_32 3
		.amdhsa_float_denorm_mode_16_64 3
		.amdhsa_dx10_clamp 1
		.amdhsa_ieee_mode 1
		.amdhsa_fp16_overflow 0
		.amdhsa_workgroup_processor_mode 1
		.amdhsa_memory_ordered 1
		.amdhsa_forward_progress 0
		.amdhsa_shared_vgpr_count 0
		.amdhsa_exception_fp_ieee_invalid_op 0
		.amdhsa_exception_fp_denorm_src 0
		.amdhsa_exception_fp_ieee_div_zero 0
		.amdhsa_exception_fp_ieee_overflow 0
		.amdhsa_exception_fp_ieee_underflow 0
		.amdhsa_exception_fp_ieee_inexact 0
		.amdhsa_exception_int_div_zero 0
	.end_amdhsa_kernel
	.section	.text._ZN4vllm3moe10topkGatingILi4ELi16ELi4ELi16ELi64EifLNS0_11ScoringFuncE0EEEvPKT5_PKbPfiPT4_PiiiibPKf,"axG",@progbits,_ZN4vllm3moe10topkGatingILi4ELi16ELi4ELi16ELi64EifLNS0_11ScoringFuncE0EEEvPKT5_PKbPfiPT4_PiiiibPKf,comdat
.Lfunc_end8:
	.size	_ZN4vllm3moe10topkGatingILi4ELi16ELi4ELi16ELi64EifLNS0_11ScoringFuncE0EEEvPKT5_PKbPfiPT4_PiiiibPKf, .Lfunc_end8-_ZN4vllm3moe10topkGatingILi4ELi16ELi4ELi16ELi64EifLNS0_11ScoringFuncE0EEEvPKT5_PKbPfiPT4_PiiiibPKf
                                        ; -- End function
	.section	.AMDGPU.csdata,"",@progbits
; Kernel info:
; codeLenInByte = 2184
; NumSgprs: 20
; NumVgprs: 26
; ScratchSize: 0
; MemoryBound: 0
; FloatMode: 240
; IeeeMode: 1
; LDSByteSize: 0 bytes/workgroup (compile time only)
; SGPRBlocks: 2
; VGPRBlocks: 3
; NumSGPRsForWavesPerEU: 20
; NumVGPRsForWavesPerEU: 26
; Occupancy: 16
; WaveLimiterHint : 0
; COMPUTE_PGM_RSRC2:SCRATCH_EN: 0
; COMPUTE_PGM_RSRC2:USER_SGPR: 15
; COMPUTE_PGM_RSRC2:TRAP_HANDLER: 0
; COMPUTE_PGM_RSRC2:TGID_X_EN: 1
; COMPUTE_PGM_RSRC2:TGID_Y_EN: 0
; COMPUTE_PGM_RSRC2:TGID_Z_EN: 0
; COMPUTE_PGM_RSRC2:TIDIG_COMP_CNT: 1
	.section	.text._ZN4vllm3moe10topkGatingILi4ELi16ELi4ELi16ELi32EifLNS0_11ScoringFuncE0EEEvPKT5_PKbPfiPT4_PiiiibPKf,"axG",@progbits,_ZN4vllm3moe10topkGatingILi4ELi16ELi4ELi16ELi32EifLNS0_11ScoringFuncE0EEEvPKT5_PKbPfiPT4_PiiiibPKf,comdat
	.protected	_ZN4vllm3moe10topkGatingILi4ELi16ELi4ELi16ELi32EifLNS0_11ScoringFuncE0EEEvPKT5_PKbPfiPT4_PiiiibPKf ; -- Begin function _ZN4vllm3moe10topkGatingILi4ELi16ELi4ELi16ELi32EifLNS0_11ScoringFuncE0EEEvPKT5_PKbPfiPT4_PiiiibPKf
	.globl	_ZN4vllm3moe10topkGatingILi4ELi16ELi4ELi16ELi32EifLNS0_11ScoringFuncE0EEEvPKT5_PKbPfiPT4_PiiiibPKf
	.p2align	8
	.type	_ZN4vllm3moe10topkGatingILi4ELi16ELi4ELi16ELi32EifLNS0_11ScoringFuncE0EEEvPKT5_PKbPfiPT4_PiiiibPKf,@function
_ZN4vllm3moe10topkGatingILi4ELi16ELi4ELi16ELi32EifLNS0_11ScoringFuncE0EEEvPKT5_PKbPfiPT4_PiiiibPKf: ; @_ZN4vllm3moe10topkGatingILi4ELi16ELi4ELi16ELi32EifLNS0_11ScoringFuncE0EEEvPKT5_PKbPfiPT4_PiiiibPKf
; %bb.0:
	s_load_b32 s14, s[0:1], 0x18
	v_bfe_u32 v1, v0, 10, 10
	v_and_b32_e32 v0, 0x3ff, v0
	s_lshl_b32 s2, s15, 5
	s_delay_alu instid0(VALU_DEP_2) | instskip(NEXT) | instid1(VALU_DEP_2)
	v_lshlrev_b32_e32 v1, 3, v1
	v_lshrrev_b32_e32 v2, 2, v0
	s_delay_alu instid0(VALU_DEP_1) | instskip(SKIP_2) | instid1(VALU_DEP_1)
	v_add3_u32 v8, s2, v1, v2
	s_mov_b32 s2, exec_lo
	s_waitcnt lgkmcnt(0)
	v_cmpx_gt_i32_e64 s14, v8
	s_cbranch_execz .LBB9_29
; %bb.1:
	s_clause 0x1
	s_load_b128 s[4:7], s[0:1], 0x0
	s_load_b64 s[12:13], s[0:1], 0x10
	s_mov_b32 s8, -1
	s_mov_b32 s15, -1
	s_waitcnt lgkmcnt(0)
	s_cmp_eq_u64 s[6:7], 0
	s_cbranch_scc1 .LBB9_3
; %bb.2:
	v_ashrrev_i32_e32 v2, 31, v8
	v_add_co_u32 v1, vcc_lo, s6, v8
	s_delay_alu instid0(VALU_DEP_2) | instskip(SKIP_3) | instid1(VALU_DEP_1)
	v_add_co_ci_u32_e32 v2, vcc_lo, s7, v2, vcc_lo
	global_load_u8 v1, v[1:2], off
	s_waitcnt vmcnt(0)
	v_and_b32_e32 v1, 1, v1
	v_cmp_eq_u32_e32 vcc_lo, 1, v1
	s_xor_b32 s2, vcc_lo, -1
	s_delay_alu instid0(SALU_CYCLE_1)
	s_or_not1_b32 s15, s2, exec_lo
.LBB9_3:
	v_mbcnt_lo_u32_b32 v4, -1, 0
	s_load_b64 s[2:3], s[0:1], 0x40
	s_delay_alu instid0(VALU_DEP_1) | instskip(SKIP_4) | instid1(VALU_DEP_4)
	v_xor_b32_e32 v6, 2, v4
	v_lshlrev_b32_e32 v1, 4, v8
	v_xor_b32_e32 v11, 1, v4
	v_and_b32_e32 v9, 3, v0
	v_and_b32_e32 v5, 28, v4
	v_ashrrev_i32_e32 v2, 31, v1
	s_delay_alu instid0(VALU_DEP_1) | instskip(NEXT) | instid1(VALU_DEP_4)
	v_lshlrev_b64 v[0:1], 2, v[1:2]
	v_lshlrev_b32_e32 v2, 4, v9
	s_waitcnt lgkmcnt(0)
	s_cmp_eq_u64 s[2:3], 0
	s_delay_alu instid0(VALU_DEP_2) | instskip(NEXT) | instid1(VALU_DEP_3)
	v_add_co_u32 v0, vcc_lo, s4, v0
	v_add_co_ci_u32_e32 v1, vcc_lo, s5, v1, vcc_lo
	s_delay_alu instid0(VALU_DEP_2) | instskip(NEXT) | instid1(VALU_DEP_2)
	v_add_co_u32 v0, vcc_lo, v0, v2
	v_add_co_ci_u32_e32 v1, vcc_lo, 0, v1, vcc_lo
	global_load_b128 v[0:3], v[0:1], off
	s_waitcnt vmcnt(0)
	v_dual_max_f32 v10, v0, v0 :: v_dual_add_nc_u32 v5, 4, v5
	s_delay_alu instid0(VALU_DEP_1) | instskip(SKIP_2) | instid1(VALU_DEP_2)
	v_cmp_lt_i32_e32 vcc_lo, v6, v5
	v_dual_cndmask_b32 v6, v4, v6 :: v_dual_max_f32 v7, v1, v1
	v_cmp_lt_i32_e32 vcc_lo, v11, v5
	v_dual_max_f32 v7, v10, v7 :: v_dual_lshlrev_b32 v10, 2, v6
	v_cndmask_b32_e32 v4, v4, v11, vcc_lo
	s_delay_alu instid0(VALU_DEP_2) | instskip(SKIP_3) | instid1(VALU_DEP_1)
	v_max3_f32 v6, v7, v2, v3
	ds_bpermute_b32 v7, v10, v6
	s_waitcnt lgkmcnt(0)
	v_max_f32_e32 v5, v7, v7
	v_dual_max_f32 v4, v6, v5 :: v_dual_lshlrev_b32 v11, 2, v4
	ds_bpermute_b32 v5, v11, v4
	s_waitcnt lgkmcnt(0)
	v_max_f32_e32 v5, v5, v5
	s_delay_alu instid0(VALU_DEP_1) | instskip(NEXT) | instid1(VALU_DEP_1)
	v_max_f32_e32 v4, v4, v5
	v_sub_f32_e32 v3, v3, v4
	s_delay_alu instid0(VALU_DEP_1) | instskip(SKIP_2) | instid1(VALU_DEP_3)
	v_dual_mul_f32 v7, 0x3fb8aa3b, v3 :: v_dual_sub_f32 v0, v0, v4
	v_sub_f32_e32 v1, v1, v4
	v_sub_f32_e32 v2, v2, v4
	v_rndne_f32_e32 v19, v7
	s_delay_alu instid0(VALU_DEP_4) | instskip(SKIP_1) | instid1(VALU_DEP_4)
	v_mul_f32_e32 v4, 0x3fb8aa3b, v0
	v_cmp_ngt_f32_e32 vcc_lo, 0xc2ce8ed0, v0
	v_mul_f32_e32 v6, 0x3fb8aa3b, v2
	s_delay_alu instid0(VALU_DEP_3) | instskip(SKIP_1) | instid1(VALU_DEP_3)
	v_rndne_f32_e32 v13, v4
	v_fma_f32 v12, 0x3fb8aa3b, v0, -v4
	v_fma_f32 v16, 0x3fb8aa3b, v2, -v6
	v_rndne_f32_e32 v17, v6
	s_delay_alu instid0(VALU_DEP_4) | instskip(SKIP_1) | instid1(VALU_DEP_4)
	v_sub_f32_e32 v4, v4, v13
	v_mul_f32_e32 v5, 0x3fb8aa3b, v1
	v_fmac_f32_e32 v16, 0x32a5705f, v2
	s_delay_alu instid0(VALU_DEP_2) | instskip(SKIP_2) | instid1(VALU_DEP_2)
	v_fma_f32 v14, 0x3fb8aa3b, v1, -v5
	v_rndne_f32_e32 v15, v5
	v_fmac_f32_e32 v12, 0x32a5705f, v0
	v_dual_fmac_f32 v14, 0x32a5705f, v1 :: v_dual_sub_f32 v5, v5, v15
	v_fma_f32 v18, 0x3fb8aa3b, v3, -v7
	s_delay_alu instid0(VALU_DEP_3) | instskip(NEXT) | instid1(VALU_DEP_3)
	v_dual_sub_f32 v7, v7, v19 :: v_dual_add_f32 v4, v4, v12
	v_dual_sub_f32 v6, v6, v17 :: v_dual_add_f32 v5, v5, v14
	v_cvt_i32_f32_e32 v12, v13
	v_cvt_i32_f32_e32 v13, v15
	s_delay_alu instid0(VALU_DEP_4)
	v_exp_f32_e32 v4, v4
	v_cvt_i32_f32_e32 v14, v17
	v_exp_f32_e32 v5, v5
	v_cvt_i32_f32_e32 v15, v19
	s_waitcnt_depctr 0xfff
	v_ldexp_f32 v4, v4, v12
	v_ldexp_f32 v5, v5, v13
	s_delay_alu instid0(VALU_DEP_2) | instskip(SKIP_1) | instid1(VALU_DEP_3)
	v_cndmask_b32_e32 v4, 0, v4, vcc_lo
	v_cmp_ngt_f32_e32 vcc_lo, 0xc2ce8ed0, v1
	v_dual_fmac_f32 v18, 0x32a5705f, v3 :: v_dual_cndmask_b32 v5, 0, v5
	s_delay_alu instid0(VALU_DEP_1) | instskip(SKIP_1) | instid1(VALU_DEP_2)
	v_dual_add_f32 v6, v6, v16 :: v_dual_add_f32 v7, v7, v18
	v_cmp_ngt_f32_e32 vcc_lo, 0xc2ce8ed0, v2
	v_exp_f32_e32 v6, v6
	s_delay_alu instid0(VALU_DEP_2) | instskip(SKIP_3) | instid1(VALU_DEP_2)
	v_exp_f32_e32 v7, v7
	s_waitcnt_depctr 0xfff
	v_ldexp_f32 v6, v6, v14
	v_ldexp_f32 v7, v7, v15
	v_cndmask_b32_e32 v6, 0, v6, vcc_lo
	v_cmp_nlt_f32_e32 vcc_lo, 0x42b17218, v0
	v_cndmask_b32_e32 v0, 0x7f800000, v4, vcc_lo
	v_cmp_nlt_f32_e32 vcc_lo, 0x42b17218, v1
	v_cndmask_b32_e32 v1, 0x7f800000, v5, vcc_lo
	v_cmp_ngt_f32_e32 vcc_lo, 0xc2ce8ed0, v3
	s_delay_alu instid0(VALU_DEP_2) | instskip(SKIP_3) | instid1(VALU_DEP_2)
	v_dual_add_f32 v5, v0, v1 :: v_dual_cndmask_b32 v4, 0, v7
	v_cmp_nlt_f32_e32 vcc_lo, 0x42b17218, v2
	v_cndmask_b32_e32 v2, 0x7f800000, v6, vcc_lo
	v_cmp_nlt_f32_e32 vcc_lo, 0x42b17218, v3
	v_dual_cndmask_b32 v3, 0x7f800000, v4 :: v_dual_add_f32 v4, v5, v2
	s_delay_alu instid0(VALU_DEP_1)
	v_add_f32_e32 v4, v4, v3
	ds_bpermute_b32 v5, v10, v4
	s_waitcnt lgkmcnt(0)
	v_add_f32_e32 v4, v4, v5
	ds_bpermute_b32 v5, v11, v4
	s_waitcnt lgkmcnt(0)
	v_add_f32_e32 v4, v4, v5
	s_delay_alu instid0(VALU_DEP_1) | instskip(SKIP_1) | instid1(VALU_DEP_2)
	v_div_scale_f32 v5, null, v4, v4, 1.0
	v_div_scale_f32 v12, vcc_lo, 1.0, v4, 1.0
	v_rcp_f32_e32 v6, v5
	s_waitcnt_depctr 0xfff
	v_fma_f32 v7, -v5, v6, 1.0
	s_delay_alu instid0(VALU_DEP_1) | instskip(NEXT) | instid1(VALU_DEP_1)
	v_fmac_f32_e32 v6, v7, v6
	v_mul_f32_e32 v7, v12, v6
	s_delay_alu instid0(VALU_DEP_1) | instskip(NEXT) | instid1(VALU_DEP_1)
	v_fma_f32 v13, -v5, v7, v12
	v_fmac_f32_e32 v7, v13, v6
	s_delay_alu instid0(VALU_DEP_1) | instskip(SKIP_1) | instid1(VALU_DEP_2)
	v_fma_f32 v5, -v5, v7, v12
	v_lshlrev_b32_e32 v12, 2, v9
	v_div_fmas_f32 v5, v5, v6, v7
	s_delay_alu instid0(VALU_DEP_1) | instskip(NEXT) | instid1(VALU_DEP_1)
	v_div_fixup_f32 v4, v5, v4, 1.0
	v_mul_f32_e32 v0, v4, v0
	v_mul_f32_e32 v1, v4, v1
	;; [unrolled: 1-line block ×4, first 2 shown]
	s_delay_alu instid0(VALU_DEP_4)
	v_cmp_class_f32_e64 vcc_lo, v0, 0x1f8
	v_cndmask_b32_e32 v0, 0, v0, vcc_lo
	v_cmp_class_f32_e64 vcc_lo, v1, 0x1f8
	v_cndmask_b32_e32 v1, 0, v1, vcc_lo
	;; [unrolled: 2-line block ×4, first 2 shown]
	s_cbranch_scc1 .LBB9_23
; %bb.4:
	v_lshlrev_b32_e32 v4, 2, v12
	global_load_b128 v[4:7], v4, s[2:3]
	s_waitcnt vmcnt(0)
	v_dual_add_f32 v5, v5, v1 :: v_dual_add_f32 v4, v4, v0
	v_dual_add_f32 v7, v7, v3 :: v_dual_add_f32 v6, v6, v2
	s_cbranch_execnz .LBB9_6
.LBB9_5:
	v_dual_mov_b32 v7, v3 :: v_dual_mov_b32 v6, v2
	v_dual_mov_b32 v5, v1 :: v_dual_mov_b32 v4, v0
.LBB9_6:
	s_load_b128 s[4:7], s[0:1], 0x30
	v_cmp_eq_u32_e64 s2, 0, v9
	s_waitcnt lgkmcnt(0)
	s_bitcmp1_b32 s7, 0
	s_mov_b32 s7, 0
	s_cselect_b32 vcc_lo, -1, 0
	s_cmp_gt_i32 s4, 0
	s_cselect_b32 s3, -1, 0
	s_cmp_lt_i32 s4, 1
	s_cbranch_scc1 .LBB9_24
; %bb.7:
	s_load_b128 s[8:11], s[0:1], 0x20
	v_mul_lo_u32 v14, v8, s4
	v_mov_b32_e32 v13, 0
	v_mov_b32_e32 v15, v8
	s_branch .LBB9_10
.LBB9_8:                                ;   in Loop: Header=BB9_10 Depth=1
	s_or_b32 exec_lo, exec_lo, s1
.LBB9_9:                                ;   in Loop: Header=BB9_10 Depth=1
	v_add_nc_u32_e32 v15, s14, v15
	s_cmp_eq_u32 s4, s7
	s_cbranch_scc1 .LBB9_25
.LBB9_10:                               ; =>This Inner Loop Header: Depth=1
	v_cmp_gt_f32_e64 s0, v5, v4
	s_mov_b32 s17, exec_lo
	s_delay_alu instid0(VALU_DEP_1) | instskip(SKIP_2) | instid1(VALU_DEP_3)
	v_cndmask_b32_e64 v16, v4, v5, s0
	v_cndmask_b32_e64 v17, 0, 1, s0
	v_cndmask_b32_e64 v18, v0, v1, s0
	v_cmp_gt_f32_e64 s1, v6, v16
	s_delay_alu instid0(VALU_DEP_1) | instskip(NEXT) | instid1(VALU_DEP_4)
	v_cndmask_b32_e64 v16, v16, v6, s1
	v_cndmask_b32_e64 v17, v17, 2, s1
	s_waitcnt lgkmcnt(0)
	v_cndmask_b32_e64 v19, v18, v2, s1
	s_delay_alu instid0(VALU_DEP_3) | instskip(NEXT) | instid1(VALU_DEP_1)
	v_cmp_gt_f32_e64 s0, v7, v16
	v_cndmask_b32_e64 v18, v16, v7, s0
	v_cndmask_b32_e64 v16, v17, 3, s0
	s_delay_alu instid0(VALU_DEP_4)
	v_cndmask_b32_e64 v17, v19, v3, s0
	ds_bpermute_b32 v19, v10, v18
	v_or_b32_e32 v16, v12, v16
	ds_bpermute_b32 v21, v10, v17
	ds_bpermute_b32 v20, v10, v16
	s_waitcnt lgkmcnt(0)
	v_cmp_lt_f32_e64 s16, v18, v19
	v_cmpx_nlt_f32_e32 v18, v19
; %bb.11:                               ;   in Loop: Header=BB9_10 Depth=1
	v_cmp_eq_f32_e64 s0, v18, v19
	v_cmp_lt_i32_e64 s1, v20, v16
	s_delay_alu instid0(VALU_DEP_1) | instskip(SKIP_2) | instid1(SALU_CYCLE_1)
	s_and_b32 s0, s0, s1
	s_and_not1_b32 s1, s16, exec_lo
	s_and_b32 s0, s0, exec_lo
	s_or_b32 s16, s1, s0
; %bb.12:                               ;   in Loop: Header=BB9_10 Depth=1
	s_or_b32 exec_lo, exec_lo, s17
	s_and_saveexec_b32 s0, s16
; %bb.13:                               ;   in Loop: Header=BB9_10 Depth=1
	v_dual_mov_b32 v17, v21 :: v_dual_mov_b32 v18, v19
	v_mov_b32_e32 v16, v20
; %bb.14:                               ;   in Loop: Header=BB9_10 Depth=1
	s_or_b32 exec_lo, exec_lo, s0
	ds_bpermute_b32 v21, v11, v18
	ds_bpermute_b32 v20, v11, v17
	;; [unrolled: 1-line block ×3, first 2 shown]
	s_mov_b32 s17, exec_lo
	s_waitcnt lgkmcnt(2)
	v_cmp_lt_f32_e64 s16, v18, v21
	v_cmpx_nlt_f32_e32 v18, v21
	s_cbranch_execnz .LBB9_18
; %bb.15:                               ;   in Loop: Header=BB9_10 Depth=1
	s_or_b32 exec_lo, exec_lo, s17
	s_delay_alu instid0(VALU_DEP_2)
	s_and_saveexec_b32 s0, s16
	s_cbranch_execnz .LBB9_19
.LBB9_16:                               ;   in Loop: Header=BB9_10 Depth=1
	s_or_b32 exec_lo, exec_lo, s0
	s_and_saveexec_b32 s16, s2
	s_cbranch_execnz .LBB9_20
.LBB9_17:                               ;   in Loop: Header=BB9_10 Depth=1
	s_or_b32 exec_lo, exec_lo, s16
	s_add_i32 s7, s7, 1
	s_delay_alu instid0(SALU_CYCLE_1)
	s_cmp_ge_i32 s7, s4
	s_cbranch_scc1 .LBB9_9
	s_branch .LBB9_21
.LBB9_18:                               ;   in Loop: Header=BB9_10 Depth=1
	v_cmp_eq_f32_e64 s0, v18, v21
	s_waitcnt lgkmcnt(0)
	v_cmp_lt_i32_e64 s1, v19, v16
	s_delay_alu instid0(VALU_DEP_1) | instskip(SKIP_2) | instid1(SALU_CYCLE_1)
	s_and_b32 s0, s0, s1
	s_and_not1_b32 s1, s16, exec_lo
	s_and_b32 s0, s0, exec_lo
	s_or_b32 s16, s1, s0
	s_or_b32 exec_lo, exec_lo, s17
	s_and_saveexec_b32 s0, s16
	s_cbranch_execz .LBB9_16
.LBB9_19:                               ;   in Loop: Header=BB9_10 Depth=1
	s_waitcnt lgkmcnt(0)
	v_dual_mov_b32 v17, v20 :: v_dual_mov_b32 v16, v19
	s_or_b32 exec_lo, exec_lo, s0
	s_and_saveexec_b32 s16, s2
	s_cbranch_execz .LBB9_17
.LBB9_20:                               ;   in Loop: Header=BB9_10 Depth=1
	s_delay_alu instid0(VALU_DEP_1)
	v_dual_add_f32 v25, v13, v17 :: v_dual_add_nc_u32 v18, s7, v14
	v_cmp_le_i32_e64 s0, s5, v16
	v_cmp_gt_i32_e64 s1, s6, v16
	s_waitcnt lgkmcnt(1)
	v_subrev_nc_u32_e32 v20, s5, v16
	s_waitcnt lgkmcnt(0)
	v_ashrrev_i32_e32 v19, 31, v18
	v_cndmask_b32_e32 v13, v13, v25, vcc_lo
	s_and_b32 s0, s0, s1
	s_delay_alu instid0(SALU_CYCLE_1) | instskip(NEXT) | instid1(VALU_DEP_2)
	s_and_b32 s0, s15, s0
	v_lshlrev_b64 v[18:19], 2, v[18:19]
	v_cndmask_b32_e64 v24, 16, v20, s0
	s_delay_alu instid0(VALU_DEP_2) | instskip(NEXT) | instid1(VALU_DEP_1)
	v_add_co_u32 v20, s0, s12, v18
	v_add_co_ci_u32_e64 v21, s0, s13, v19, s0
	v_add_co_u32 v22, s0, s8, v18
	s_delay_alu instid0(VALU_DEP_1) | instskip(SKIP_1) | instid1(VALU_DEP_1)
	v_add_co_ci_u32_e64 v23, s0, s9, v19, s0
	v_add_co_u32 v18, s0, s10, v18
	v_add_co_ci_u32_e64 v19, s0, s11, v19, s0
	global_store_b32 v[20:21], v17, off
	global_store_b32 v[22:23], v24, off
	;; [unrolled: 1-line block ×3, first 2 shown]
	s_or_b32 exec_lo, exec_lo, s16
	s_add_i32 s7, s7, 1
	s_delay_alu instid0(SALU_CYCLE_1)
	s_cmp_ge_i32 s7, s4
	s_cbranch_scc1 .LBB9_9
.LBB9_21:                               ;   in Loop: Header=BB9_10 Depth=1
	v_ashrrev_i32_e32 v18, 31, v16
	s_mov_b32 s1, exec_lo
	s_delay_alu instid0(VALU_DEP_1) | instskip(NEXT) | instid1(VALU_DEP_1)
	v_lshrrev_b32_e32 v17, 30, v18
	v_add_nc_u32_e32 v17, v16, v17
	s_delay_alu instid0(VALU_DEP_1) | instskip(SKIP_1) | instid1(VALU_DEP_1)
	v_ashrrev_i32_e32 v17, 2, v17
	s_waitcnt lgkmcnt(0)
	v_lshrrev_b32_e32 v19, 30, v17
	s_delay_alu instid0(VALU_DEP_1) | instskip(NEXT) | instid1(VALU_DEP_1)
	v_add_nc_u32_e32 v19, v17, v19
	v_and_b32_e32 v19, -4, v19
	s_delay_alu instid0(VALU_DEP_1) | instskip(NEXT) | instid1(VALU_DEP_1)
	v_sub_nc_u32_e32 v19, v17, v19
	v_cmpx_eq_u32_e64 v9, v19
	s_cbranch_execz .LBB9_8
; %bb.22:                               ;   in Loop: Header=BB9_10 Depth=1
	v_lshrrev_b32_e32 v18, 28, v18
	v_lshlrev_b32_e32 v17, 2, v17
	s_delay_alu instid0(VALU_DEP_2) | instskip(NEXT) | instid1(VALU_DEP_2)
	v_add_nc_u32_e32 v18, v16, v18
	v_sub_nc_u32_e32 v16, v16, v17
	s_delay_alu instid0(VALU_DEP_2) | instskip(NEXT) | instid1(VALU_DEP_1)
	v_ashrrev_i32_e32 v17, 4, v18
	v_lshl_add_u32 v16, v17, 2, v16
	s_delay_alu instid0(VALU_DEP_1) | instskip(NEXT) | instid1(VALU_DEP_1)
	v_cmp_ne_u32_e64 s0, 3, v16
	v_cndmask_b32_e64 v7, 0xc61c4000, v7, s0
	v_cmp_ne_u32_e64 s0, 2, v16
	s_delay_alu instid0(VALU_DEP_1) | instskip(SKIP_1) | instid1(VALU_DEP_1)
	v_cndmask_b32_e64 v6, 0xc61c4000, v6, s0
	v_cmp_ne_u32_e64 s0, 1, v16
	v_cndmask_b32_e64 v5, 0xc61c4000, v5, s0
	v_cmp_ne_u32_e64 s0, 0, v16
	s_delay_alu instid0(VALU_DEP_1)
	v_cndmask_b32_e64 v4, 0xc61c4000, v4, s0
	s_branch .LBB9_8
.LBB9_23:
                                        ; implicit-def: $vgpr4_vgpr5_vgpr6_vgpr7
	s_and_not1_b32 vcc_lo, exec_lo, s8
	s_cbranch_vccz .LBB9_5
	s_branch .LBB9_6
.LBB9_24:
	v_mov_b32_e32 v13, 0
.LBB9_25:
	v_cmp_eq_u32_e64 s0, 0, v9
	s_delay_alu instid0(VALU_DEP_1) | instskip(NEXT) | instid1(SALU_CYCLE_1)
	s_and_b32 s0, s0, vcc_lo
	s_and_b32 exec_lo, exec_lo, s0
	s_cbranch_execz .LBB9_29
; %bb.26:
	s_and_not1_b32 vcc_lo, exec_lo, s3
	s_cbranch_vccnz .LBB9_29
; %bb.27:
	v_mul_lo_u32 v0, v8, s4
	v_cmp_lt_f32_e32 vcc_lo, 0, v13
	v_cndmask_b32_e32 v2, 1.0, v13, vcc_lo
	s_delay_alu instid0(VALU_DEP_3) | instskip(NEXT) | instid1(VALU_DEP_1)
	v_ashrrev_i32_e32 v1, 31, v0
	v_lshlrev_b64 v[0:1], 2, v[0:1]
	s_delay_alu instid0(VALU_DEP_1) | instskip(NEXT) | instid1(VALU_DEP_2)
	v_add_co_u32 v0, vcc_lo, s12, v0
	v_add_co_ci_u32_e32 v1, vcc_lo, s13, v1, vcc_lo
	.p2align	6
.LBB9_28:                               ; =>This Inner Loop Header: Depth=1
	global_load_b32 v3, v[0:1], off
	s_add_i32 s4, s4, -1
	s_delay_alu instid0(SALU_CYCLE_1) | instskip(SKIP_3) | instid1(VALU_DEP_2)
	s_cmp_lg_u32 s4, 0
	s_waitcnt vmcnt(0)
	v_div_scale_f32 v4, null, v2, v2, v3
	v_div_scale_f32 v7, vcc_lo, v3, v2, v3
	v_rcp_f32_e32 v5, v4
	s_waitcnt_depctr 0xfff
	v_fma_f32 v6, -v4, v5, 1.0
	s_delay_alu instid0(VALU_DEP_1) | instskip(NEXT) | instid1(VALU_DEP_1)
	v_fmac_f32_e32 v5, v6, v5
	v_mul_f32_e32 v6, v7, v5
	s_delay_alu instid0(VALU_DEP_1) | instskip(NEXT) | instid1(VALU_DEP_1)
	v_fma_f32 v8, -v4, v6, v7
	v_fmac_f32_e32 v6, v8, v5
	s_delay_alu instid0(VALU_DEP_1) | instskip(NEXT) | instid1(VALU_DEP_1)
	v_fma_f32 v4, -v4, v6, v7
	v_div_fmas_f32 v4, v4, v5, v6
	s_delay_alu instid0(VALU_DEP_1)
	v_div_fixup_f32 v3, v4, v2, v3
	global_store_b32 v[0:1], v3, off
	v_add_co_u32 v0, vcc_lo, v0, 4
	v_add_co_ci_u32_e32 v1, vcc_lo, 0, v1, vcc_lo
	s_cbranch_scc1 .LBB9_28
.LBB9_29:
	s_nop 0
	s_sendmsg sendmsg(MSG_DEALLOC_VGPRS)
	s_endpgm
	.section	.rodata,"a",@progbits
	.p2align	6, 0x0
	.amdhsa_kernel _ZN4vllm3moe10topkGatingILi4ELi16ELi4ELi16ELi32EifLNS0_11ScoringFuncE0EEEvPKT5_PKbPfiPT4_PiiiibPKf
		.amdhsa_group_segment_fixed_size 0
		.amdhsa_private_segment_fixed_size 0
		.amdhsa_kernarg_size 72
		.amdhsa_user_sgpr_count 15
		.amdhsa_user_sgpr_dispatch_ptr 0
		.amdhsa_user_sgpr_queue_ptr 0
		.amdhsa_user_sgpr_kernarg_segment_ptr 1
		.amdhsa_user_sgpr_dispatch_id 0
		.amdhsa_user_sgpr_private_segment_size 0
		.amdhsa_wavefront_size32 1
		.amdhsa_uses_dynamic_stack 0
		.amdhsa_enable_private_segment 0
		.amdhsa_system_sgpr_workgroup_id_x 1
		.amdhsa_system_sgpr_workgroup_id_y 0
		.amdhsa_system_sgpr_workgroup_id_z 0
		.amdhsa_system_sgpr_workgroup_info 0
		.amdhsa_system_vgpr_workitem_id 1
		.amdhsa_next_free_vgpr 26
		.amdhsa_next_free_sgpr 18
		.amdhsa_reserve_vcc 1
		.amdhsa_float_round_mode_32 0
		.amdhsa_float_round_mode_16_64 0
		.amdhsa_float_denorm_mode_32 3
		.amdhsa_float_denorm_mode_16_64 3
		.amdhsa_dx10_clamp 1
		.amdhsa_ieee_mode 1
		.amdhsa_fp16_overflow 0
		.amdhsa_workgroup_processor_mode 1
		.amdhsa_memory_ordered 1
		.amdhsa_forward_progress 0
		.amdhsa_shared_vgpr_count 0
		.amdhsa_exception_fp_ieee_invalid_op 0
		.amdhsa_exception_fp_denorm_src 0
		.amdhsa_exception_fp_ieee_div_zero 0
		.amdhsa_exception_fp_ieee_overflow 0
		.amdhsa_exception_fp_ieee_underflow 0
		.amdhsa_exception_fp_ieee_inexact 0
		.amdhsa_exception_int_div_zero 0
	.end_amdhsa_kernel
	.section	.text._ZN4vllm3moe10topkGatingILi4ELi16ELi4ELi16ELi32EifLNS0_11ScoringFuncE0EEEvPKT5_PKbPfiPT4_PiiiibPKf,"axG",@progbits,_ZN4vllm3moe10topkGatingILi4ELi16ELi4ELi16ELi32EifLNS0_11ScoringFuncE0EEEvPKT5_PKbPfiPT4_PiiiibPKf,comdat
.Lfunc_end9:
	.size	_ZN4vllm3moe10topkGatingILi4ELi16ELi4ELi16ELi32EifLNS0_11ScoringFuncE0EEEvPKT5_PKbPfiPT4_PiiiibPKf, .Lfunc_end9-_ZN4vllm3moe10topkGatingILi4ELi16ELi4ELi16ELi32EifLNS0_11ScoringFuncE0EEEvPKT5_PKbPfiPT4_PiiiibPKf
                                        ; -- End function
	.section	.AMDGPU.csdata,"",@progbits
; Kernel info:
; codeLenInByte = 2184
; NumSgprs: 20
; NumVgprs: 26
; ScratchSize: 0
; MemoryBound: 0
; FloatMode: 240
; IeeeMode: 1
; LDSByteSize: 0 bytes/workgroup (compile time only)
; SGPRBlocks: 2
; VGPRBlocks: 3
; NumSGPRsForWavesPerEU: 20
; NumVGPRsForWavesPerEU: 26
; Occupancy: 16
; WaveLimiterHint : 0
; COMPUTE_PGM_RSRC2:SCRATCH_EN: 0
; COMPUTE_PGM_RSRC2:USER_SGPR: 15
; COMPUTE_PGM_RSRC2:TRAP_HANDLER: 0
; COMPUTE_PGM_RSRC2:TGID_X_EN: 1
; COMPUTE_PGM_RSRC2:TGID_Y_EN: 0
; COMPUTE_PGM_RSRC2:TGID_Z_EN: 0
; COMPUTE_PGM_RSRC2:TIDIG_COMP_CNT: 1
	.section	.text._ZN4vllm3moe10topkGatingILi4ELi32ELi4ELi16ELi64EifLNS0_11ScoringFuncE0EEEvPKT5_PKbPfiPT4_PiiiibPKf,"axG",@progbits,_ZN4vllm3moe10topkGatingILi4ELi32ELi4ELi16ELi64EifLNS0_11ScoringFuncE0EEEvPKT5_PKbPfiPT4_PiiiibPKf,comdat
	.protected	_ZN4vllm3moe10topkGatingILi4ELi32ELi4ELi16ELi64EifLNS0_11ScoringFuncE0EEEvPKT5_PKbPfiPT4_PiiiibPKf ; -- Begin function _ZN4vllm3moe10topkGatingILi4ELi32ELi4ELi16ELi64EifLNS0_11ScoringFuncE0EEEvPKT5_PKbPfiPT4_PiiiibPKf
	.globl	_ZN4vllm3moe10topkGatingILi4ELi32ELi4ELi16ELi64EifLNS0_11ScoringFuncE0EEEvPKT5_PKbPfiPT4_PiiiibPKf
	.p2align	8
	.type	_ZN4vllm3moe10topkGatingILi4ELi32ELi4ELi16ELi64EifLNS0_11ScoringFuncE0EEEvPKT5_PKbPfiPT4_PiiiibPKf,@function
_ZN4vllm3moe10topkGatingILi4ELi32ELi4ELi16ELi64EifLNS0_11ScoringFuncE0EEEvPKT5_PKbPfiPT4_PiiiibPKf: ; @_ZN4vllm3moe10topkGatingILi4ELi32ELi4ELi16ELi64EifLNS0_11ScoringFuncE0EEEvPKT5_PKbPfiPT4_PiiiibPKf
; %bb.0:
	s_load_b32 s14, s[0:1], 0x18
	v_bfe_u32 v1, v0, 10, 10
	v_and_b32_e32 v0, 0x3ff, v0
	s_lshl_b32 s2, s15, 5
	s_delay_alu instid0(VALU_DEP_2) | instskip(NEXT) | instid1(VALU_DEP_2)
	v_lshlrev_b32_e32 v1, 3, v1
	v_lshrrev_b32_e32 v2, 3, v0
	s_delay_alu instid0(VALU_DEP_1) | instskip(SKIP_2) | instid1(VALU_DEP_1)
	v_add3_u32 v8, s2, v1, v2
	s_mov_b32 s2, exec_lo
	s_waitcnt lgkmcnt(0)
	v_cmpx_gt_i32_e64 s14, v8
	s_cbranch_execz .LBB10_33
; %bb.1:
	s_clause 0x1
	s_load_b128 s[4:7], s[0:1], 0x0
	s_load_b64 s[12:13], s[0:1], 0x10
	s_mov_b32 s8, -1
	s_mov_b32 s15, -1
	s_waitcnt lgkmcnt(0)
	s_cmp_eq_u64 s[6:7], 0
	s_cbranch_scc1 .LBB10_3
; %bb.2:
	v_ashrrev_i32_e32 v2, 31, v8
	v_add_co_u32 v1, vcc_lo, s6, v8
	s_delay_alu instid0(VALU_DEP_2) | instskip(SKIP_3) | instid1(VALU_DEP_1)
	v_add_co_ci_u32_e32 v2, vcc_lo, s7, v2, vcc_lo
	global_load_u8 v1, v[1:2], off
	s_waitcnt vmcnt(0)
	v_and_b32_e32 v1, 1, v1
	v_cmp_eq_u32_e32 vcc_lo, 1, v1
	s_xor_b32 s2, vcc_lo, -1
	s_delay_alu instid0(SALU_CYCLE_1)
	s_or_not1_b32 s15, s2, exec_lo
.LBB10_3:
	v_mbcnt_lo_u32_b32 v4, -1, 0
	v_and_b32_e32 v9, 7, v0
	s_load_b64 s[2:3], s[0:1], 0x40
	s_delay_alu instid0(VALU_DEP_2) | instskip(SKIP_4) | instid1(VALU_DEP_4)
	v_xor_b32_e32 v6, 4, v4
	v_lshlrev_b32_e32 v1, 5, v8
	v_and_b32_e32 v5, 24, v4
	v_xor_b32_e32 v11, 2, v4
	v_xor_b32_e32 v12, 1, v4
	v_ashrrev_i32_e32 v2, 31, v1
	s_delay_alu instid0(VALU_DEP_1) | instskip(SKIP_3) | instid1(VALU_DEP_2)
	v_lshlrev_b64 v[0:1], 2, v[1:2]
	v_lshlrev_b32_e32 v2, 4, v9
	s_waitcnt lgkmcnt(0)
	s_cmp_eq_u64 s[2:3], 0
	v_add_co_u32 v0, vcc_lo, s4, v0
	s_delay_alu instid0(VALU_DEP_3) | instskip(NEXT) | instid1(VALU_DEP_2)
	v_add_co_ci_u32_e32 v1, vcc_lo, s5, v1, vcc_lo
	v_add_co_u32 v0, vcc_lo, v0, v2
	s_delay_alu instid0(VALU_DEP_2) | instskip(SKIP_3) | instid1(VALU_DEP_1)
	v_add_co_ci_u32_e32 v1, vcc_lo, 0, v1, vcc_lo
	global_load_b128 v[0:3], v[0:1], off
	s_waitcnt vmcnt(0)
	v_dual_max_f32 v10, v0, v0 :: v_dual_add_nc_u32 v5, 8, v5
	v_cmp_lt_i32_e32 vcc_lo, v6, v5
	v_dual_cndmask_b32 v6, v4, v6 :: v_dual_max_f32 v7, v1, v1
	v_cmp_lt_i32_e32 vcc_lo, v11, v5
	s_delay_alu instid0(VALU_DEP_2) | instskip(SKIP_2) | instid1(VALU_DEP_3)
	v_dual_max_f32 v7, v10, v7 :: v_dual_lshlrev_b32 v10, 2, v6
	v_cndmask_b32_e32 v11, v4, v11, vcc_lo
	v_cmp_lt_i32_e32 vcc_lo, v12, v5
	v_max3_f32 v6, v7, v2, v3
	v_cndmask_b32_e32 v4, v4, v12, vcc_lo
	ds_bpermute_b32 v7, v10, v6
	s_waitcnt lgkmcnt(0)
	v_dual_max_f32 v7, v7, v7 :: v_dual_lshlrev_b32 v12, 2, v4
	s_delay_alu instid0(VALU_DEP_1) | instskip(SKIP_4) | instid1(VALU_DEP_1)
	v_max_f32_e32 v6, v6, v7
	v_lshlrev_b32_e32 v11, 2, v11
	ds_bpermute_b32 v7, v11, v6
	s_waitcnt lgkmcnt(0)
	v_max_f32_e32 v5, v7, v7
	v_max_f32_e32 v4, v6, v5
	ds_bpermute_b32 v5, v12, v4
	s_waitcnt lgkmcnt(0)
	v_max_f32_e32 v5, v5, v5
	s_delay_alu instid0(VALU_DEP_1) | instskip(NEXT) | instid1(VALU_DEP_1)
	v_max_f32_e32 v4, v4, v5
	v_sub_f32_e32 v3, v3, v4
	s_delay_alu instid0(VALU_DEP_1) | instskip(SKIP_2) | instid1(VALU_DEP_3)
	v_dual_mul_f32 v7, 0x3fb8aa3b, v3 :: v_dual_sub_f32 v0, v0, v4
	v_sub_f32_e32 v1, v1, v4
	v_sub_f32_e32 v2, v2, v4
	v_rndne_f32_e32 v20, v7
	s_delay_alu instid0(VALU_DEP_4) | instskip(SKIP_1) | instid1(VALU_DEP_4)
	v_mul_f32_e32 v4, 0x3fb8aa3b, v0
	v_cmp_ngt_f32_e32 vcc_lo, 0xc2ce8ed0, v0
	v_mul_f32_e32 v6, 0x3fb8aa3b, v2
	s_delay_alu instid0(VALU_DEP_3) | instskip(SKIP_1) | instid1(VALU_DEP_3)
	v_rndne_f32_e32 v14, v4
	v_fma_f32 v13, 0x3fb8aa3b, v0, -v4
	v_fma_f32 v17, 0x3fb8aa3b, v2, -v6
	v_rndne_f32_e32 v18, v6
	s_delay_alu instid0(VALU_DEP_4) | instskip(NEXT) | instid1(VALU_DEP_3)
	v_dual_sub_f32 v4, v4, v14 :: v_dual_mul_f32 v5, 0x3fb8aa3b, v1
	v_fmac_f32_e32 v17, 0x32a5705f, v2
	s_delay_alu instid0(VALU_DEP_3) | instskip(SKIP_1) | instid1(VALU_DEP_4)
	v_dual_sub_f32 v6, v6, v18 :: v_dual_fmac_f32 v13, 0x32a5705f, v0
	v_fma_f32 v19, 0x3fb8aa3b, v3, -v7
	v_rndne_f32_e32 v16, v5
	v_fma_f32 v15, 0x3fb8aa3b, v1, -v5
	s_delay_alu instid0(VALU_DEP_4)
	v_add_f32_e32 v6, v6, v17
	v_add_f32_e32 v4, v4, v13
	v_cvt_i32_f32_e32 v13, v14
	v_sub_f32_e32 v5, v5, v16
	v_cvt_i32_f32_e32 v14, v16
	v_exp_f32_e32 v6, v6
	v_exp_f32_e32 v4, v4
	v_cvt_i32_f32_e32 v16, v20
	s_waitcnt_depctr 0xfff
	v_ldexp_f32 v4, v4, v13
	s_delay_alu instid0(VALU_DEP_1) | instskip(NEXT) | instid1(VALU_DEP_1)
	v_dual_fmac_f32 v15, 0x32a5705f, v1 :: v_dual_cndmask_b32 v4, 0, v4
	v_add_f32_e32 v5, v5, v15
	v_cvt_i32_f32_e32 v15, v18
	v_cmp_ngt_f32_e32 vcc_lo, 0xc2ce8ed0, v1
	s_delay_alu instid0(VALU_DEP_3) | instskip(NEXT) | instid1(VALU_DEP_2)
	v_exp_f32_e32 v5, v5
	v_ldexp_f32 v6, v6, v15
	s_waitcnt_depctr 0xfff
	v_ldexp_f32 v5, v5, v14
	s_delay_alu instid0(VALU_DEP_1)
	v_cndmask_b32_e32 v5, 0, v5, vcc_lo
	v_cmp_ngt_f32_e32 vcc_lo, 0xc2ce8ed0, v2
	v_dual_fmac_f32 v19, 0x32a5705f, v3 :: v_dual_cndmask_b32 v6, 0, v6
	v_cmp_nlt_f32_e32 vcc_lo, 0x42b17218, v0
	v_sub_f32_e32 v7, v7, v20
	v_cndmask_b32_e32 v0, 0x7f800000, v4, vcc_lo
	v_cmp_nlt_f32_e32 vcc_lo, 0x42b17218, v1
	v_cndmask_b32_e32 v1, 0x7f800000, v5, vcc_lo
	v_cmp_ngt_f32_e32 vcc_lo, 0xc2ce8ed0, v3
	s_delay_alu instid0(VALU_DEP_2) | instskip(SKIP_1) | instid1(VALU_DEP_1)
	v_add_f32_e32 v5, v0, v1
	v_add_f32_e32 v7, v7, v19
	v_exp_f32_e32 v7, v7
	s_waitcnt_depctr 0xfff
	v_ldexp_f32 v7, v7, v16
	s_delay_alu instid0(VALU_DEP_1) | instskip(SKIP_3) | instid1(VALU_DEP_2)
	v_cndmask_b32_e32 v4, 0, v7, vcc_lo
	v_cmp_nlt_f32_e32 vcc_lo, 0x42b17218, v2
	v_cndmask_b32_e32 v2, 0x7f800000, v6, vcc_lo
	v_cmp_nlt_f32_e32 vcc_lo, 0x42b17218, v3
	v_dual_cndmask_b32 v3, 0x7f800000, v4 :: v_dual_add_f32 v4, v5, v2
	s_delay_alu instid0(VALU_DEP_1)
	v_add_f32_e32 v4, v4, v3
	ds_bpermute_b32 v5, v10, v4
	s_waitcnt lgkmcnt(0)
	v_add_f32_e32 v4, v4, v5
	ds_bpermute_b32 v5, v11, v4
	s_waitcnt lgkmcnt(0)
	;; [unrolled: 3-line block ×3, first 2 shown]
	v_add_f32_e32 v4, v4, v5
	s_delay_alu instid0(VALU_DEP_1) | instskip(SKIP_1) | instid1(VALU_DEP_2)
	v_div_scale_f32 v5, null, v4, v4, 1.0
	v_div_scale_f32 v13, vcc_lo, 1.0, v4, 1.0
	v_rcp_f32_e32 v6, v5
	s_waitcnt_depctr 0xfff
	v_fma_f32 v7, -v5, v6, 1.0
	s_delay_alu instid0(VALU_DEP_1) | instskip(NEXT) | instid1(VALU_DEP_1)
	v_fmac_f32_e32 v6, v7, v6
	v_mul_f32_e32 v7, v13, v6
	s_delay_alu instid0(VALU_DEP_1) | instskip(NEXT) | instid1(VALU_DEP_1)
	v_fma_f32 v14, -v5, v7, v13
	v_fmac_f32_e32 v7, v14, v6
	s_delay_alu instid0(VALU_DEP_1) | instskip(SKIP_1) | instid1(VALU_DEP_2)
	v_fma_f32 v5, -v5, v7, v13
	v_lshlrev_b32_e32 v13, 2, v9
	v_div_fmas_f32 v5, v5, v6, v7
	s_delay_alu instid0(VALU_DEP_1) | instskip(NEXT) | instid1(VALU_DEP_1)
	v_div_fixup_f32 v4, v5, v4, 1.0
	v_mul_f32_e32 v0, v4, v0
	v_mul_f32_e32 v2, v4, v2
	v_mul_f32_e32 v1, v4, v1
	v_mul_f32_e32 v3, v4, v3
	s_delay_alu instid0(VALU_DEP_4) | instskip(SKIP_1) | instid1(VALU_DEP_4)
	v_cmp_class_f32_e64 vcc_lo, v0, 0x1f8
	v_cndmask_b32_e32 v0, 0, v0, vcc_lo
	v_cmp_class_f32_e64 vcc_lo, v1, 0x1f8
	v_cndmask_b32_e32 v1, 0, v1, vcc_lo
	;; [unrolled: 2-line block ×4, first 2 shown]
	s_cbranch_scc1 .LBB10_27
; %bb.4:
	v_lshlrev_b32_e32 v4, 2, v13
	global_load_b128 v[4:7], v4, s[2:3]
	s_waitcnt vmcnt(0)
	v_dual_add_f32 v7, v7, v3 :: v_dual_add_f32 v4, v4, v0
	v_dual_add_f32 v5, v5, v1 :: v_dual_add_f32 v6, v6, v2
	s_cbranch_execnz .LBB10_6
.LBB10_5:
	v_dual_mov_b32 v7, v3 :: v_dual_mov_b32 v6, v2
	v_dual_mov_b32 v5, v1 :: v_dual_mov_b32 v4, v0
.LBB10_6:
	s_load_b128 s[4:7], s[0:1], 0x30
	v_cmp_eq_u32_e64 s2, 0, v9
	s_waitcnt lgkmcnt(0)
	s_bitcmp1_b32 s7, 0
	s_mov_b32 s7, 0
	s_cselect_b32 vcc_lo, -1, 0
	s_cmp_gt_i32 s4, 0
	s_cselect_b32 s3, -1, 0
	s_cmp_lt_i32 s4, 1
	s_cbranch_scc1 .LBB10_28
; %bb.7:
	s_load_b128 s[8:11], s[0:1], 0x20
	v_mul_lo_u32 v15, v8, s4
	v_mov_b32_e32 v14, 0
	v_mov_b32_e32 v16, v8
	s_branch .LBB10_10
.LBB10_8:                               ;   in Loop: Header=BB10_10 Depth=1
	s_or_b32 exec_lo, exec_lo, s1
.LBB10_9:                               ;   in Loop: Header=BB10_10 Depth=1
	v_add_nc_u32_e32 v16, s14, v16
	s_cmp_eq_u32 s4, s7
	s_cbranch_scc1 .LBB10_29
.LBB10_10:                              ; =>This Inner Loop Header: Depth=1
	v_cmp_gt_f32_e64 s0, v5, v4
	s_mov_b32 s17, exec_lo
	s_delay_alu instid0(VALU_DEP_1) | instskip(SKIP_2) | instid1(VALU_DEP_3)
	v_cndmask_b32_e64 v17, v4, v5, s0
	v_cndmask_b32_e64 v18, 0, 1, s0
	;; [unrolled: 1-line block ×3, first 2 shown]
	v_cmp_gt_f32_e64 s1, v6, v17
	s_delay_alu instid0(VALU_DEP_1) | instskip(NEXT) | instid1(VALU_DEP_4)
	v_cndmask_b32_e64 v17, v17, v6, s1
	v_cndmask_b32_e64 v18, v18, 2, s1
	s_waitcnt lgkmcnt(0)
	v_cndmask_b32_e64 v20, v19, v2, s1
	s_delay_alu instid0(VALU_DEP_3) | instskip(NEXT) | instid1(VALU_DEP_1)
	v_cmp_gt_f32_e64 s0, v7, v17
	v_cndmask_b32_e64 v19, v17, v7, s0
	v_cndmask_b32_e64 v17, v18, 3, s0
	s_delay_alu instid0(VALU_DEP_4)
	v_cndmask_b32_e64 v18, v20, v3, s0
	ds_bpermute_b32 v20, v10, v19
	v_or_b32_e32 v17, v13, v17
	ds_bpermute_b32 v22, v10, v18
	ds_bpermute_b32 v21, v10, v17
	s_waitcnt lgkmcnt(0)
	v_cmp_lt_f32_e64 s16, v19, v20
	v_cmpx_nlt_f32_e32 v19, v20
; %bb.11:                               ;   in Loop: Header=BB10_10 Depth=1
	v_cmp_eq_f32_e64 s0, v19, v20
	v_cmp_lt_i32_e64 s1, v21, v17
	s_delay_alu instid0(VALU_DEP_1) | instskip(SKIP_2) | instid1(SALU_CYCLE_1)
	s_and_b32 s0, s0, s1
	s_and_not1_b32 s1, s16, exec_lo
	s_and_b32 s0, s0, exec_lo
	s_or_b32 s16, s1, s0
; %bb.12:                               ;   in Loop: Header=BB10_10 Depth=1
	s_or_b32 exec_lo, exec_lo, s17
	s_and_saveexec_b32 s0, s16
; %bb.13:                               ;   in Loop: Header=BB10_10 Depth=1
	v_dual_mov_b32 v18, v22 :: v_dual_mov_b32 v19, v20
	v_mov_b32_e32 v17, v21
; %bb.14:                               ;   in Loop: Header=BB10_10 Depth=1
	s_or_b32 exec_lo, exec_lo, s0
	ds_bpermute_b32 v21, v11, v19
	ds_bpermute_b32 v22, v11, v18
	;; [unrolled: 1-line block ×3, first 2 shown]
	s_mov_b32 s17, exec_lo
	s_waitcnt lgkmcnt(2)
	v_cmp_lt_f32_e64 s16, v19, v21
	v_cmpx_nlt_f32_e32 v19, v21
	s_cbranch_execz .LBB10_16
; %bb.15:                               ;   in Loop: Header=BB10_10 Depth=1
	v_cmp_eq_f32_e64 s0, v19, v21
	s_waitcnt lgkmcnt(0)
	v_cmp_lt_i32_e64 s1, v20, v17
	s_delay_alu instid0(VALU_DEP_1) | instskip(SKIP_2) | instid1(SALU_CYCLE_1)
	s_and_b32 s0, s0, s1
	s_and_not1_b32 s1, s16, exec_lo
	s_and_b32 s0, s0, exec_lo
	s_or_b32 s16, s1, s0
.LBB10_16:                              ;   in Loop: Header=BB10_10 Depth=1
	s_or_b32 exec_lo, exec_lo, s17
	s_delay_alu instid0(VALU_DEP_2)
	s_and_saveexec_b32 s0, s16
	s_cbranch_execz .LBB10_18
; %bb.17:                               ;   in Loop: Header=BB10_10 Depth=1
	s_waitcnt lgkmcnt(1)
	v_dual_mov_b32 v18, v22 :: v_dual_mov_b32 v19, v21
	s_waitcnt lgkmcnt(0)
	v_mov_b32_e32 v17, v20
.LBB10_18:                              ;   in Loop: Header=BB10_10 Depth=1
	s_or_b32 exec_lo, exec_lo, s0
	s_waitcnt lgkmcnt(1)
	ds_bpermute_b32 v22, v12, v19
	ds_bpermute_b32 v21, v12, v18
	s_waitcnt lgkmcnt(2)
	ds_bpermute_b32 v20, v12, v17
	s_mov_b32 s17, exec_lo
	s_waitcnt lgkmcnt(2)
	v_cmp_lt_f32_e64 s16, v19, v22
	v_cmpx_nlt_f32_e32 v19, v22
	s_cbranch_execnz .LBB10_22
; %bb.19:                               ;   in Loop: Header=BB10_10 Depth=1
	s_or_b32 exec_lo, exec_lo, s17
	s_delay_alu instid0(VALU_DEP_2)
	s_and_saveexec_b32 s0, s16
	s_cbranch_execnz .LBB10_23
.LBB10_20:                              ;   in Loop: Header=BB10_10 Depth=1
	s_or_b32 exec_lo, exec_lo, s0
	s_and_saveexec_b32 s16, s2
	s_cbranch_execnz .LBB10_24
.LBB10_21:                              ;   in Loop: Header=BB10_10 Depth=1
	s_or_b32 exec_lo, exec_lo, s16
	s_add_i32 s7, s7, 1
	s_delay_alu instid0(SALU_CYCLE_1)
	s_cmp_ge_i32 s7, s4
	s_cbranch_scc1 .LBB10_9
	s_branch .LBB10_25
.LBB10_22:                              ;   in Loop: Header=BB10_10 Depth=1
	v_cmp_eq_f32_e64 s0, v19, v22
	s_waitcnt lgkmcnt(0)
	v_cmp_lt_i32_e64 s1, v20, v17
	s_delay_alu instid0(VALU_DEP_1) | instskip(SKIP_2) | instid1(SALU_CYCLE_1)
	s_and_b32 s0, s0, s1
	s_and_not1_b32 s1, s16, exec_lo
	s_and_b32 s0, s0, exec_lo
	s_or_b32 s16, s1, s0
	s_or_b32 exec_lo, exec_lo, s17
	s_and_saveexec_b32 s0, s16
	s_cbranch_execz .LBB10_20
.LBB10_23:                              ;   in Loop: Header=BB10_10 Depth=1
	s_waitcnt lgkmcnt(0)
	v_dual_mov_b32 v18, v21 :: v_dual_mov_b32 v17, v20
	s_or_b32 exec_lo, exec_lo, s0
	s_and_saveexec_b32 s16, s2
	s_cbranch_execz .LBB10_21
.LBB10_24:                              ;   in Loop: Header=BB10_10 Depth=1
	s_delay_alu instid0(VALU_DEP_1)
	v_dual_add_f32 v26, v14, v18 :: v_dual_add_nc_u32 v19, s7, v15
	v_cmp_le_i32_e64 s0, s5, v17
	v_cmp_gt_i32_e64 s1, s6, v17
	s_waitcnt lgkmcnt(1)
	v_subrev_nc_u32_e32 v21, s5, v17
	s_waitcnt lgkmcnt(0)
	v_ashrrev_i32_e32 v20, 31, v19
	v_cndmask_b32_e32 v14, v14, v26, vcc_lo
	s_and_b32 s0, s0, s1
	s_delay_alu instid0(SALU_CYCLE_1) | instskip(NEXT) | instid1(VALU_DEP_2)
	s_and_b32 s0, s15, s0
	v_lshlrev_b64 v[19:20], 2, v[19:20]
	v_cndmask_b32_e64 v25, 32, v21, s0
	s_delay_alu instid0(VALU_DEP_2) | instskip(NEXT) | instid1(VALU_DEP_1)
	v_add_co_u32 v21, s0, s12, v19
	v_add_co_ci_u32_e64 v22, s0, s13, v20, s0
	v_add_co_u32 v23, s0, s8, v19
	s_delay_alu instid0(VALU_DEP_1) | instskip(SKIP_1) | instid1(VALU_DEP_1)
	v_add_co_ci_u32_e64 v24, s0, s9, v20, s0
	v_add_co_u32 v19, s0, s10, v19
	v_add_co_ci_u32_e64 v20, s0, s11, v20, s0
	global_store_b32 v[21:22], v18, off
	global_store_b32 v[23:24], v25, off
	;; [unrolled: 1-line block ×3, first 2 shown]
	s_or_b32 exec_lo, exec_lo, s16
	s_add_i32 s7, s7, 1
	s_delay_alu instid0(SALU_CYCLE_1)
	s_cmp_ge_i32 s7, s4
	s_cbranch_scc1 .LBB10_9
.LBB10_25:                              ;   in Loop: Header=BB10_10 Depth=1
	v_ashrrev_i32_e32 v19, 31, v17
	s_mov_b32 s1, exec_lo
	s_delay_alu instid0(VALU_DEP_1) | instskip(NEXT) | instid1(VALU_DEP_1)
	v_lshrrev_b32_e32 v18, 30, v19
	v_add_nc_u32_e32 v18, v17, v18
	s_delay_alu instid0(VALU_DEP_1) | instskip(SKIP_1) | instid1(VALU_DEP_1)
	v_ashrrev_i32_e32 v18, 2, v18
	s_waitcnt lgkmcnt(0)
	v_lshrrev_b32_e32 v20, 29, v18
	s_delay_alu instid0(VALU_DEP_1) | instskip(NEXT) | instid1(VALU_DEP_1)
	v_add_nc_u32_e32 v20, v18, v20
	v_and_b32_e32 v20, -8, v20
	s_delay_alu instid0(VALU_DEP_1) | instskip(NEXT) | instid1(VALU_DEP_1)
	v_sub_nc_u32_e32 v20, v18, v20
	v_cmpx_eq_u32_e64 v9, v20
	s_cbranch_execz .LBB10_8
; %bb.26:                               ;   in Loop: Header=BB10_10 Depth=1
	v_lshrrev_b32_e32 v19, 27, v19
	v_lshlrev_b32_e32 v18, 2, v18
	s_delay_alu instid0(VALU_DEP_2) | instskip(NEXT) | instid1(VALU_DEP_2)
	v_add_nc_u32_e32 v19, v17, v19
	v_sub_nc_u32_e32 v17, v17, v18
	s_delay_alu instid0(VALU_DEP_2) | instskip(NEXT) | instid1(VALU_DEP_1)
	v_ashrrev_i32_e32 v18, 5, v19
	v_lshl_add_u32 v17, v18, 2, v17
	s_delay_alu instid0(VALU_DEP_1) | instskip(NEXT) | instid1(VALU_DEP_1)
	v_cmp_ne_u32_e64 s0, 3, v17
	v_cndmask_b32_e64 v7, 0xc61c4000, v7, s0
	v_cmp_ne_u32_e64 s0, 2, v17
	s_delay_alu instid0(VALU_DEP_1) | instskip(SKIP_1) | instid1(VALU_DEP_1)
	v_cndmask_b32_e64 v6, 0xc61c4000, v6, s0
	v_cmp_ne_u32_e64 s0, 1, v17
	v_cndmask_b32_e64 v5, 0xc61c4000, v5, s0
	v_cmp_ne_u32_e64 s0, 0, v17
	s_delay_alu instid0(VALU_DEP_1)
	v_cndmask_b32_e64 v4, 0xc61c4000, v4, s0
	s_branch .LBB10_8
.LBB10_27:
                                        ; implicit-def: $vgpr4_vgpr5_vgpr6_vgpr7
	s_and_not1_b32 vcc_lo, exec_lo, s8
	s_cbranch_vccz .LBB10_5
	s_branch .LBB10_6
.LBB10_28:
	v_mov_b32_e32 v14, 0
.LBB10_29:
	v_cmp_eq_u32_e64 s0, 0, v9
	s_delay_alu instid0(VALU_DEP_1) | instskip(NEXT) | instid1(SALU_CYCLE_1)
	s_and_b32 s0, s0, vcc_lo
	s_and_b32 exec_lo, exec_lo, s0
	s_cbranch_execz .LBB10_33
; %bb.30:
	s_and_not1_b32 vcc_lo, exec_lo, s3
	s_cbranch_vccnz .LBB10_33
; %bb.31:
	v_mul_lo_u32 v0, v8, s4
	v_cmp_lt_f32_e32 vcc_lo, 0, v14
	v_cndmask_b32_e32 v2, 1.0, v14, vcc_lo
	s_delay_alu instid0(VALU_DEP_3) | instskip(NEXT) | instid1(VALU_DEP_1)
	v_ashrrev_i32_e32 v1, 31, v0
	v_lshlrev_b64 v[0:1], 2, v[0:1]
	s_delay_alu instid0(VALU_DEP_1) | instskip(NEXT) | instid1(VALU_DEP_2)
	v_add_co_u32 v0, vcc_lo, s12, v0
	v_add_co_ci_u32_e32 v1, vcc_lo, s13, v1, vcc_lo
	.p2align	6
.LBB10_32:                              ; =>This Inner Loop Header: Depth=1
	global_load_b32 v3, v[0:1], off
	s_add_i32 s4, s4, -1
	s_delay_alu instid0(SALU_CYCLE_1) | instskip(SKIP_3) | instid1(VALU_DEP_2)
	s_cmp_lg_u32 s4, 0
	s_waitcnt vmcnt(0)
	v_div_scale_f32 v4, null, v2, v2, v3
	v_div_scale_f32 v7, vcc_lo, v3, v2, v3
	v_rcp_f32_e32 v5, v4
	s_waitcnt_depctr 0xfff
	v_fma_f32 v6, -v4, v5, 1.0
	s_delay_alu instid0(VALU_DEP_1) | instskip(NEXT) | instid1(VALU_DEP_1)
	v_fmac_f32_e32 v5, v6, v5
	v_mul_f32_e32 v6, v7, v5
	s_delay_alu instid0(VALU_DEP_1) | instskip(NEXT) | instid1(VALU_DEP_1)
	v_fma_f32 v8, -v4, v6, v7
	v_fmac_f32_e32 v6, v8, v5
	s_delay_alu instid0(VALU_DEP_1) | instskip(NEXT) | instid1(VALU_DEP_1)
	v_fma_f32 v4, -v4, v6, v7
	v_div_fmas_f32 v4, v4, v5, v6
	s_delay_alu instid0(VALU_DEP_1)
	v_div_fixup_f32 v3, v4, v2, v3
	global_store_b32 v[0:1], v3, off
	v_add_co_u32 v0, vcc_lo, v0, 4
	v_add_co_ci_u32_e32 v1, vcc_lo, 0, v1, vcc_lo
	s_cbranch_scc1 .LBB10_32
.LBB10_33:
	s_nop 0
	s_sendmsg sendmsg(MSG_DEALLOC_VGPRS)
	s_endpgm
	.section	.rodata,"a",@progbits
	.p2align	6, 0x0
	.amdhsa_kernel _ZN4vllm3moe10topkGatingILi4ELi32ELi4ELi16ELi64EifLNS0_11ScoringFuncE0EEEvPKT5_PKbPfiPT4_PiiiibPKf
		.amdhsa_group_segment_fixed_size 0
		.amdhsa_private_segment_fixed_size 0
		.amdhsa_kernarg_size 72
		.amdhsa_user_sgpr_count 15
		.amdhsa_user_sgpr_dispatch_ptr 0
		.amdhsa_user_sgpr_queue_ptr 0
		.amdhsa_user_sgpr_kernarg_segment_ptr 1
		.amdhsa_user_sgpr_dispatch_id 0
		.amdhsa_user_sgpr_private_segment_size 0
		.amdhsa_wavefront_size32 1
		.amdhsa_uses_dynamic_stack 0
		.amdhsa_enable_private_segment 0
		.amdhsa_system_sgpr_workgroup_id_x 1
		.amdhsa_system_sgpr_workgroup_id_y 0
		.amdhsa_system_sgpr_workgroup_id_z 0
		.amdhsa_system_sgpr_workgroup_info 0
		.amdhsa_system_vgpr_workitem_id 1
		.amdhsa_next_free_vgpr 27
		.amdhsa_next_free_sgpr 18
		.amdhsa_reserve_vcc 1
		.amdhsa_float_round_mode_32 0
		.amdhsa_float_round_mode_16_64 0
		.amdhsa_float_denorm_mode_32 3
		.amdhsa_float_denorm_mode_16_64 3
		.amdhsa_dx10_clamp 1
		.amdhsa_ieee_mode 1
		.amdhsa_fp16_overflow 0
		.amdhsa_workgroup_processor_mode 1
		.amdhsa_memory_ordered 1
		.amdhsa_forward_progress 0
		.amdhsa_shared_vgpr_count 0
		.amdhsa_exception_fp_ieee_invalid_op 0
		.amdhsa_exception_fp_denorm_src 0
		.amdhsa_exception_fp_ieee_div_zero 0
		.amdhsa_exception_fp_ieee_overflow 0
		.amdhsa_exception_fp_ieee_underflow 0
		.amdhsa_exception_fp_ieee_inexact 0
		.amdhsa_exception_int_div_zero 0
	.end_amdhsa_kernel
	.section	.text._ZN4vllm3moe10topkGatingILi4ELi32ELi4ELi16ELi64EifLNS0_11ScoringFuncE0EEEvPKT5_PKbPfiPT4_PiiiibPKf,"axG",@progbits,_ZN4vllm3moe10topkGatingILi4ELi32ELi4ELi16ELi64EifLNS0_11ScoringFuncE0EEEvPKT5_PKbPfiPT4_PiiiibPKf,comdat
.Lfunc_end10:
	.size	_ZN4vllm3moe10topkGatingILi4ELi32ELi4ELi16ELi64EifLNS0_11ScoringFuncE0EEEvPKT5_PKbPfiPT4_PiiiibPKf, .Lfunc_end10-_ZN4vllm3moe10topkGatingILi4ELi32ELi4ELi16ELi64EifLNS0_11ScoringFuncE0EEEvPKT5_PKbPfiPT4_PiiiibPKf
                                        ; -- End function
	.section	.AMDGPU.csdata,"",@progbits
; Kernel info:
; codeLenInByte = 2376
; NumSgprs: 20
; NumVgprs: 27
; ScratchSize: 0
; MemoryBound: 0
; FloatMode: 240
; IeeeMode: 1
; LDSByteSize: 0 bytes/workgroup (compile time only)
; SGPRBlocks: 2
; VGPRBlocks: 3
; NumSGPRsForWavesPerEU: 20
; NumVGPRsForWavesPerEU: 27
; Occupancy: 16
; WaveLimiterHint : 0
; COMPUTE_PGM_RSRC2:SCRATCH_EN: 0
; COMPUTE_PGM_RSRC2:USER_SGPR: 15
; COMPUTE_PGM_RSRC2:TRAP_HANDLER: 0
; COMPUTE_PGM_RSRC2:TGID_X_EN: 1
; COMPUTE_PGM_RSRC2:TGID_Y_EN: 0
; COMPUTE_PGM_RSRC2:TGID_Z_EN: 0
; COMPUTE_PGM_RSRC2:TIDIG_COMP_CNT: 1
	.section	.text._ZN4vllm3moe10topkGatingILi4ELi32ELi4ELi16ELi32EifLNS0_11ScoringFuncE0EEEvPKT5_PKbPfiPT4_PiiiibPKf,"axG",@progbits,_ZN4vllm3moe10topkGatingILi4ELi32ELi4ELi16ELi32EifLNS0_11ScoringFuncE0EEEvPKT5_PKbPfiPT4_PiiiibPKf,comdat
	.protected	_ZN4vllm3moe10topkGatingILi4ELi32ELi4ELi16ELi32EifLNS0_11ScoringFuncE0EEEvPKT5_PKbPfiPT4_PiiiibPKf ; -- Begin function _ZN4vllm3moe10topkGatingILi4ELi32ELi4ELi16ELi32EifLNS0_11ScoringFuncE0EEEvPKT5_PKbPfiPT4_PiiiibPKf
	.globl	_ZN4vllm3moe10topkGatingILi4ELi32ELi4ELi16ELi32EifLNS0_11ScoringFuncE0EEEvPKT5_PKbPfiPT4_PiiiibPKf
	.p2align	8
	.type	_ZN4vllm3moe10topkGatingILi4ELi32ELi4ELi16ELi32EifLNS0_11ScoringFuncE0EEEvPKT5_PKbPfiPT4_PiiiibPKf,@function
_ZN4vllm3moe10topkGatingILi4ELi32ELi4ELi16ELi32EifLNS0_11ScoringFuncE0EEEvPKT5_PKbPfiPT4_PiiiibPKf: ; @_ZN4vllm3moe10topkGatingILi4ELi32ELi4ELi16ELi32EifLNS0_11ScoringFuncE0EEEvPKT5_PKbPfiPT4_PiiiibPKf
; %bb.0:
	s_load_b32 s14, s[0:1], 0x18
	v_bfe_u32 v1, v0, 10, 10
	v_and_b32_e32 v0, 0x3ff, v0
	s_lshl_b32 s2, s15, 4
	s_delay_alu instid0(VALU_DEP_2) | instskip(NEXT) | instid1(VALU_DEP_2)
	v_lshlrev_b32_e32 v1, 2, v1
	v_lshrrev_b32_e32 v2, 3, v0
	s_delay_alu instid0(VALU_DEP_1) | instskip(SKIP_2) | instid1(VALU_DEP_1)
	v_add3_u32 v8, s2, v1, v2
	s_mov_b32 s2, exec_lo
	s_waitcnt lgkmcnt(0)
	v_cmpx_gt_i32_e64 s14, v8
	s_cbranch_execz .LBB11_33
; %bb.1:
	s_clause 0x1
	s_load_b128 s[4:7], s[0:1], 0x0
	s_load_b64 s[12:13], s[0:1], 0x10
	s_mov_b32 s8, -1
	s_mov_b32 s15, -1
	s_waitcnt lgkmcnt(0)
	s_cmp_eq_u64 s[6:7], 0
	s_cbranch_scc1 .LBB11_3
; %bb.2:
	v_ashrrev_i32_e32 v2, 31, v8
	v_add_co_u32 v1, vcc_lo, s6, v8
	s_delay_alu instid0(VALU_DEP_2) | instskip(SKIP_3) | instid1(VALU_DEP_1)
	v_add_co_ci_u32_e32 v2, vcc_lo, s7, v2, vcc_lo
	global_load_u8 v1, v[1:2], off
	s_waitcnt vmcnt(0)
	v_and_b32_e32 v1, 1, v1
	v_cmp_eq_u32_e32 vcc_lo, 1, v1
	s_xor_b32 s2, vcc_lo, -1
	s_delay_alu instid0(SALU_CYCLE_1)
	s_or_not1_b32 s15, s2, exec_lo
.LBB11_3:
	v_mbcnt_lo_u32_b32 v4, -1, 0
	v_and_b32_e32 v9, 7, v0
	s_load_b64 s[2:3], s[0:1], 0x40
	s_delay_alu instid0(VALU_DEP_2) | instskip(SKIP_4) | instid1(VALU_DEP_4)
	v_xor_b32_e32 v6, 4, v4
	v_lshlrev_b32_e32 v1, 5, v8
	v_and_b32_e32 v5, 24, v4
	v_xor_b32_e32 v11, 2, v4
	v_xor_b32_e32 v12, 1, v4
	v_ashrrev_i32_e32 v2, 31, v1
	s_delay_alu instid0(VALU_DEP_1) | instskip(SKIP_3) | instid1(VALU_DEP_2)
	v_lshlrev_b64 v[0:1], 2, v[1:2]
	v_lshlrev_b32_e32 v2, 4, v9
	s_waitcnt lgkmcnt(0)
	s_cmp_eq_u64 s[2:3], 0
	v_add_co_u32 v0, vcc_lo, s4, v0
	s_delay_alu instid0(VALU_DEP_3) | instskip(NEXT) | instid1(VALU_DEP_2)
	v_add_co_ci_u32_e32 v1, vcc_lo, s5, v1, vcc_lo
	v_add_co_u32 v0, vcc_lo, v0, v2
	s_delay_alu instid0(VALU_DEP_2) | instskip(SKIP_3) | instid1(VALU_DEP_1)
	v_add_co_ci_u32_e32 v1, vcc_lo, 0, v1, vcc_lo
	global_load_b128 v[0:3], v[0:1], off
	s_waitcnt vmcnt(0)
	v_dual_max_f32 v10, v0, v0 :: v_dual_add_nc_u32 v5, 8, v5
	v_cmp_lt_i32_e32 vcc_lo, v6, v5
	v_dual_cndmask_b32 v6, v4, v6 :: v_dual_max_f32 v7, v1, v1
	v_cmp_lt_i32_e32 vcc_lo, v11, v5
	s_delay_alu instid0(VALU_DEP_2) | instskip(SKIP_2) | instid1(VALU_DEP_3)
	v_dual_max_f32 v7, v10, v7 :: v_dual_lshlrev_b32 v10, 2, v6
	v_cndmask_b32_e32 v11, v4, v11, vcc_lo
	v_cmp_lt_i32_e32 vcc_lo, v12, v5
	v_max3_f32 v6, v7, v2, v3
	v_cndmask_b32_e32 v4, v4, v12, vcc_lo
	ds_bpermute_b32 v7, v10, v6
	s_waitcnt lgkmcnt(0)
	v_dual_max_f32 v7, v7, v7 :: v_dual_lshlrev_b32 v12, 2, v4
	s_delay_alu instid0(VALU_DEP_1) | instskip(SKIP_4) | instid1(VALU_DEP_1)
	v_max_f32_e32 v6, v6, v7
	v_lshlrev_b32_e32 v11, 2, v11
	ds_bpermute_b32 v7, v11, v6
	s_waitcnt lgkmcnt(0)
	v_max_f32_e32 v5, v7, v7
	v_max_f32_e32 v4, v6, v5
	ds_bpermute_b32 v5, v12, v4
	s_waitcnt lgkmcnt(0)
	v_max_f32_e32 v5, v5, v5
	s_delay_alu instid0(VALU_DEP_1) | instskip(NEXT) | instid1(VALU_DEP_1)
	v_max_f32_e32 v4, v4, v5
	v_sub_f32_e32 v3, v3, v4
	s_delay_alu instid0(VALU_DEP_1) | instskip(SKIP_2) | instid1(VALU_DEP_3)
	v_dual_mul_f32 v7, 0x3fb8aa3b, v3 :: v_dual_sub_f32 v0, v0, v4
	v_sub_f32_e32 v1, v1, v4
	v_sub_f32_e32 v2, v2, v4
	v_rndne_f32_e32 v20, v7
	s_delay_alu instid0(VALU_DEP_4) | instskip(SKIP_1) | instid1(VALU_DEP_4)
	v_mul_f32_e32 v4, 0x3fb8aa3b, v0
	v_cmp_ngt_f32_e32 vcc_lo, 0xc2ce8ed0, v0
	v_mul_f32_e32 v6, 0x3fb8aa3b, v2
	s_delay_alu instid0(VALU_DEP_3) | instskip(SKIP_1) | instid1(VALU_DEP_3)
	v_rndne_f32_e32 v14, v4
	v_fma_f32 v13, 0x3fb8aa3b, v0, -v4
	v_fma_f32 v17, 0x3fb8aa3b, v2, -v6
	v_rndne_f32_e32 v18, v6
	s_delay_alu instid0(VALU_DEP_4) | instskip(NEXT) | instid1(VALU_DEP_3)
	v_dual_sub_f32 v4, v4, v14 :: v_dual_mul_f32 v5, 0x3fb8aa3b, v1
	v_fmac_f32_e32 v17, 0x32a5705f, v2
	s_delay_alu instid0(VALU_DEP_3) | instskip(SKIP_1) | instid1(VALU_DEP_4)
	v_dual_sub_f32 v6, v6, v18 :: v_dual_fmac_f32 v13, 0x32a5705f, v0
	v_fma_f32 v19, 0x3fb8aa3b, v3, -v7
	v_rndne_f32_e32 v16, v5
	v_fma_f32 v15, 0x3fb8aa3b, v1, -v5
	s_delay_alu instid0(VALU_DEP_4)
	v_add_f32_e32 v6, v6, v17
	v_add_f32_e32 v4, v4, v13
	v_cvt_i32_f32_e32 v13, v14
	v_sub_f32_e32 v5, v5, v16
	v_cvt_i32_f32_e32 v14, v16
	v_exp_f32_e32 v6, v6
	v_exp_f32_e32 v4, v4
	v_cvt_i32_f32_e32 v16, v20
	s_waitcnt_depctr 0xfff
	v_ldexp_f32 v4, v4, v13
	s_delay_alu instid0(VALU_DEP_1) | instskip(NEXT) | instid1(VALU_DEP_1)
	v_dual_fmac_f32 v15, 0x32a5705f, v1 :: v_dual_cndmask_b32 v4, 0, v4
	v_add_f32_e32 v5, v5, v15
	v_cvt_i32_f32_e32 v15, v18
	v_cmp_ngt_f32_e32 vcc_lo, 0xc2ce8ed0, v1
	s_delay_alu instid0(VALU_DEP_3) | instskip(NEXT) | instid1(VALU_DEP_2)
	v_exp_f32_e32 v5, v5
	v_ldexp_f32 v6, v6, v15
	s_waitcnt_depctr 0xfff
	v_ldexp_f32 v5, v5, v14
	s_delay_alu instid0(VALU_DEP_1)
	v_cndmask_b32_e32 v5, 0, v5, vcc_lo
	v_cmp_ngt_f32_e32 vcc_lo, 0xc2ce8ed0, v2
	v_dual_fmac_f32 v19, 0x32a5705f, v3 :: v_dual_cndmask_b32 v6, 0, v6
	v_cmp_nlt_f32_e32 vcc_lo, 0x42b17218, v0
	v_sub_f32_e32 v7, v7, v20
	v_cndmask_b32_e32 v0, 0x7f800000, v4, vcc_lo
	v_cmp_nlt_f32_e32 vcc_lo, 0x42b17218, v1
	v_cndmask_b32_e32 v1, 0x7f800000, v5, vcc_lo
	v_cmp_ngt_f32_e32 vcc_lo, 0xc2ce8ed0, v3
	s_delay_alu instid0(VALU_DEP_2) | instskip(SKIP_1) | instid1(VALU_DEP_1)
	v_add_f32_e32 v5, v0, v1
	v_add_f32_e32 v7, v7, v19
	v_exp_f32_e32 v7, v7
	s_waitcnt_depctr 0xfff
	v_ldexp_f32 v7, v7, v16
	s_delay_alu instid0(VALU_DEP_1) | instskip(SKIP_3) | instid1(VALU_DEP_2)
	v_cndmask_b32_e32 v4, 0, v7, vcc_lo
	v_cmp_nlt_f32_e32 vcc_lo, 0x42b17218, v2
	v_cndmask_b32_e32 v2, 0x7f800000, v6, vcc_lo
	v_cmp_nlt_f32_e32 vcc_lo, 0x42b17218, v3
	v_dual_cndmask_b32 v3, 0x7f800000, v4 :: v_dual_add_f32 v4, v5, v2
	s_delay_alu instid0(VALU_DEP_1)
	v_add_f32_e32 v4, v4, v3
	ds_bpermute_b32 v5, v10, v4
	s_waitcnt lgkmcnt(0)
	v_add_f32_e32 v4, v4, v5
	ds_bpermute_b32 v5, v11, v4
	s_waitcnt lgkmcnt(0)
	;; [unrolled: 3-line block ×3, first 2 shown]
	v_add_f32_e32 v4, v4, v5
	s_delay_alu instid0(VALU_DEP_1) | instskip(SKIP_1) | instid1(VALU_DEP_2)
	v_div_scale_f32 v5, null, v4, v4, 1.0
	v_div_scale_f32 v13, vcc_lo, 1.0, v4, 1.0
	v_rcp_f32_e32 v6, v5
	s_waitcnt_depctr 0xfff
	v_fma_f32 v7, -v5, v6, 1.0
	s_delay_alu instid0(VALU_DEP_1) | instskip(NEXT) | instid1(VALU_DEP_1)
	v_fmac_f32_e32 v6, v7, v6
	v_mul_f32_e32 v7, v13, v6
	s_delay_alu instid0(VALU_DEP_1) | instskip(NEXT) | instid1(VALU_DEP_1)
	v_fma_f32 v14, -v5, v7, v13
	v_fmac_f32_e32 v7, v14, v6
	s_delay_alu instid0(VALU_DEP_1) | instskip(SKIP_1) | instid1(VALU_DEP_2)
	v_fma_f32 v5, -v5, v7, v13
	v_lshlrev_b32_e32 v13, 2, v9
	v_div_fmas_f32 v5, v5, v6, v7
	s_delay_alu instid0(VALU_DEP_1) | instskip(NEXT) | instid1(VALU_DEP_1)
	v_div_fixup_f32 v4, v5, v4, 1.0
	v_mul_f32_e32 v0, v4, v0
	v_mul_f32_e32 v2, v4, v2
	;; [unrolled: 1-line block ×4, first 2 shown]
	s_delay_alu instid0(VALU_DEP_4) | instskip(SKIP_1) | instid1(VALU_DEP_4)
	v_cmp_class_f32_e64 vcc_lo, v0, 0x1f8
	v_cndmask_b32_e32 v0, 0, v0, vcc_lo
	v_cmp_class_f32_e64 vcc_lo, v1, 0x1f8
	v_cndmask_b32_e32 v1, 0, v1, vcc_lo
	;; [unrolled: 2-line block ×4, first 2 shown]
	s_cbranch_scc1 .LBB11_27
; %bb.4:
	v_lshlrev_b32_e32 v4, 2, v13
	global_load_b128 v[4:7], v4, s[2:3]
	s_waitcnt vmcnt(0)
	v_dual_add_f32 v7, v7, v3 :: v_dual_add_f32 v4, v4, v0
	v_dual_add_f32 v5, v5, v1 :: v_dual_add_f32 v6, v6, v2
	s_cbranch_execnz .LBB11_6
.LBB11_5:
	v_dual_mov_b32 v7, v3 :: v_dual_mov_b32 v6, v2
	v_dual_mov_b32 v5, v1 :: v_dual_mov_b32 v4, v0
.LBB11_6:
	s_load_b128 s[4:7], s[0:1], 0x30
	v_cmp_eq_u32_e64 s2, 0, v9
	s_waitcnt lgkmcnt(0)
	s_bitcmp1_b32 s7, 0
	s_mov_b32 s7, 0
	s_cselect_b32 vcc_lo, -1, 0
	s_cmp_gt_i32 s4, 0
	s_cselect_b32 s3, -1, 0
	s_cmp_lt_i32 s4, 1
	s_cbranch_scc1 .LBB11_28
; %bb.7:
	s_load_b128 s[8:11], s[0:1], 0x20
	v_mul_lo_u32 v15, v8, s4
	v_mov_b32_e32 v14, 0
	v_mov_b32_e32 v16, v8
	s_branch .LBB11_10
.LBB11_8:                               ;   in Loop: Header=BB11_10 Depth=1
	s_or_b32 exec_lo, exec_lo, s1
.LBB11_9:                               ;   in Loop: Header=BB11_10 Depth=1
	v_add_nc_u32_e32 v16, s14, v16
	s_cmp_eq_u32 s4, s7
	s_cbranch_scc1 .LBB11_29
.LBB11_10:                              ; =>This Inner Loop Header: Depth=1
	v_cmp_gt_f32_e64 s0, v5, v4
	s_mov_b32 s17, exec_lo
	s_delay_alu instid0(VALU_DEP_1) | instskip(SKIP_2) | instid1(VALU_DEP_3)
	v_cndmask_b32_e64 v17, v4, v5, s0
	v_cndmask_b32_e64 v18, 0, 1, s0
	;; [unrolled: 1-line block ×3, first 2 shown]
	v_cmp_gt_f32_e64 s1, v6, v17
	s_delay_alu instid0(VALU_DEP_1) | instskip(NEXT) | instid1(VALU_DEP_4)
	v_cndmask_b32_e64 v17, v17, v6, s1
	v_cndmask_b32_e64 v18, v18, 2, s1
	s_waitcnt lgkmcnt(0)
	v_cndmask_b32_e64 v20, v19, v2, s1
	s_delay_alu instid0(VALU_DEP_3) | instskip(NEXT) | instid1(VALU_DEP_1)
	v_cmp_gt_f32_e64 s0, v7, v17
	v_cndmask_b32_e64 v19, v17, v7, s0
	v_cndmask_b32_e64 v17, v18, 3, s0
	s_delay_alu instid0(VALU_DEP_4)
	v_cndmask_b32_e64 v18, v20, v3, s0
	ds_bpermute_b32 v20, v10, v19
	v_or_b32_e32 v17, v13, v17
	ds_bpermute_b32 v22, v10, v18
	ds_bpermute_b32 v21, v10, v17
	s_waitcnt lgkmcnt(0)
	v_cmp_lt_f32_e64 s16, v19, v20
	v_cmpx_nlt_f32_e32 v19, v20
; %bb.11:                               ;   in Loop: Header=BB11_10 Depth=1
	v_cmp_eq_f32_e64 s0, v19, v20
	v_cmp_lt_i32_e64 s1, v21, v17
	s_delay_alu instid0(VALU_DEP_1) | instskip(SKIP_2) | instid1(SALU_CYCLE_1)
	s_and_b32 s0, s0, s1
	s_and_not1_b32 s1, s16, exec_lo
	s_and_b32 s0, s0, exec_lo
	s_or_b32 s16, s1, s0
; %bb.12:                               ;   in Loop: Header=BB11_10 Depth=1
	s_or_b32 exec_lo, exec_lo, s17
	s_and_saveexec_b32 s0, s16
; %bb.13:                               ;   in Loop: Header=BB11_10 Depth=1
	v_dual_mov_b32 v18, v22 :: v_dual_mov_b32 v19, v20
	v_mov_b32_e32 v17, v21
; %bb.14:                               ;   in Loop: Header=BB11_10 Depth=1
	s_or_b32 exec_lo, exec_lo, s0
	ds_bpermute_b32 v21, v11, v19
	ds_bpermute_b32 v22, v11, v18
	;; [unrolled: 1-line block ×3, first 2 shown]
	s_mov_b32 s17, exec_lo
	s_waitcnt lgkmcnt(2)
	v_cmp_lt_f32_e64 s16, v19, v21
	v_cmpx_nlt_f32_e32 v19, v21
	s_cbranch_execz .LBB11_16
; %bb.15:                               ;   in Loop: Header=BB11_10 Depth=1
	v_cmp_eq_f32_e64 s0, v19, v21
	s_waitcnt lgkmcnt(0)
	v_cmp_lt_i32_e64 s1, v20, v17
	s_delay_alu instid0(VALU_DEP_1) | instskip(SKIP_2) | instid1(SALU_CYCLE_1)
	s_and_b32 s0, s0, s1
	s_and_not1_b32 s1, s16, exec_lo
	s_and_b32 s0, s0, exec_lo
	s_or_b32 s16, s1, s0
.LBB11_16:                              ;   in Loop: Header=BB11_10 Depth=1
	s_or_b32 exec_lo, exec_lo, s17
	s_delay_alu instid0(VALU_DEP_2)
	s_and_saveexec_b32 s0, s16
	s_cbranch_execz .LBB11_18
; %bb.17:                               ;   in Loop: Header=BB11_10 Depth=1
	s_waitcnt lgkmcnt(1)
	v_dual_mov_b32 v18, v22 :: v_dual_mov_b32 v19, v21
	s_waitcnt lgkmcnt(0)
	v_mov_b32_e32 v17, v20
.LBB11_18:                              ;   in Loop: Header=BB11_10 Depth=1
	s_or_b32 exec_lo, exec_lo, s0
	s_waitcnt lgkmcnt(1)
	ds_bpermute_b32 v22, v12, v19
	ds_bpermute_b32 v21, v12, v18
	s_waitcnt lgkmcnt(2)
	ds_bpermute_b32 v20, v12, v17
	s_mov_b32 s17, exec_lo
	s_waitcnt lgkmcnt(2)
	v_cmp_lt_f32_e64 s16, v19, v22
	v_cmpx_nlt_f32_e32 v19, v22
	s_cbranch_execnz .LBB11_22
; %bb.19:                               ;   in Loop: Header=BB11_10 Depth=1
	s_or_b32 exec_lo, exec_lo, s17
	s_delay_alu instid0(VALU_DEP_2)
	s_and_saveexec_b32 s0, s16
	s_cbranch_execnz .LBB11_23
.LBB11_20:                              ;   in Loop: Header=BB11_10 Depth=1
	s_or_b32 exec_lo, exec_lo, s0
	s_and_saveexec_b32 s16, s2
	s_cbranch_execnz .LBB11_24
.LBB11_21:                              ;   in Loop: Header=BB11_10 Depth=1
	s_or_b32 exec_lo, exec_lo, s16
	s_add_i32 s7, s7, 1
	s_delay_alu instid0(SALU_CYCLE_1)
	s_cmp_ge_i32 s7, s4
	s_cbranch_scc1 .LBB11_9
	s_branch .LBB11_25
.LBB11_22:                              ;   in Loop: Header=BB11_10 Depth=1
	v_cmp_eq_f32_e64 s0, v19, v22
	s_waitcnt lgkmcnt(0)
	v_cmp_lt_i32_e64 s1, v20, v17
	s_delay_alu instid0(VALU_DEP_1) | instskip(SKIP_2) | instid1(SALU_CYCLE_1)
	s_and_b32 s0, s0, s1
	s_and_not1_b32 s1, s16, exec_lo
	s_and_b32 s0, s0, exec_lo
	s_or_b32 s16, s1, s0
	s_or_b32 exec_lo, exec_lo, s17
	s_and_saveexec_b32 s0, s16
	s_cbranch_execz .LBB11_20
.LBB11_23:                              ;   in Loop: Header=BB11_10 Depth=1
	s_waitcnt lgkmcnt(0)
	v_dual_mov_b32 v18, v21 :: v_dual_mov_b32 v17, v20
	s_or_b32 exec_lo, exec_lo, s0
	s_and_saveexec_b32 s16, s2
	s_cbranch_execz .LBB11_21
.LBB11_24:                              ;   in Loop: Header=BB11_10 Depth=1
	s_delay_alu instid0(VALU_DEP_1)
	v_dual_add_f32 v26, v14, v18 :: v_dual_add_nc_u32 v19, s7, v15
	v_cmp_le_i32_e64 s0, s5, v17
	v_cmp_gt_i32_e64 s1, s6, v17
	s_waitcnt lgkmcnt(1)
	v_subrev_nc_u32_e32 v21, s5, v17
	s_waitcnt lgkmcnt(0)
	v_ashrrev_i32_e32 v20, 31, v19
	v_cndmask_b32_e32 v14, v14, v26, vcc_lo
	s_and_b32 s0, s0, s1
	s_delay_alu instid0(SALU_CYCLE_1) | instskip(NEXT) | instid1(VALU_DEP_2)
	s_and_b32 s0, s15, s0
	v_lshlrev_b64 v[19:20], 2, v[19:20]
	v_cndmask_b32_e64 v25, 32, v21, s0
	s_delay_alu instid0(VALU_DEP_2) | instskip(NEXT) | instid1(VALU_DEP_1)
	v_add_co_u32 v21, s0, s12, v19
	v_add_co_ci_u32_e64 v22, s0, s13, v20, s0
	v_add_co_u32 v23, s0, s8, v19
	s_delay_alu instid0(VALU_DEP_1) | instskip(SKIP_1) | instid1(VALU_DEP_1)
	v_add_co_ci_u32_e64 v24, s0, s9, v20, s0
	v_add_co_u32 v19, s0, s10, v19
	v_add_co_ci_u32_e64 v20, s0, s11, v20, s0
	global_store_b32 v[21:22], v18, off
	global_store_b32 v[23:24], v25, off
	;; [unrolled: 1-line block ×3, first 2 shown]
	s_or_b32 exec_lo, exec_lo, s16
	s_add_i32 s7, s7, 1
	s_delay_alu instid0(SALU_CYCLE_1)
	s_cmp_ge_i32 s7, s4
	s_cbranch_scc1 .LBB11_9
.LBB11_25:                              ;   in Loop: Header=BB11_10 Depth=1
	v_ashrrev_i32_e32 v19, 31, v17
	s_mov_b32 s1, exec_lo
	s_delay_alu instid0(VALU_DEP_1) | instskip(NEXT) | instid1(VALU_DEP_1)
	v_lshrrev_b32_e32 v18, 30, v19
	v_add_nc_u32_e32 v18, v17, v18
	s_delay_alu instid0(VALU_DEP_1) | instskip(SKIP_1) | instid1(VALU_DEP_1)
	v_ashrrev_i32_e32 v18, 2, v18
	s_waitcnt lgkmcnt(0)
	v_lshrrev_b32_e32 v20, 29, v18
	s_delay_alu instid0(VALU_DEP_1) | instskip(NEXT) | instid1(VALU_DEP_1)
	v_add_nc_u32_e32 v20, v18, v20
	v_and_b32_e32 v20, -8, v20
	s_delay_alu instid0(VALU_DEP_1) | instskip(NEXT) | instid1(VALU_DEP_1)
	v_sub_nc_u32_e32 v20, v18, v20
	v_cmpx_eq_u32_e64 v9, v20
	s_cbranch_execz .LBB11_8
; %bb.26:                               ;   in Loop: Header=BB11_10 Depth=1
	v_lshrrev_b32_e32 v19, 27, v19
	v_lshlrev_b32_e32 v18, 2, v18
	s_delay_alu instid0(VALU_DEP_2) | instskip(NEXT) | instid1(VALU_DEP_2)
	v_add_nc_u32_e32 v19, v17, v19
	v_sub_nc_u32_e32 v17, v17, v18
	s_delay_alu instid0(VALU_DEP_2) | instskip(NEXT) | instid1(VALU_DEP_1)
	v_ashrrev_i32_e32 v18, 5, v19
	v_lshl_add_u32 v17, v18, 2, v17
	s_delay_alu instid0(VALU_DEP_1) | instskip(NEXT) | instid1(VALU_DEP_1)
	v_cmp_ne_u32_e64 s0, 3, v17
	v_cndmask_b32_e64 v7, 0xc61c4000, v7, s0
	v_cmp_ne_u32_e64 s0, 2, v17
	s_delay_alu instid0(VALU_DEP_1) | instskip(SKIP_1) | instid1(VALU_DEP_1)
	v_cndmask_b32_e64 v6, 0xc61c4000, v6, s0
	v_cmp_ne_u32_e64 s0, 1, v17
	v_cndmask_b32_e64 v5, 0xc61c4000, v5, s0
	v_cmp_ne_u32_e64 s0, 0, v17
	s_delay_alu instid0(VALU_DEP_1)
	v_cndmask_b32_e64 v4, 0xc61c4000, v4, s0
	s_branch .LBB11_8
.LBB11_27:
                                        ; implicit-def: $vgpr4_vgpr5_vgpr6_vgpr7
	s_and_not1_b32 vcc_lo, exec_lo, s8
	s_cbranch_vccz .LBB11_5
	s_branch .LBB11_6
.LBB11_28:
	v_mov_b32_e32 v14, 0
.LBB11_29:
	v_cmp_eq_u32_e64 s0, 0, v9
	s_delay_alu instid0(VALU_DEP_1) | instskip(NEXT) | instid1(SALU_CYCLE_1)
	s_and_b32 s0, s0, vcc_lo
	s_and_b32 exec_lo, exec_lo, s0
	s_cbranch_execz .LBB11_33
; %bb.30:
	s_and_not1_b32 vcc_lo, exec_lo, s3
	s_cbranch_vccnz .LBB11_33
; %bb.31:
	v_mul_lo_u32 v0, v8, s4
	v_cmp_lt_f32_e32 vcc_lo, 0, v14
	v_cndmask_b32_e32 v2, 1.0, v14, vcc_lo
	s_delay_alu instid0(VALU_DEP_3) | instskip(NEXT) | instid1(VALU_DEP_1)
	v_ashrrev_i32_e32 v1, 31, v0
	v_lshlrev_b64 v[0:1], 2, v[0:1]
	s_delay_alu instid0(VALU_DEP_1) | instskip(NEXT) | instid1(VALU_DEP_2)
	v_add_co_u32 v0, vcc_lo, s12, v0
	v_add_co_ci_u32_e32 v1, vcc_lo, s13, v1, vcc_lo
	.p2align	6
.LBB11_32:                              ; =>This Inner Loop Header: Depth=1
	global_load_b32 v3, v[0:1], off
	s_add_i32 s4, s4, -1
	s_delay_alu instid0(SALU_CYCLE_1) | instskip(SKIP_3) | instid1(VALU_DEP_2)
	s_cmp_lg_u32 s4, 0
	s_waitcnt vmcnt(0)
	v_div_scale_f32 v4, null, v2, v2, v3
	v_div_scale_f32 v7, vcc_lo, v3, v2, v3
	v_rcp_f32_e32 v5, v4
	s_waitcnt_depctr 0xfff
	v_fma_f32 v6, -v4, v5, 1.0
	s_delay_alu instid0(VALU_DEP_1) | instskip(NEXT) | instid1(VALU_DEP_1)
	v_fmac_f32_e32 v5, v6, v5
	v_mul_f32_e32 v6, v7, v5
	s_delay_alu instid0(VALU_DEP_1) | instskip(NEXT) | instid1(VALU_DEP_1)
	v_fma_f32 v8, -v4, v6, v7
	v_fmac_f32_e32 v6, v8, v5
	s_delay_alu instid0(VALU_DEP_1) | instskip(NEXT) | instid1(VALU_DEP_1)
	v_fma_f32 v4, -v4, v6, v7
	v_div_fmas_f32 v4, v4, v5, v6
	s_delay_alu instid0(VALU_DEP_1)
	v_div_fixup_f32 v3, v4, v2, v3
	global_store_b32 v[0:1], v3, off
	v_add_co_u32 v0, vcc_lo, v0, 4
	v_add_co_ci_u32_e32 v1, vcc_lo, 0, v1, vcc_lo
	s_cbranch_scc1 .LBB11_32
.LBB11_33:
	s_nop 0
	s_sendmsg sendmsg(MSG_DEALLOC_VGPRS)
	s_endpgm
	.section	.rodata,"a",@progbits
	.p2align	6, 0x0
	.amdhsa_kernel _ZN4vllm3moe10topkGatingILi4ELi32ELi4ELi16ELi32EifLNS0_11ScoringFuncE0EEEvPKT5_PKbPfiPT4_PiiiibPKf
		.amdhsa_group_segment_fixed_size 0
		.amdhsa_private_segment_fixed_size 0
		.amdhsa_kernarg_size 72
		.amdhsa_user_sgpr_count 15
		.amdhsa_user_sgpr_dispatch_ptr 0
		.amdhsa_user_sgpr_queue_ptr 0
		.amdhsa_user_sgpr_kernarg_segment_ptr 1
		.amdhsa_user_sgpr_dispatch_id 0
		.amdhsa_user_sgpr_private_segment_size 0
		.amdhsa_wavefront_size32 1
		.amdhsa_uses_dynamic_stack 0
		.amdhsa_enable_private_segment 0
		.amdhsa_system_sgpr_workgroup_id_x 1
		.amdhsa_system_sgpr_workgroup_id_y 0
		.amdhsa_system_sgpr_workgroup_id_z 0
		.amdhsa_system_sgpr_workgroup_info 0
		.amdhsa_system_vgpr_workitem_id 1
		.amdhsa_next_free_vgpr 27
		.amdhsa_next_free_sgpr 18
		.amdhsa_reserve_vcc 1
		.amdhsa_float_round_mode_32 0
		.amdhsa_float_round_mode_16_64 0
		.amdhsa_float_denorm_mode_32 3
		.amdhsa_float_denorm_mode_16_64 3
		.amdhsa_dx10_clamp 1
		.amdhsa_ieee_mode 1
		.amdhsa_fp16_overflow 0
		.amdhsa_workgroup_processor_mode 1
		.amdhsa_memory_ordered 1
		.amdhsa_forward_progress 0
		.amdhsa_shared_vgpr_count 0
		.amdhsa_exception_fp_ieee_invalid_op 0
		.amdhsa_exception_fp_denorm_src 0
		.amdhsa_exception_fp_ieee_div_zero 0
		.amdhsa_exception_fp_ieee_overflow 0
		.amdhsa_exception_fp_ieee_underflow 0
		.amdhsa_exception_fp_ieee_inexact 0
		.amdhsa_exception_int_div_zero 0
	.end_amdhsa_kernel
	.section	.text._ZN4vllm3moe10topkGatingILi4ELi32ELi4ELi16ELi32EifLNS0_11ScoringFuncE0EEEvPKT5_PKbPfiPT4_PiiiibPKf,"axG",@progbits,_ZN4vllm3moe10topkGatingILi4ELi32ELi4ELi16ELi32EifLNS0_11ScoringFuncE0EEEvPKT5_PKbPfiPT4_PiiiibPKf,comdat
.Lfunc_end11:
	.size	_ZN4vllm3moe10topkGatingILi4ELi32ELi4ELi16ELi32EifLNS0_11ScoringFuncE0EEEvPKT5_PKbPfiPT4_PiiiibPKf, .Lfunc_end11-_ZN4vllm3moe10topkGatingILi4ELi32ELi4ELi16ELi32EifLNS0_11ScoringFuncE0EEEvPKT5_PKbPfiPT4_PiiiibPKf
                                        ; -- End function
	.section	.AMDGPU.csdata,"",@progbits
; Kernel info:
; codeLenInByte = 2376
; NumSgprs: 20
; NumVgprs: 27
; ScratchSize: 0
; MemoryBound: 0
; FloatMode: 240
; IeeeMode: 1
; LDSByteSize: 0 bytes/workgroup (compile time only)
; SGPRBlocks: 2
; VGPRBlocks: 3
; NumSGPRsForWavesPerEU: 20
; NumVGPRsForWavesPerEU: 27
; Occupancy: 16
; WaveLimiterHint : 0
; COMPUTE_PGM_RSRC2:SCRATCH_EN: 0
; COMPUTE_PGM_RSRC2:USER_SGPR: 15
; COMPUTE_PGM_RSRC2:TRAP_HANDLER: 0
; COMPUTE_PGM_RSRC2:TGID_X_EN: 1
; COMPUTE_PGM_RSRC2:TGID_Y_EN: 0
; COMPUTE_PGM_RSRC2:TGID_Z_EN: 0
; COMPUTE_PGM_RSRC2:TIDIG_COMP_CNT: 1
	.section	.text._ZN4vllm3moe10topkGatingILi4ELi64ELi4ELi16ELi64EifLNS0_11ScoringFuncE0EEEvPKT5_PKbPfiPT4_PiiiibPKf,"axG",@progbits,_ZN4vllm3moe10topkGatingILi4ELi64ELi4ELi16ELi64EifLNS0_11ScoringFuncE0EEEvPKT5_PKbPfiPT4_PiiiibPKf,comdat
	.protected	_ZN4vllm3moe10topkGatingILi4ELi64ELi4ELi16ELi64EifLNS0_11ScoringFuncE0EEEvPKT5_PKbPfiPT4_PiiiibPKf ; -- Begin function _ZN4vllm3moe10topkGatingILi4ELi64ELi4ELi16ELi64EifLNS0_11ScoringFuncE0EEEvPKT5_PKbPfiPT4_PiiiibPKf
	.globl	_ZN4vllm3moe10topkGatingILi4ELi64ELi4ELi16ELi64EifLNS0_11ScoringFuncE0EEEvPKT5_PKbPfiPT4_PiiiibPKf
	.p2align	8
	.type	_ZN4vllm3moe10topkGatingILi4ELi64ELi4ELi16ELi64EifLNS0_11ScoringFuncE0EEEvPKT5_PKbPfiPT4_PiiiibPKf,@function
_ZN4vllm3moe10topkGatingILi4ELi64ELi4ELi16ELi64EifLNS0_11ScoringFuncE0EEEvPKT5_PKbPfiPT4_PiiiibPKf: ; @_ZN4vllm3moe10topkGatingILi4ELi64ELi4ELi16ELi64EifLNS0_11ScoringFuncE0EEEvPKT5_PKbPfiPT4_PiiiibPKf
; %bb.0:
	s_load_b32 s14, s[0:1], 0x18
	v_bfe_u32 v1, v0, 10, 10
	v_and_b32_e32 v0, 0x3ff, v0
	s_lshl_b32 s2, s15, 4
	s_delay_alu instid0(VALU_DEP_2) | instskip(NEXT) | instid1(VALU_DEP_2)
	v_lshlrev_b32_e32 v1, 2, v1
	v_lshrrev_b32_e32 v2, 4, v0
	s_delay_alu instid0(VALU_DEP_1) | instskip(SKIP_2) | instid1(VALU_DEP_1)
	v_add3_u32 v8, s2, v1, v2
	s_mov_b32 s2, exec_lo
	s_waitcnt lgkmcnt(0)
	v_cmpx_gt_i32_e64 s14, v8
	s_cbranch_execz .LBB12_37
; %bb.1:
	s_clause 0x1
	s_load_b128 s[4:7], s[0:1], 0x0
	s_load_b64 s[12:13], s[0:1], 0x10
	s_mov_b32 s8, -1
	s_mov_b32 s15, -1
	s_waitcnt lgkmcnt(0)
	s_cmp_eq_u64 s[6:7], 0
	s_cbranch_scc1 .LBB12_3
; %bb.2:
	v_ashrrev_i32_e32 v2, 31, v8
	v_add_co_u32 v1, vcc_lo, s6, v8
	s_delay_alu instid0(VALU_DEP_2) | instskip(SKIP_3) | instid1(VALU_DEP_1)
	v_add_co_ci_u32_e32 v2, vcc_lo, s7, v2, vcc_lo
	global_load_u8 v1, v[1:2], off
	s_waitcnt vmcnt(0)
	v_and_b32_e32 v1, 1, v1
	v_cmp_eq_u32_e32 vcc_lo, 1, v1
	s_xor_b32 s2, vcc_lo, -1
	s_delay_alu instid0(SALU_CYCLE_1)
	s_or_not1_b32 s15, s2, exec_lo
.LBB12_3:
	v_mbcnt_lo_u32_b32 v4, -1, 0
	v_and_b32_e32 v9, 15, v0
	s_load_b64 s[2:3], s[0:1], 0x40
	s_delay_alu instid0(VALU_DEP_2)
	v_xor_b32_e32 v6, 8, v4
	v_lshlrev_b32_e32 v1, 6, v8
	v_and_b32_e32 v5, 16, v4
	v_xor_b32_e32 v11, 4, v4
	v_xor_b32_e32 v12, 2, v4
	;; [unrolled: 1-line block ×3, first 2 shown]
	v_ashrrev_i32_e32 v2, 31, v1
	s_delay_alu instid0(VALU_DEP_1) | instskip(SKIP_3) | instid1(VALU_DEP_2)
	v_lshlrev_b64 v[0:1], 2, v[1:2]
	v_lshlrev_b32_e32 v2, 4, v9
	s_waitcnt lgkmcnt(0)
	s_cmp_eq_u64 s[2:3], 0
	v_add_co_u32 v0, vcc_lo, s4, v0
	s_delay_alu instid0(VALU_DEP_3) | instskip(NEXT) | instid1(VALU_DEP_2)
	v_add_co_ci_u32_e32 v1, vcc_lo, s5, v1, vcc_lo
	v_add_co_u32 v0, vcc_lo, v0, v2
	s_delay_alu instid0(VALU_DEP_2) | instskip(SKIP_3) | instid1(VALU_DEP_1)
	v_add_co_ci_u32_e32 v1, vcc_lo, 0, v1, vcc_lo
	global_load_b128 v[0:3], v[0:1], off
	s_waitcnt vmcnt(0)
	v_dual_max_f32 v10, v0, v0 :: v_dual_add_nc_u32 v5, 16, v5
	v_cmp_lt_i32_e32 vcc_lo, v6, v5
	v_dual_cndmask_b32 v6, v4, v6 :: v_dual_max_f32 v7, v1, v1
	v_cmp_lt_i32_e32 vcc_lo, v11, v5
	s_delay_alu instid0(VALU_DEP_2) | instskip(SKIP_2) | instid1(VALU_DEP_3)
	v_dual_max_f32 v7, v10, v7 :: v_dual_lshlrev_b32 v10, 2, v6
	v_cndmask_b32_e32 v11, v4, v11, vcc_lo
	v_cmp_lt_i32_e32 vcc_lo, v12, v5
	v_max3_f32 v6, v7, v2, v3
	v_cndmask_b32_e32 v12, v4, v12, vcc_lo
	v_cmp_lt_i32_e32 vcc_lo, v13, v5
	ds_bpermute_b32 v7, v10, v6
	v_lshlrev_b32_e32 v12, 2, v12
	v_dual_cndmask_b32 v4, v4, v13 :: v_dual_lshlrev_b32 v11, 2, v11
	s_delay_alu instid0(VALU_DEP_1) | instskip(SKIP_2) | instid1(VALU_DEP_1)
	v_lshlrev_b32_e32 v13, 2, v4
	s_waitcnt lgkmcnt(0)
	v_max_f32_e32 v7, v7, v7
	v_max_f32_e32 v6, v6, v7
	ds_bpermute_b32 v7, v11, v6
	s_waitcnt lgkmcnt(0)
	v_max_f32_e32 v7, v7, v7
	s_delay_alu instid0(VALU_DEP_1) | instskip(SKIP_3) | instid1(VALU_DEP_1)
	v_max_f32_e32 v6, v6, v7
	ds_bpermute_b32 v7, v12, v6
	s_waitcnt lgkmcnt(0)
	v_max_f32_e32 v5, v7, v7
	v_max_f32_e32 v4, v6, v5
	ds_bpermute_b32 v5, v13, v4
	s_waitcnt lgkmcnt(0)
	v_max_f32_e32 v5, v5, v5
	s_delay_alu instid0(VALU_DEP_1) | instskip(NEXT) | instid1(VALU_DEP_1)
	v_max_f32_e32 v4, v4, v5
	v_sub_f32_e32 v2, v2, v4
	v_sub_f32_e32 v0, v0, v4
	;; [unrolled: 1-line block ×3, first 2 shown]
	s_delay_alu instid0(VALU_DEP_3) | instskip(NEXT) | instid1(VALU_DEP_2)
	v_dual_sub_f32 v3, v3, v4 :: v_dual_mul_f32 v6, 0x3fb8aa3b, v2
	v_dual_mul_f32 v4, 0x3fb8aa3b, v0 :: v_dual_mul_f32 v5, 0x3fb8aa3b, v1
	v_cmp_ngt_f32_e32 vcc_lo, 0xc2ce8ed0, v0
	s_delay_alu instid0(VALU_DEP_3) | instskip(NEXT) | instid1(VALU_DEP_3)
	v_fma_f32 v18, 0x3fb8aa3b, v2, -v6
	v_fma_f32 v14, 0x3fb8aa3b, v0, -v4
	v_rndne_f32_e32 v15, v4
	v_rndne_f32_e32 v17, v5
	v_fma_f32 v16, 0x3fb8aa3b, v1, -v5
	v_rndne_f32_e32 v19, v6
	v_fmac_f32_e32 v14, 0x32a5705f, v0
	s_delay_alu instid0(VALU_DEP_4) | instskip(NEXT) | instid1(VALU_DEP_1)
	v_dual_sub_f32 v4, v4, v15 :: v_dual_sub_f32 v5, v5, v17
	v_dual_mul_f32 v7, 0x3fb8aa3b, v3 :: v_dual_add_f32 v4, v4, v14
	v_cvt_i32_f32_e32 v14, v15
	s_delay_alu instid0(VALU_DEP_2) | instskip(SKIP_4) | instid1(VALU_DEP_3)
	v_fma_f32 v20, 0x3fb8aa3b, v3, -v7
	v_rndne_f32_e32 v21, v7
	v_fmac_f32_e32 v18, 0x32a5705f, v2
	v_exp_f32_e32 v4, v4
	v_cvt_i32_f32_e32 v15, v17
	v_sub_f32_e32 v7, v7, v21
	v_cvt_i32_f32_e32 v17, v21
	s_waitcnt_depctr 0xfff
	v_ldexp_f32 v4, v4, v14
	s_delay_alu instid0(VALU_DEP_1) | instskip(SKIP_2) | instid1(VALU_DEP_1)
	v_cndmask_b32_e32 v4, 0, v4, vcc_lo
	v_cmp_ngt_f32_e32 vcc_lo, 0xc2ce8ed0, v1
	v_fmac_f32_e32 v20, 0x32a5705f, v3
	v_dual_fmac_f32 v16, 0x32a5705f, v1 :: v_dual_add_f32 v7, v7, v20
	s_delay_alu instid0(VALU_DEP_1) | instskip(SKIP_1) | instid1(VALU_DEP_3)
	v_dual_sub_f32 v6, v6, v19 :: v_dual_add_f32 v5, v5, v16
	v_cvt_i32_f32_e32 v16, v19
	v_exp_f32_e32 v7, v7
	s_delay_alu instid0(VALU_DEP_2) | instskip(SKIP_3) | instid1(VALU_DEP_1)
	v_exp_f32_e32 v5, v5
	s_waitcnt_depctr 0xfff
	v_ldexp_f32 v7, v7, v17
	v_ldexp_f32 v5, v5, v15
	v_dual_cndmask_b32 v5, 0, v5 :: v_dual_add_f32 v6, v6, v18
	v_cmp_ngt_f32_e32 vcc_lo, 0xc2ce8ed0, v2
	s_delay_alu instid0(VALU_DEP_2) | instskip(SKIP_2) | instid1(VALU_DEP_1)
	v_exp_f32_e32 v6, v6
	s_waitcnt_depctr 0xfff
	v_ldexp_f32 v6, v6, v16
	v_cndmask_b32_e32 v6, 0, v6, vcc_lo
	v_cmp_nlt_f32_e32 vcc_lo, 0x42b17218, v0
	v_cndmask_b32_e32 v0, 0x7f800000, v4, vcc_lo
	v_cmp_nlt_f32_e32 vcc_lo, 0x42b17218, v1
	v_cndmask_b32_e32 v1, 0x7f800000, v5, vcc_lo
	v_cmp_ngt_f32_e32 vcc_lo, 0xc2ce8ed0, v3
	s_delay_alu instid0(VALU_DEP_2) | instskip(SKIP_3) | instid1(VALU_DEP_2)
	v_dual_add_f32 v5, v0, v1 :: v_dual_cndmask_b32 v4, 0, v7
	v_cmp_nlt_f32_e32 vcc_lo, 0x42b17218, v2
	v_cndmask_b32_e32 v2, 0x7f800000, v6, vcc_lo
	v_cmp_nlt_f32_e32 vcc_lo, 0x42b17218, v3
	v_dual_cndmask_b32 v3, 0x7f800000, v4 :: v_dual_add_f32 v4, v5, v2
	s_delay_alu instid0(VALU_DEP_1)
	v_add_f32_e32 v4, v4, v3
	ds_bpermute_b32 v5, v10, v4
	s_waitcnt lgkmcnt(0)
	v_add_f32_e32 v4, v4, v5
	ds_bpermute_b32 v5, v11, v4
	s_waitcnt lgkmcnt(0)
	;; [unrolled: 3-line block ×4, first 2 shown]
	v_add_f32_e32 v4, v4, v5
	s_delay_alu instid0(VALU_DEP_1) | instskip(SKIP_1) | instid1(VALU_DEP_2)
	v_div_scale_f32 v5, null, v4, v4, 1.0
	v_div_scale_f32 v14, vcc_lo, 1.0, v4, 1.0
	v_rcp_f32_e32 v6, v5
	s_waitcnt_depctr 0xfff
	v_fma_f32 v7, -v5, v6, 1.0
	s_delay_alu instid0(VALU_DEP_1) | instskip(NEXT) | instid1(VALU_DEP_1)
	v_fmac_f32_e32 v6, v7, v6
	v_mul_f32_e32 v7, v14, v6
	s_delay_alu instid0(VALU_DEP_1) | instskip(NEXT) | instid1(VALU_DEP_1)
	v_fma_f32 v15, -v5, v7, v14
	v_fmac_f32_e32 v7, v15, v6
	s_delay_alu instid0(VALU_DEP_1) | instskip(SKIP_1) | instid1(VALU_DEP_2)
	v_fma_f32 v5, -v5, v7, v14
	v_lshlrev_b32_e32 v14, 2, v9
	v_div_fmas_f32 v5, v5, v6, v7
	s_delay_alu instid0(VALU_DEP_1) | instskip(NEXT) | instid1(VALU_DEP_1)
	v_div_fixup_f32 v4, v5, v4, 1.0
	v_mul_f32_e32 v0, v4, v0
	v_mul_f32_e32 v1, v4, v1
	;; [unrolled: 1-line block ×4, first 2 shown]
	s_delay_alu instid0(VALU_DEP_4)
	v_cmp_class_f32_e64 vcc_lo, v0, 0x1f8
	v_cndmask_b32_e32 v0, 0, v0, vcc_lo
	v_cmp_class_f32_e64 vcc_lo, v1, 0x1f8
	v_cndmask_b32_e32 v1, 0, v1, vcc_lo
	;; [unrolled: 2-line block ×4, first 2 shown]
	s_cbranch_scc1 .LBB12_31
; %bb.4:
	v_lshlrev_b32_e32 v4, 2, v14
	global_load_b128 v[4:7], v4, s[2:3]
	s_waitcnt vmcnt(0)
	v_dual_add_f32 v5, v5, v1 :: v_dual_add_f32 v4, v4, v0
	v_dual_add_f32 v7, v7, v3 :: v_dual_add_f32 v6, v6, v2
	s_cbranch_execnz .LBB12_6
.LBB12_5:
	v_dual_mov_b32 v7, v3 :: v_dual_mov_b32 v6, v2
	v_dual_mov_b32 v5, v1 :: v_dual_mov_b32 v4, v0
.LBB12_6:
	s_load_b128 s[4:7], s[0:1], 0x30
	v_cmp_eq_u32_e64 s2, 0, v9
	s_waitcnt lgkmcnt(0)
	s_bitcmp1_b32 s7, 0
	s_mov_b32 s7, 0
	s_cselect_b32 vcc_lo, -1, 0
	s_cmp_gt_i32 s4, 0
	s_cselect_b32 s3, -1, 0
	s_cmp_lt_i32 s4, 1
	s_cbranch_scc1 .LBB12_32
; %bb.7:
	s_load_b128 s[8:11], s[0:1], 0x20
	v_mul_lo_u32 v16, v8, s4
	v_mov_b32_e32 v15, 0
	v_mov_b32_e32 v17, v8
	s_branch .LBB12_10
.LBB12_8:                               ;   in Loop: Header=BB12_10 Depth=1
	s_or_b32 exec_lo, exec_lo, s1
.LBB12_9:                               ;   in Loop: Header=BB12_10 Depth=1
	v_add_nc_u32_e32 v17, s14, v17
	s_cmp_eq_u32 s4, s7
	s_cbranch_scc1 .LBB12_33
.LBB12_10:                              ; =>This Inner Loop Header: Depth=1
	v_cmp_gt_f32_e64 s0, v5, v4
	s_mov_b32 s17, exec_lo
	s_delay_alu instid0(VALU_DEP_1) | instskip(SKIP_2) | instid1(VALU_DEP_3)
	v_cndmask_b32_e64 v18, v4, v5, s0
	v_cndmask_b32_e64 v19, 0, 1, s0
	v_cndmask_b32_e64 v20, v0, v1, s0
	v_cmp_gt_f32_e64 s1, v6, v18
	s_delay_alu instid0(VALU_DEP_1) | instskip(NEXT) | instid1(VALU_DEP_4)
	v_cndmask_b32_e64 v18, v18, v6, s1
	v_cndmask_b32_e64 v19, v19, 2, s1
	s_waitcnt lgkmcnt(0)
	v_cndmask_b32_e64 v21, v20, v2, s1
	s_delay_alu instid0(VALU_DEP_3) | instskip(NEXT) | instid1(VALU_DEP_1)
	v_cmp_gt_f32_e64 s0, v7, v18
	v_cndmask_b32_e64 v20, v18, v7, s0
	v_cndmask_b32_e64 v18, v19, 3, s0
	s_delay_alu instid0(VALU_DEP_4)
	v_cndmask_b32_e64 v19, v21, v3, s0
	ds_bpermute_b32 v21, v10, v20
	v_or_b32_e32 v18, v14, v18
	ds_bpermute_b32 v23, v10, v19
	ds_bpermute_b32 v22, v10, v18
	s_waitcnt lgkmcnt(0)
	v_cmp_lt_f32_e64 s16, v20, v21
	v_cmpx_nlt_f32_e32 v20, v21
; %bb.11:                               ;   in Loop: Header=BB12_10 Depth=1
	v_cmp_eq_f32_e64 s0, v20, v21
	v_cmp_lt_i32_e64 s1, v22, v18
	s_delay_alu instid0(VALU_DEP_1) | instskip(SKIP_2) | instid1(SALU_CYCLE_1)
	s_and_b32 s0, s0, s1
	s_and_not1_b32 s1, s16, exec_lo
	s_and_b32 s0, s0, exec_lo
	s_or_b32 s16, s1, s0
; %bb.12:                               ;   in Loop: Header=BB12_10 Depth=1
	s_or_b32 exec_lo, exec_lo, s17
	s_and_saveexec_b32 s0, s16
; %bb.13:                               ;   in Loop: Header=BB12_10 Depth=1
	v_dual_mov_b32 v19, v23 :: v_dual_mov_b32 v20, v21
	v_mov_b32_e32 v18, v22
; %bb.14:                               ;   in Loop: Header=BB12_10 Depth=1
	s_or_b32 exec_lo, exec_lo, s0
	ds_bpermute_b32 v22, v11, v20
	ds_bpermute_b32 v23, v11, v19
	;; [unrolled: 1-line block ×3, first 2 shown]
	s_mov_b32 s17, exec_lo
	s_waitcnt lgkmcnt(2)
	v_cmp_lt_f32_e64 s16, v20, v22
	v_cmpx_nlt_f32_e32 v20, v22
	s_cbranch_execz .LBB12_16
; %bb.15:                               ;   in Loop: Header=BB12_10 Depth=1
	v_cmp_eq_f32_e64 s0, v20, v22
	s_waitcnt lgkmcnt(0)
	v_cmp_lt_i32_e64 s1, v21, v18
	s_delay_alu instid0(VALU_DEP_1) | instskip(SKIP_2) | instid1(SALU_CYCLE_1)
	s_and_b32 s0, s0, s1
	s_and_not1_b32 s1, s16, exec_lo
	s_and_b32 s0, s0, exec_lo
	s_or_b32 s16, s1, s0
.LBB12_16:                              ;   in Loop: Header=BB12_10 Depth=1
	s_or_b32 exec_lo, exec_lo, s17
	s_delay_alu instid0(VALU_DEP_2)
	s_and_saveexec_b32 s0, s16
	s_cbranch_execz .LBB12_18
; %bb.17:                               ;   in Loop: Header=BB12_10 Depth=1
	s_waitcnt lgkmcnt(1)
	v_dual_mov_b32 v19, v23 :: v_dual_mov_b32 v20, v22
	s_waitcnt lgkmcnt(0)
	v_mov_b32_e32 v18, v21
.LBB12_18:                              ;   in Loop: Header=BB12_10 Depth=1
	s_or_b32 exec_lo, exec_lo, s0
	ds_bpermute_b32 v22, v12, v20
	s_waitcnt lgkmcnt(2)
	ds_bpermute_b32 v23, v12, v19
	s_waitcnt lgkmcnt(2)
	ds_bpermute_b32 v21, v12, v18
	s_mov_b32 s17, exec_lo
	s_waitcnt lgkmcnt(2)
	v_cmp_lt_f32_e64 s16, v20, v22
	v_cmpx_nlt_f32_e32 v20, v22
	s_cbranch_execz .LBB12_20
; %bb.19:                               ;   in Loop: Header=BB12_10 Depth=1
	v_cmp_eq_f32_e64 s0, v20, v22
	s_waitcnt lgkmcnt(0)
	v_cmp_lt_i32_e64 s1, v21, v18
	s_delay_alu instid0(VALU_DEP_1) | instskip(SKIP_2) | instid1(SALU_CYCLE_1)
	s_and_b32 s0, s0, s1
	s_and_not1_b32 s1, s16, exec_lo
	s_and_b32 s0, s0, exec_lo
	s_or_b32 s16, s1, s0
.LBB12_20:                              ;   in Loop: Header=BB12_10 Depth=1
	s_or_b32 exec_lo, exec_lo, s17
	s_delay_alu instid0(VALU_DEP_2)
	s_and_saveexec_b32 s0, s16
	s_cbranch_execz .LBB12_22
; %bb.21:                               ;   in Loop: Header=BB12_10 Depth=1
	s_waitcnt lgkmcnt(1)
	v_dual_mov_b32 v19, v23 :: v_dual_mov_b32 v20, v22
	s_waitcnt lgkmcnt(0)
	v_mov_b32_e32 v18, v21
.LBB12_22:                              ;   in Loop: Header=BB12_10 Depth=1
	s_or_b32 exec_lo, exec_lo, s0
	s_waitcnt lgkmcnt(1)
	ds_bpermute_b32 v23, v13, v20
	ds_bpermute_b32 v22, v13, v19
	s_waitcnt lgkmcnt(2)
	ds_bpermute_b32 v21, v13, v18
	s_mov_b32 s17, exec_lo
	s_waitcnt lgkmcnt(2)
	v_cmp_lt_f32_e64 s16, v20, v23
	v_cmpx_nlt_f32_e32 v20, v23
	s_cbranch_execnz .LBB12_26
; %bb.23:                               ;   in Loop: Header=BB12_10 Depth=1
	s_or_b32 exec_lo, exec_lo, s17
	s_delay_alu instid0(VALU_DEP_2)
	s_and_saveexec_b32 s0, s16
	s_cbranch_execnz .LBB12_27
.LBB12_24:                              ;   in Loop: Header=BB12_10 Depth=1
	s_or_b32 exec_lo, exec_lo, s0
	s_and_saveexec_b32 s16, s2
	s_cbranch_execnz .LBB12_28
.LBB12_25:                              ;   in Loop: Header=BB12_10 Depth=1
	s_or_b32 exec_lo, exec_lo, s16
	s_add_i32 s7, s7, 1
	s_delay_alu instid0(SALU_CYCLE_1)
	s_cmp_ge_i32 s7, s4
	s_cbranch_scc1 .LBB12_9
	s_branch .LBB12_29
.LBB12_26:                              ;   in Loop: Header=BB12_10 Depth=1
	v_cmp_eq_f32_e64 s0, v20, v23
	s_waitcnt lgkmcnt(0)
	v_cmp_lt_i32_e64 s1, v21, v18
	s_delay_alu instid0(VALU_DEP_1) | instskip(SKIP_2) | instid1(SALU_CYCLE_1)
	s_and_b32 s0, s0, s1
	s_and_not1_b32 s1, s16, exec_lo
	s_and_b32 s0, s0, exec_lo
	s_or_b32 s16, s1, s0
	s_or_b32 exec_lo, exec_lo, s17
	s_and_saveexec_b32 s0, s16
	s_cbranch_execz .LBB12_24
.LBB12_27:                              ;   in Loop: Header=BB12_10 Depth=1
	s_waitcnt lgkmcnt(0)
	v_dual_mov_b32 v19, v22 :: v_dual_mov_b32 v18, v21
	s_or_b32 exec_lo, exec_lo, s0
	s_and_saveexec_b32 s16, s2
	s_cbranch_execz .LBB12_25
.LBB12_28:                              ;   in Loop: Header=BB12_10 Depth=1
	s_delay_alu instid0(VALU_DEP_1)
	v_dual_add_f32 v27, v15, v19 :: v_dual_add_nc_u32 v20, s7, v16
	v_cmp_le_i32_e64 s0, s5, v18
	v_cmp_gt_i32_e64 s1, s6, v18
	s_waitcnt lgkmcnt(1)
	v_subrev_nc_u32_e32 v22, s5, v18
	s_waitcnt lgkmcnt(0)
	v_ashrrev_i32_e32 v21, 31, v20
	v_cndmask_b32_e32 v15, v15, v27, vcc_lo
	s_and_b32 s0, s0, s1
	s_delay_alu instid0(SALU_CYCLE_1) | instskip(NEXT) | instid1(VALU_DEP_2)
	s_and_b32 s0, s15, s0
	v_lshlrev_b64 v[20:21], 2, v[20:21]
	v_cndmask_b32_e64 v26, 64, v22, s0
	s_delay_alu instid0(VALU_DEP_2) | instskip(NEXT) | instid1(VALU_DEP_1)
	v_add_co_u32 v22, s0, s12, v20
	v_add_co_ci_u32_e64 v23, s0, s13, v21, s0
	v_add_co_u32 v24, s0, s8, v20
	s_delay_alu instid0(VALU_DEP_1) | instskip(SKIP_1) | instid1(VALU_DEP_1)
	v_add_co_ci_u32_e64 v25, s0, s9, v21, s0
	v_add_co_u32 v20, s0, s10, v20
	v_add_co_ci_u32_e64 v21, s0, s11, v21, s0
	global_store_b32 v[22:23], v19, off
	global_store_b32 v[24:25], v26, off
	;; [unrolled: 1-line block ×3, first 2 shown]
	s_or_b32 exec_lo, exec_lo, s16
	s_add_i32 s7, s7, 1
	s_delay_alu instid0(SALU_CYCLE_1)
	s_cmp_ge_i32 s7, s4
	s_cbranch_scc1 .LBB12_9
.LBB12_29:                              ;   in Loop: Header=BB12_10 Depth=1
	v_ashrrev_i32_e32 v19, 31, v18
	s_mov_b32 s1, exec_lo
	s_delay_alu instid0(VALU_DEP_1) | instskip(NEXT) | instid1(VALU_DEP_1)
	v_lshrrev_b32_e32 v20, 30, v19
	v_add_nc_u32_e32 v20, v18, v20
	s_waitcnt lgkmcnt(0)
	s_delay_alu instid0(VALU_DEP_1) | instskip(SKIP_1) | instid1(VALU_DEP_2)
	v_ashrrev_i32_e32 v21, 31, v20
	v_ashrrev_i32_e32 v20, 2, v20
	v_lshrrev_b32_e32 v21, 28, v21
	s_delay_alu instid0(VALU_DEP_1) | instskip(NEXT) | instid1(VALU_DEP_1)
	v_add_nc_u32_e32 v21, v20, v21
	v_and_b32_e32 v21, -16, v21
	s_delay_alu instid0(VALU_DEP_1) | instskip(NEXT) | instid1(VALU_DEP_1)
	v_sub_nc_u32_e32 v21, v20, v21
	v_cmpx_eq_u32_e64 v9, v21
	s_cbranch_execz .LBB12_8
; %bb.30:                               ;   in Loop: Header=BB12_10 Depth=1
	v_lshrrev_b32_e32 v19, 26, v19
	v_lshlrev_b32_e32 v20, 2, v20
	s_delay_alu instid0(VALU_DEP_2) | instskip(NEXT) | instid1(VALU_DEP_2)
	v_add_nc_u32_e32 v19, v18, v19
	v_sub_nc_u32_e32 v18, v18, v20
	s_delay_alu instid0(VALU_DEP_2) | instskip(NEXT) | instid1(VALU_DEP_1)
	v_ashrrev_i32_e32 v19, 6, v19
	v_lshl_add_u32 v18, v19, 2, v18
	s_delay_alu instid0(VALU_DEP_1) | instskip(NEXT) | instid1(VALU_DEP_1)
	v_cmp_ne_u32_e64 s0, 3, v18
	v_cndmask_b32_e64 v7, 0xc61c4000, v7, s0
	v_cmp_ne_u32_e64 s0, 2, v18
	s_delay_alu instid0(VALU_DEP_1) | instskip(SKIP_1) | instid1(VALU_DEP_1)
	v_cndmask_b32_e64 v6, 0xc61c4000, v6, s0
	v_cmp_ne_u32_e64 s0, 1, v18
	v_cndmask_b32_e64 v5, 0xc61c4000, v5, s0
	v_cmp_ne_u32_e64 s0, 0, v18
	s_delay_alu instid0(VALU_DEP_1)
	v_cndmask_b32_e64 v4, 0xc61c4000, v4, s0
	s_branch .LBB12_8
.LBB12_31:
                                        ; implicit-def: $vgpr4_vgpr5_vgpr6_vgpr7
	s_and_not1_b32 vcc_lo, exec_lo, s8
	s_cbranch_vccz .LBB12_5
	s_branch .LBB12_6
.LBB12_32:
	v_mov_b32_e32 v15, 0
.LBB12_33:
	v_cmp_eq_u32_e64 s0, 0, v9
	s_delay_alu instid0(VALU_DEP_1) | instskip(NEXT) | instid1(SALU_CYCLE_1)
	s_and_b32 s0, s0, vcc_lo
	s_and_b32 exec_lo, exec_lo, s0
	s_cbranch_execz .LBB12_37
; %bb.34:
	s_and_not1_b32 vcc_lo, exec_lo, s3
	s_cbranch_vccnz .LBB12_37
; %bb.35:
	v_mul_lo_u32 v0, v8, s4
	v_cmp_lt_f32_e32 vcc_lo, 0, v15
	v_cndmask_b32_e32 v2, 1.0, v15, vcc_lo
	s_delay_alu instid0(VALU_DEP_3) | instskip(NEXT) | instid1(VALU_DEP_1)
	v_ashrrev_i32_e32 v1, 31, v0
	v_lshlrev_b64 v[0:1], 2, v[0:1]
	s_delay_alu instid0(VALU_DEP_1) | instskip(NEXT) | instid1(VALU_DEP_2)
	v_add_co_u32 v0, vcc_lo, s12, v0
	v_add_co_ci_u32_e32 v1, vcc_lo, s13, v1, vcc_lo
	.p2align	6
.LBB12_36:                              ; =>This Inner Loop Header: Depth=1
	global_load_b32 v3, v[0:1], off
	s_add_i32 s4, s4, -1
	s_delay_alu instid0(SALU_CYCLE_1) | instskip(SKIP_3) | instid1(VALU_DEP_2)
	s_cmp_lg_u32 s4, 0
	s_waitcnt vmcnt(0)
	v_div_scale_f32 v4, null, v2, v2, v3
	v_div_scale_f32 v7, vcc_lo, v3, v2, v3
	v_rcp_f32_e32 v5, v4
	s_waitcnt_depctr 0xfff
	v_fma_f32 v6, -v4, v5, 1.0
	s_delay_alu instid0(VALU_DEP_1) | instskip(NEXT) | instid1(VALU_DEP_1)
	v_fmac_f32_e32 v5, v6, v5
	v_mul_f32_e32 v6, v7, v5
	s_delay_alu instid0(VALU_DEP_1) | instskip(NEXT) | instid1(VALU_DEP_1)
	v_fma_f32 v8, -v4, v6, v7
	v_fmac_f32_e32 v6, v8, v5
	s_delay_alu instid0(VALU_DEP_1) | instskip(NEXT) | instid1(VALU_DEP_1)
	v_fma_f32 v4, -v4, v6, v7
	v_div_fmas_f32 v4, v4, v5, v6
	s_delay_alu instid0(VALU_DEP_1)
	v_div_fixup_f32 v3, v4, v2, v3
	global_store_b32 v[0:1], v3, off
	v_add_co_u32 v0, vcc_lo, v0, 4
	v_add_co_ci_u32_e32 v1, vcc_lo, 0, v1, vcc_lo
	s_cbranch_scc1 .LBB12_36
.LBB12_37:
	s_nop 0
	s_sendmsg sendmsg(MSG_DEALLOC_VGPRS)
	s_endpgm
	.section	.rodata,"a",@progbits
	.p2align	6, 0x0
	.amdhsa_kernel _ZN4vllm3moe10topkGatingILi4ELi64ELi4ELi16ELi64EifLNS0_11ScoringFuncE0EEEvPKT5_PKbPfiPT4_PiiiibPKf
		.amdhsa_group_segment_fixed_size 0
		.amdhsa_private_segment_fixed_size 0
		.amdhsa_kernarg_size 72
		.amdhsa_user_sgpr_count 15
		.amdhsa_user_sgpr_dispatch_ptr 0
		.amdhsa_user_sgpr_queue_ptr 0
		.amdhsa_user_sgpr_kernarg_segment_ptr 1
		.amdhsa_user_sgpr_dispatch_id 0
		.amdhsa_user_sgpr_private_segment_size 0
		.amdhsa_wavefront_size32 1
		.amdhsa_uses_dynamic_stack 0
		.amdhsa_enable_private_segment 0
		.amdhsa_system_sgpr_workgroup_id_x 1
		.amdhsa_system_sgpr_workgroup_id_y 0
		.amdhsa_system_sgpr_workgroup_id_z 0
		.amdhsa_system_sgpr_workgroup_info 0
		.amdhsa_system_vgpr_workitem_id 1
		.amdhsa_next_free_vgpr 28
		.amdhsa_next_free_sgpr 18
		.amdhsa_reserve_vcc 1
		.amdhsa_float_round_mode_32 0
		.amdhsa_float_round_mode_16_64 0
		.amdhsa_float_denorm_mode_32 3
		.amdhsa_float_denorm_mode_16_64 3
		.amdhsa_dx10_clamp 1
		.amdhsa_ieee_mode 1
		.amdhsa_fp16_overflow 0
		.amdhsa_workgroup_processor_mode 1
		.amdhsa_memory_ordered 1
		.amdhsa_forward_progress 0
		.amdhsa_shared_vgpr_count 0
		.amdhsa_exception_fp_ieee_invalid_op 0
		.amdhsa_exception_fp_denorm_src 0
		.amdhsa_exception_fp_ieee_div_zero 0
		.amdhsa_exception_fp_ieee_overflow 0
		.amdhsa_exception_fp_ieee_underflow 0
		.amdhsa_exception_fp_ieee_inexact 0
		.amdhsa_exception_int_div_zero 0
	.end_amdhsa_kernel
	.section	.text._ZN4vllm3moe10topkGatingILi4ELi64ELi4ELi16ELi64EifLNS0_11ScoringFuncE0EEEvPKT5_PKbPfiPT4_PiiiibPKf,"axG",@progbits,_ZN4vllm3moe10topkGatingILi4ELi64ELi4ELi16ELi64EifLNS0_11ScoringFuncE0EEEvPKT5_PKbPfiPT4_PiiiibPKf,comdat
.Lfunc_end12:
	.size	_ZN4vllm3moe10topkGatingILi4ELi64ELi4ELi16ELi64EifLNS0_11ScoringFuncE0EEEvPKT5_PKbPfiPT4_PiiiibPKf, .Lfunc_end12-_ZN4vllm3moe10topkGatingILi4ELi64ELi4ELi16ELi64EifLNS0_11ScoringFuncE0EEEvPKT5_PKbPfiPT4_PiiiibPKf
                                        ; -- End function
	.section	.AMDGPU.csdata,"",@progbits
; Kernel info:
; codeLenInByte = 2560
; NumSgprs: 20
; NumVgprs: 28
; ScratchSize: 0
; MemoryBound: 0
; FloatMode: 240
; IeeeMode: 1
; LDSByteSize: 0 bytes/workgroup (compile time only)
; SGPRBlocks: 2
; VGPRBlocks: 3
; NumSGPRsForWavesPerEU: 20
; NumVGPRsForWavesPerEU: 28
; Occupancy: 16
; WaveLimiterHint : 0
; COMPUTE_PGM_RSRC2:SCRATCH_EN: 0
; COMPUTE_PGM_RSRC2:USER_SGPR: 15
; COMPUTE_PGM_RSRC2:TRAP_HANDLER: 0
; COMPUTE_PGM_RSRC2:TGID_X_EN: 1
; COMPUTE_PGM_RSRC2:TGID_Y_EN: 0
; COMPUTE_PGM_RSRC2:TGID_Z_EN: 0
; COMPUTE_PGM_RSRC2:TIDIG_COMP_CNT: 1
	.section	.text._ZN4vllm3moe10topkGatingILi4ELi64ELi4ELi16ELi32EifLNS0_11ScoringFuncE0EEEvPKT5_PKbPfiPT4_PiiiibPKf,"axG",@progbits,_ZN4vllm3moe10topkGatingILi4ELi64ELi4ELi16ELi32EifLNS0_11ScoringFuncE0EEEvPKT5_PKbPfiPT4_PiiiibPKf,comdat
	.protected	_ZN4vllm3moe10topkGatingILi4ELi64ELi4ELi16ELi32EifLNS0_11ScoringFuncE0EEEvPKT5_PKbPfiPT4_PiiiibPKf ; -- Begin function _ZN4vllm3moe10topkGatingILi4ELi64ELi4ELi16ELi32EifLNS0_11ScoringFuncE0EEEvPKT5_PKbPfiPT4_PiiiibPKf
	.globl	_ZN4vllm3moe10topkGatingILi4ELi64ELi4ELi16ELi32EifLNS0_11ScoringFuncE0EEEvPKT5_PKbPfiPT4_PiiiibPKf
	.p2align	8
	.type	_ZN4vllm3moe10topkGatingILi4ELi64ELi4ELi16ELi32EifLNS0_11ScoringFuncE0EEEvPKT5_PKbPfiPT4_PiiiibPKf,@function
_ZN4vllm3moe10topkGatingILi4ELi64ELi4ELi16ELi32EifLNS0_11ScoringFuncE0EEEvPKT5_PKbPfiPT4_PiiiibPKf: ; @_ZN4vllm3moe10topkGatingILi4ELi64ELi4ELi16ELi32EifLNS0_11ScoringFuncE0EEEvPKT5_PKbPfiPT4_PiiiibPKf
; %bb.0:
	s_load_b32 s14, s[0:1], 0x18
	v_bfe_u32 v1, v0, 10, 10
	v_and_b32_e32 v0, 0x3ff, v0
	s_lshl_b32 s2, s15, 3
	s_delay_alu instid0(VALU_DEP_2) | instskip(NEXT) | instid1(VALU_DEP_2)
	v_lshlrev_b32_e32 v1, 1, v1
	v_lshrrev_b32_e32 v2, 4, v0
	s_delay_alu instid0(VALU_DEP_1) | instskip(SKIP_2) | instid1(VALU_DEP_1)
	v_add3_u32 v8, s2, v1, v2
	s_mov_b32 s2, exec_lo
	s_waitcnt lgkmcnt(0)
	v_cmpx_gt_i32_e64 s14, v8
	s_cbranch_execz .LBB13_37
; %bb.1:
	s_clause 0x1
	s_load_b128 s[4:7], s[0:1], 0x0
	s_load_b64 s[12:13], s[0:1], 0x10
	s_mov_b32 s8, -1
	s_mov_b32 s15, -1
	s_waitcnt lgkmcnt(0)
	s_cmp_eq_u64 s[6:7], 0
	s_cbranch_scc1 .LBB13_3
; %bb.2:
	v_ashrrev_i32_e32 v2, 31, v8
	v_add_co_u32 v1, vcc_lo, s6, v8
	s_delay_alu instid0(VALU_DEP_2) | instskip(SKIP_3) | instid1(VALU_DEP_1)
	v_add_co_ci_u32_e32 v2, vcc_lo, s7, v2, vcc_lo
	global_load_u8 v1, v[1:2], off
	s_waitcnt vmcnt(0)
	v_and_b32_e32 v1, 1, v1
	v_cmp_eq_u32_e32 vcc_lo, 1, v1
	s_xor_b32 s2, vcc_lo, -1
	s_delay_alu instid0(SALU_CYCLE_1)
	s_or_not1_b32 s15, s2, exec_lo
.LBB13_3:
	v_mbcnt_lo_u32_b32 v4, -1, 0
	v_and_b32_e32 v9, 15, v0
	s_load_b64 s[2:3], s[0:1], 0x40
	s_delay_alu instid0(VALU_DEP_2)
	v_xor_b32_e32 v6, 8, v4
	v_lshlrev_b32_e32 v1, 6, v8
	v_and_b32_e32 v5, 16, v4
	v_xor_b32_e32 v11, 4, v4
	v_xor_b32_e32 v12, 2, v4
	;; [unrolled: 1-line block ×3, first 2 shown]
	v_ashrrev_i32_e32 v2, 31, v1
	s_delay_alu instid0(VALU_DEP_1) | instskip(SKIP_3) | instid1(VALU_DEP_2)
	v_lshlrev_b64 v[0:1], 2, v[1:2]
	v_lshlrev_b32_e32 v2, 4, v9
	s_waitcnt lgkmcnt(0)
	s_cmp_eq_u64 s[2:3], 0
	v_add_co_u32 v0, vcc_lo, s4, v0
	s_delay_alu instid0(VALU_DEP_3) | instskip(NEXT) | instid1(VALU_DEP_2)
	v_add_co_ci_u32_e32 v1, vcc_lo, s5, v1, vcc_lo
	v_add_co_u32 v0, vcc_lo, v0, v2
	s_delay_alu instid0(VALU_DEP_2) | instskip(SKIP_3) | instid1(VALU_DEP_1)
	v_add_co_ci_u32_e32 v1, vcc_lo, 0, v1, vcc_lo
	global_load_b128 v[0:3], v[0:1], off
	s_waitcnt vmcnt(0)
	v_dual_max_f32 v10, v0, v0 :: v_dual_add_nc_u32 v5, 16, v5
	v_cmp_lt_i32_e32 vcc_lo, v6, v5
	v_dual_cndmask_b32 v6, v4, v6 :: v_dual_max_f32 v7, v1, v1
	v_cmp_lt_i32_e32 vcc_lo, v11, v5
	s_delay_alu instid0(VALU_DEP_2) | instskip(SKIP_2) | instid1(VALU_DEP_3)
	v_dual_max_f32 v7, v10, v7 :: v_dual_lshlrev_b32 v10, 2, v6
	v_cndmask_b32_e32 v11, v4, v11, vcc_lo
	v_cmp_lt_i32_e32 vcc_lo, v12, v5
	v_max3_f32 v6, v7, v2, v3
	v_cndmask_b32_e32 v12, v4, v12, vcc_lo
	v_cmp_lt_i32_e32 vcc_lo, v13, v5
	ds_bpermute_b32 v7, v10, v6
	v_lshlrev_b32_e32 v12, 2, v12
	v_dual_cndmask_b32 v4, v4, v13 :: v_dual_lshlrev_b32 v11, 2, v11
	s_delay_alu instid0(VALU_DEP_1) | instskip(SKIP_2) | instid1(VALU_DEP_1)
	v_lshlrev_b32_e32 v13, 2, v4
	s_waitcnt lgkmcnt(0)
	v_max_f32_e32 v7, v7, v7
	v_max_f32_e32 v6, v6, v7
	ds_bpermute_b32 v7, v11, v6
	s_waitcnt lgkmcnt(0)
	v_max_f32_e32 v7, v7, v7
	s_delay_alu instid0(VALU_DEP_1) | instskip(SKIP_3) | instid1(VALU_DEP_1)
	v_max_f32_e32 v6, v6, v7
	ds_bpermute_b32 v7, v12, v6
	s_waitcnt lgkmcnt(0)
	v_max_f32_e32 v5, v7, v7
	v_max_f32_e32 v4, v6, v5
	ds_bpermute_b32 v5, v13, v4
	s_waitcnt lgkmcnt(0)
	v_max_f32_e32 v5, v5, v5
	s_delay_alu instid0(VALU_DEP_1) | instskip(NEXT) | instid1(VALU_DEP_1)
	v_max_f32_e32 v4, v4, v5
	v_sub_f32_e32 v2, v2, v4
	v_sub_f32_e32 v0, v0, v4
	v_sub_f32_e32 v1, v1, v4
	s_delay_alu instid0(VALU_DEP_3) | instskip(NEXT) | instid1(VALU_DEP_2)
	v_dual_sub_f32 v3, v3, v4 :: v_dual_mul_f32 v6, 0x3fb8aa3b, v2
	v_dual_mul_f32 v4, 0x3fb8aa3b, v0 :: v_dual_mul_f32 v5, 0x3fb8aa3b, v1
	v_cmp_ngt_f32_e32 vcc_lo, 0xc2ce8ed0, v0
	s_delay_alu instid0(VALU_DEP_3) | instskip(NEXT) | instid1(VALU_DEP_3)
	v_fma_f32 v18, 0x3fb8aa3b, v2, -v6
	v_fma_f32 v14, 0x3fb8aa3b, v0, -v4
	v_rndne_f32_e32 v15, v4
	v_rndne_f32_e32 v17, v5
	v_fma_f32 v16, 0x3fb8aa3b, v1, -v5
	v_rndne_f32_e32 v19, v6
	v_fmac_f32_e32 v14, 0x32a5705f, v0
	s_delay_alu instid0(VALU_DEP_4) | instskip(NEXT) | instid1(VALU_DEP_1)
	v_dual_sub_f32 v4, v4, v15 :: v_dual_sub_f32 v5, v5, v17
	v_dual_mul_f32 v7, 0x3fb8aa3b, v3 :: v_dual_add_f32 v4, v4, v14
	v_cvt_i32_f32_e32 v14, v15
	s_delay_alu instid0(VALU_DEP_2) | instskip(SKIP_4) | instid1(VALU_DEP_3)
	v_fma_f32 v20, 0x3fb8aa3b, v3, -v7
	v_rndne_f32_e32 v21, v7
	v_fmac_f32_e32 v18, 0x32a5705f, v2
	v_exp_f32_e32 v4, v4
	v_cvt_i32_f32_e32 v15, v17
	v_sub_f32_e32 v7, v7, v21
	v_cvt_i32_f32_e32 v17, v21
	s_waitcnt_depctr 0xfff
	v_ldexp_f32 v4, v4, v14
	s_delay_alu instid0(VALU_DEP_1) | instskip(SKIP_2) | instid1(VALU_DEP_1)
	v_cndmask_b32_e32 v4, 0, v4, vcc_lo
	v_cmp_ngt_f32_e32 vcc_lo, 0xc2ce8ed0, v1
	v_fmac_f32_e32 v20, 0x32a5705f, v3
	v_dual_fmac_f32 v16, 0x32a5705f, v1 :: v_dual_add_f32 v7, v7, v20
	s_delay_alu instid0(VALU_DEP_1) | instskip(SKIP_1) | instid1(VALU_DEP_3)
	v_dual_sub_f32 v6, v6, v19 :: v_dual_add_f32 v5, v5, v16
	v_cvt_i32_f32_e32 v16, v19
	v_exp_f32_e32 v7, v7
	s_delay_alu instid0(VALU_DEP_2) | instskip(SKIP_3) | instid1(VALU_DEP_1)
	v_exp_f32_e32 v5, v5
	s_waitcnt_depctr 0xfff
	v_ldexp_f32 v7, v7, v17
	v_ldexp_f32 v5, v5, v15
	v_dual_cndmask_b32 v5, 0, v5 :: v_dual_add_f32 v6, v6, v18
	v_cmp_ngt_f32_e32 vcc_lo, 0xc2ce8ed0, v2
	s_delay_alu instid0(VALU_DEP_2) | instskip(SKIP_2) | instid1(VALU_DEP_1)
	v_exp_f32_e32 v6, v6
	s_waitcnt_depctr 0xfff
	v_ldexp_f32 v6, v6, v16
	v_cndmask_b32_e32 v6, 0, v6, vcc_lo
	v_cmp_nlt_f32_e32 vcc_lo, 0x42b17218, v0
	v_cndmask_b32_e32 v0, 0x7f800000, v4, vcc_lo
	v_cmp_nlt_f32_e32 vcc_lo, 0x42b17218, v1
	v_cndmask_b32_e32 v1, 0x7f800000, v5, vcc_lo
	v_cmp_ngt_f32_e32 vcc_lo, 0xc2ce8ed0, v3
	s_delay_alu instid0(VALU_DEP_2) | instskip(SKIP_3) | instid1(VALU_DEP_2)
	v_dual_add_f32 v5, v0, v1 :: v_dual_cndmask_b32 v4, 0, v7
	v_cmp_nlt_f32_e32 vcc_lo, 0x42b17218, v2
	v_cndmask_b32_e32 v2, 0x7f800000, v6, vcc_lo
	v_cmp_nlt_f32_e32 vcc_lo, 0x42b17218, v3
	v_dual_cndmask_b32 v3, 0x7f800000, v4 :: v_dual_add_f32 v4, v5, v2
	s_delay_alu instid0(VALU_DEP_1)
	v_add_f32_e32 v4, v4, v3
	ds_bpermute_b32 v5, v10, v4
	s_waitcnt lgkmcnt(0)
	v_add_f32_e32 v4, v4, v5
	ds_bpermute_b32 v5, v11, v4
	s_waitcnt lgkmcnt(0)
	v_add_f32_e32 v4, v4, v5
	ds_bpermute_b32 v5, v12, v4
	s_waitcnt lgkmcnt(0)
	v_add_f32_e32 v4, v4, v5
	ds_bpermute_b32 v5, v13, v4
	s_waitcnt lgkmcnt(0)
	v_add_f32_e32 v4, v4, v5
	s_delay_alu instid0(VALU_DEP_1) | instskip(SKIP_1) | instid1(VALU_DEP_2)
	v_div_scale_f32 v5, null, v4, v4, 1.0
	v_div_scale_f32 v14, vcc_lo, 1.0, v4, 1.0
	v_rcp_f32_e32 v6, v5
	s_waitcnt_depctr 0xfff
	v_fma_f32 v7, -v5, v6, 1.0
	s_delay_alu instid0(VALU_DEP_1) | instskip(NEXT) | instid1(VALU_DEP_1)
	v_fmac_f32_e32 v6, v7, v6
	v_mul_f32_e32 v7, v14, v6
	s_delay_alu instid0(VALU_DEP_1) | instskip(NEXT) | instid1(VALU_DEP_1)
	v_fma_f32 v15, -v5, v7, v14
	v_fmac_f32_e32 v7, v15, v6
	s_delay_alu instid0(VALU_DEP_1) | instskip(SKIP_1) | instid1(VALU_DEP_2)
	v_fma_f32 v5, -v5, v7, v14
	v_lshlrev_b32_e32 v14, 2, v9
	v_div_fmas_f32 v5, v5, v6, v7
	s_delay_alu instid0(VALU_DEP_1) | instskip(NEXT) | instid1(VALU_DEP_1)
	v_div_fixup_f32 v4, v5, v4, 1.0
	v_mul_f32_e32 v0, v4, v0
	v_mul_f32_e32 v1, v4, v1
	;; [unrolled: 1-line block ×4, first 2 shown]
	s_delay_alu instid0(VALU_DEP_4)
	v_cmp_class_f32_e64 vcc_lo, v0, 0x1f8
	v_cndmask_b32_e32 v0, 0, v0, vcc_lo
	v_cmp_class_f32_e64 vcc_lo, v1, 0x1f8
	v_cndmask_b32_e32 v1, 0, v1, vcc_lo
	;; [unrolled: 2-line block ×4, first 2 shown]
	s_cbranch_scc1 .LBB13_31
; %bb.4:
	v_lshlrev_b32_e32 v4, 2, v14
	global_load_b128 v[4:7], v4, s[2:3]
	s_waitcnt vmcnt(0)
	v_dual_add_f32 v5, v5, v1 :: v_dual_add_f32 v4, v4, v0
	v_dual_add_f32 v7, v7, v3 :: v_dual_add_f32 v6, v6, v2
	s_cbranch_execnz .LBB13_6
.LBB13_5:
	v_dual_mov_b32 v7, v3 :: v_dual_mov_b32 v6, v2
	v_dual_mov_b32 v5, v1 :: v_dual_mov_b32 v4, v0
.LBB13_6:
	s_load_b128 s[4:7], s[0:1], 0x30
	v_cmp_eq_u32_e64 s2, 0, v9
	s_waitcnt lgkmcnt(0)
	s_bitcmp1_b32 s7, 0
	s_mov_b32 s7, 0
	s_cselect_b32 vcc_lo, -1, 0
	s_cmp_gt_i32 s4, 0
	s_cselect_b32 s3, -1, 0
	s_cmp_lt_i32 s4, 1
	s_cbranch_scc1 .LBB13_32
; %bb.7:
	s_load_b128 s[8:11], s[0:1], 0x20
	v_mul_lo_u32 v16, v8, s4
	v_mov_b32_e32 v15, 0
	v_mov_b32_e32 v17, v8
	s_branch .LBB13_10
.LBB13_8:                               ;   in Loop: Header=BB13_10 Depth=1
	s_or_b32 exec_lo, exec_lo, s1
.LBB13_9:                               ;   in Loop: Header=BB13_10 Depth=1
	v_add_nc_u32_e32 v17, s14, v17
	s_cmp_eq_u32 s4, s7
	s_cbranch_scc1 .LBB13_33
.LBB13_10:                              ; =>This Inner Loop Header: Depth=1
	v_cmp_gt_f32_e64 s0, v5, v4
	s_mov_b32 s17, exec_lo
	s_delay_alu instid0(VALU_DEP_1) | instskip(SKIP_2) | instid1(VALU_DEP_3)
	v_cndmask_b32_e64 v18, v4, v5, s0
	v_cndmask_b32_e64 v19, 0, 1, s0
	;; [unrolled: 1-line block ×3, first 2 shown]
	v_cmp_gt_f32_e64 s1, v6, v18
	s_delay_alu instid0(VALU_DEP_1) | instskip(NEXT) | instid1(VALU_DEP_4)
	v_cndmask_b32_e64 v18, v18, v6, s1
	v_cndmask_b32_e64 v19, v19, 2, s1
	s_waitcnt lgkmcnt(0)
	v_cndmask_b32_e64 v21, v20, v2, s1
	s_delay_alu instid0(VALU_DEP_3) | instskip(NEXT) | instid1(VALU_DEP_1)
	v_cmp_gt_f32_e64 s0, v7, v18
	v_cndmask_b32_e64 v20, v18, v7, s0
	v_cndmask_b32_e64 v18, v19, 3, s0
	s_delay_alu instid0(VALU_DEP_4)
	v_cndmask_b32_e64 v19, v21, v3, s0
	ds_bpermute_b32 v21, v10, v20
	v_or_b32_e32 v18, v14, v18
	ds_bpermute_b32 v23, v10, v19
	ds_bpermute_b32 v22, v10, v18
	s_waitcnt lgkmcnt(0)
	v_cmp_lt_f32_e64 s16, v20, v21
	v_cmpx_nlt_f32_e32 v20, v21
; %bb.11:                               ;   in Loop: Header=BB13_10 Depth=1
	v_cmp_eq_f32_e64 s0, v20, v21
	v_cmp_lt_i32_e64 s1, v22, v18
	s_delay_alu instid0(VALU_DEP_1) | instskip(SKIP_2) | instid1(SALU_CYCLE_1)
	s_and_b32 s0, s0, s1
	s_and_not1_b32 s1, s16, exec_lo
	s_and_b32 s0, s0, exec_lo
	s_or_b32 s16, s1, s0
; %bb.12:                               ;   in Loop: Header=BB13_10 Depth=1
	s_or_b32 exec_lo, exec_lo, s17
	s_and_saveexec_b32 s0, s16
; %bb.13:                               ;   in Loop: Header=BB13_10 Depth=1
	v_dual_mov_b32 v19, v23 :: v_dual_mov_b32 v20, v21
	v_mov_b32_e32 v18, v22
; %bb.14:                               ;   in Loop: Header=BB13_10 Depth=1
	s_or_b32 exec_lo, exec_lo, s0
	ds_bpermute_b32 v22, v11, v20
	ds_bpermute_b32 v23, v11, v19
	;; [unrolled: 1-line block ×3, first 2 shown]
	s_mov_b32 s17, exec_lo
	s_waitcnt lgkmcnt(2)
	v_cmp_lt_f32_e64 s16, v20, v22
	v_cmpx_nlt_f32_e32 v20, v22
	s_cbranch_execz .LBB13_16
; %bb.15:                               ;   in Loop: Header=BB13_10 Depth=1
	v_cmp_eq_f32_e64 s0, v20, v22
	s_waitcnt lgkmcnt(0)
	v_cmp_lt_i32_e64 s1, v21, v18
	s_delay_alu instid0(VALU_DEP_1) | instskip(SKIP_2) | instid1(SALU_CYCLE_1)
	s_and_b32 s0, s0, s1
	s_and_not1_b32 s1, s16, exec_lo
	s_and_b32 s0, s0, exec_lo
	s_or_b32 s16, s1, s0
.LBB13_16:                              ;   in Loop: Header=BB13_10 Depth=1
	s_or_b32 exec_lo, exec_lo, s17
	s_delay_alu instid0(VALU_DEP_2)
	s_and_saveexec_b32 s0, s16
	s_cbranch_execz .LBB13_18
; %bb.17:                               ;   in Loop: Header=BB13_10 Depth=1
	s_waitcnt lgkmcnt(1)
	v_dual_mov_b32 v19, v23 :: v_dual_mov_b32 v20, v22
	s_waitcnt lgkmcnt(0)
	v_mov_b32_e32 v18, v21
.LBB13_18:                              ;   in Loop: Header=BB13_10 Depth=1
	s_or_b32 exec_lo, exec_lo, s0
	ds_bpermute_b32 v22, v12, v20
	s_waitcnt lgkmcnt(2)
	ds_bpermute_b32 v23, v12, v19
	s_waitcnt lgkmcnt(2)
	ds_bpermute_b32 v21, v12, v18
	s_mov_b32 s17, exec_lo
	s_waitcnt lgkmcnt(2)
	v_cmp_lt_f32_e64 s16, v20, v22
	v_cmpx_nlt_f32_e32 v20, v22
	s_cbranch_execz .LBB13_20
; %bb.19:                               ;   in Loop: Header=BB13_10 Depth=1
	v_cmp_eq_f32_e64 s0, v20, v22
	s_waitcnt lgkmcnt(0)
	v_cmp_lt_i32_e64 s1, v21, v18
	s_delay_alu instid0(VALU_DEP_1) | instskip(SKIP_2) | instid1(SALU_CYCLE_1)
	s_and_b32 s0, s0, s1
	s_and_not1_b32 s1, s16, exec_lo
	s_and_b32 s0, s0, exec_lo
	s_or_b32 s16, s1, s0
.LBB13_20:                              ;   in Loop: Header=BB13_10 Depth=1
	s_or_b32 exec_lo, exec_lo, s17
	s_delay_alu instid0(VALU_DEP_2)
	s_and_saveexec_b32 s0, s16
	s_cbranch_execz .LBB13_22
; %bb.21:                               ;   in Loop: Header=BB13_10 Depth=1
	s_waitcnt lgkmcnt(1)
	v_dual_mov_b32 v19, v23 :: v_dual_mov_b32 v20, v22
	s_waitcnt lgkmcnt(0)
	v_mov_b32_e32 v18, v21
.LBB13_22:                              ;   in Loop: Header=BB13_10 Depth=1
	s_or_b32 exec_lo, exec_lo, s0
	s_waitcnt lgkmcnt(1)
	ds_bpermute_b32 v23, v13, v20
	ds_bpermute_b32 v22, v13, v19
	s_waitcnt lgkmcnt(2)
	ds_bpermute_b32 v21, v13, v18
	s_mov_b32 s17, exec_lo
	s_waitcnt lgkmcnt(2)
	v_cmp_lt_f32_e64 s16, v20, v23
	v_cmpx_nlt_f32_e32 v20, v23
	s_cbranch_execnz .LBB13_26
; %bb.23:                               ;   in Loop: Header=BB13_10 Depth=1
	s_or_b32 exec_lo, exec_lo, s17
	s_delay_alu instid0(VALU_DEP_2)
	s_and_saveexec_b32 s0, s16
	s_cbranch_execnz .LBB13_27
.LBB13_24:                              ;   in Loop: Header=BB13_10 Depth=1
	s_or_b32 exec_lo, exec_lo, s0
	s_and_saveexec_b32 s16, s2
	s_cbranch_execnz .LBB13_28
.LBB13_25:                              ;   in Loop: Header=BB13_10 Depth=1
	s_or_b32 exec_lo, exec_lo, s16
	s_add_i32 s7, s7, 1
	s_delay_alu instid0(SALU_CYCLE_1)
	s_cmp_ge_i32 s7, s4
	s_cbranch_scc1 .LBB13_9
	s_branch .LBB13_29
.LBB13_26:                              ;   in Loop: Header=BB13_10 Depth=1
	v_cmp_eq_f32_e64 s0, v20, v23
	s_waitcnt lgkmcnt(0)
	v_cmp_lt_i32_e64 s1, v21, v18
	s_delay_alu instid0(VALU_DEP_1) | instskip(SKIP_2) | instid1(SALU_CYCLE_1)
	s_and_b32 s0, s0, s1
	s_and_not1_b32 s1, s16, exec_lo
	s_and_b32 s0, s0, exec_lo
	s_or_b32 s16, s1, s0
	s_or_b32 exec_lo, exec_lo, s17
	s_and_saveexec_b32 s0, s16
	s_cbranch_execz .LBB13_24
.LBB13_27:                              ;   in Loop: Header=BB13_10 Depth=1
	s_waitcnt lgkmcnt(0)
	v_dual_mov_b32 v19, v22 :: v_dual_mov_b32 v18, v21
	s_or_b32 exec_lo, exec_lo, s0
	s_and_saveexec_b32 s16, s2
	s_cbranch_execz .LBB13_25
.LBB13_28:                              ;   in Loop: Header=BB13_10 Depth=1
	s_delay_alu instid0(VALU_DEP_1)
	v_dual_add_f32 v27, v15, v19 :: v_dual_add_nc_u32 v20, s7, v16
	v_cmp_le_i32_e64 s0, s5, v18
	v_cmp_gt_i32_e64 s1, s6, v18
	s_waitcnt lgkmcnt(1)
	v_subrev_nc_u32_e32 v22, s5, v18
	s_waitcnt lgkmcnt(0)
	v_ashrrev_i32_e32 v21, 31, v20
	v_cndmask_b32_e32 v15, v15, v27, vcc_lo
	s_and_b32 s0, s0, s1
	s_delay_alu instid0(SALU_CYCLE_1) | instskip(NEXT) | instid1(VALU_DEP_2)
	s_and_b32 s0, s15, s0
	v_lshlrev_b64 v[20:21], 2, v[20:21]
	v_cndmask_b32_e64 v26, 64, v22, s0
	s_delay_alu instid0(VALU_DEP_2) | instskip(NEXT) | instid1(VALU_DEP_1)
	v_add_co_u32 v22, s0, s12, v20
	v_add_co_ci_u32_e64 v23, s0, s13, v21, s0
	v_add_co_u32 v24, s0, s8, v20
	s_delay_alu instid0(VALU_DEP_1) | instskip(SKIP_1) | instid1(VALU_DEP_1)
	v_add_co_ci_u32_e64 v25, s0, s9, v21, s0
	v_add_co_u32 v20, s0, s10, v20
	v_add_co_ci_u32_e64 v21, s0, s11, v21, s0
	global_store_b32 v[22:23], v19, off
	global_store_b32 v[24:25], v26, off
	;; [unrolled: 1-line block ×3, first 2 shown]
	s_or_b32 exec_lo, exec_lo, s16
	s_add_i32 s7, s7, 1
	s_delay_alu instid0(SALU_CYCLE_1)
	s_cmp_ge_i32 s7, s4
	s_cbranch_scc1 .LBB13_9
.LBB13_29:                              ;   in Loop: Header=BB13_10 Depth=1
	v_ashrrev_i32_e32 v19, 31, v18
	s_mov_b32 s1, exec_lo
	s_delay_alu instid0(VALU_DEP_1) | instskip(NEXT) | instid1(VALU_DEP_1)
	v_lshrrev_b32_e32 v20, 30, v19
	v_add_nc_u32_e32 v20, v18, v20
	s_waitcnt lgkmcnt(0)
	s_delay_alu instid0(VALU_DEP_1) | instskip(SKIP_1) | instid1(VALU_DEP_2)
	v_ashrrev_i32_e32 v21, 31, v20
	v_ashrrev_i32_e32 v20, 2, v20
	v_lshrrev_b32_e32 v21, 28, v21
	s_delay_alu instid0(VALU_DEP_1) | instskip(NEXT) | instid1(VALU_DEP_1)
	v_add_nc_u32_e32 v21, v20, v21
	v_and_b32_e32 v21, -16, v21
	s_delay_alu instid0(VALU_DEP_1) | instskip(NEXT) | instid1(VALU_DEP_1)
	v_sub_nc_u32_e32 v21, v20, v21
	v_cmpx_eq_u32_e64 v9, v21
	s_cbranch_execz .LBB13_8
; %bb.30:                               ;   in Loop: Header=BB13_10 Depth=1
	v_lshrrev_b32_e32 v19, 26, v19
	v_lshlrev_b32_e32 v20, 2, v20
	s_delay_alu instid0(VALU_DEP_2) | instskip(NEXT) | instid1(VALU_DEP_2)
	v_add_nc_u32_e32 v19, v18, v19
	v_sub_nc_u32_e32 v18, v18, v20
	s_delay_alu instid0(VALU_DEP_2) | instskip(NEXT) | instid1(VALU_DEP_1)
	v_ashrrev_i32_e32 v19, 6, v19
	v_lshl_add_u32 v18, v19, 2, v18
	s_delay_alu instid0(VALU_DEP_1) | instskip(NEXT) | instid1(VALU_DEP_1)
	v_cmp_ne_u32_e64 s0, 3, v18
	v_cndmask_b32_e64 v7, 0xc61c4000, v7, s0
	v_cmp_ne_u32_e64 s0, 2, v18
	s_delay_alu instid0(VALU_DEP_1) | instskip(SKIP_1) | instid1(VALU_DEP_1)
	v_cndmask_b32_e64 v6, 0xc61c4000, v6, s0
	v_cmp_ne_u32_e64 s0, 1, v18
	v_cndmask_b32_e64 v5, 0xc61c4000, v5, s0
	v_cmp_ne_u32_e64 s0, 0, v18
	s_delay_alu instid0(VALU_DEP_1)
	v_cndmask_b32_e64 v4, 0xc61c4000, v4, s0
	s_branch .LBB13_8
.LBB13_31:
                                        ; implicit-def: $vgpr4_vgpr5_vgpr6_vgpr7
	s_and_not1_b32 vcc_lo, exec_lo, s8
	s_cbranch_vccz .LBB13_5
	s_branch .LBB13_6
.LBB13_32:
	v_mov_b32_e32 v15, 0
.LBB13_33:
	v_cmp_eq_u32_e64 s0, 0, v9
	s_delay_alu instid0(VALU_DEP_1) | instskip(NEXT) | instid1(SALU_CYCLE_1)
	s_and_b32 s0, s0, vcc_lo
	s_and_b32 exec_lo, exec_lo, s0
	s_cbranch_execz .LBB13_37
; %bb.34:
	s_and_not1_b32 vcc_lo, exec_lo, s3
	s_cbranch_vccnz .LBB13_37
; %bb.35:
	v_mul_lo_u32 v0, v8, s4
	v_cmp_lt_f32_e32 vcc_lo, 0, v15
	v_cndmask_b32_e32 v2, 1.0, v15, vcc_lo
	s_delay_alu instid0(VALU_DEP_3) | instskip(NEXT) | instid1(VALU_DEP_1)
	v_ashrrev_i32_e32 v1, 31, v0
	v_lshlrev_b64 v[0:1], 2, v[0:1]
	s_delay_alu instid0(VALU_DEP_1) | instskip(NEXT) | instid1(VALU_DEP_2)
	v_add_co_u32 v0, vcc_lo, s12, v0
	v_add_co_ci_u32_e32 v1, vcc_lo, s13, v1, vcc_lo
	.p2align	6
.LBB13_36:                              ; =>This Inner Loop Header: Depth=1
	global_load_b32 v3, v[0:1], off
	s_add_i32 s4, s4, -1
	s_delay_alu instid0(SALU_CYCLE_1) | instskip(SKIP_3) | instid1(VALU_DEP_2)
	s_cmp_lg_u32 s4, 0
	s_waitcnt vmcnt(0)
	v_div_scale_f32 v4, null, v2, v2, v3
	v_div_scale_f32 v7, vcc_lo, v3, v2, v3
	v_rcp_f32_e32 v5, v4
	s_waitcnt_depctr 0xfff
	v_fma_f32 v6, -v4, v5, 1.0
	s_delay_alu instid0(VALU_DEP_1) | instskip(NEXT) | instid1(VALU_DEP_1)
	v_fmac_f32_e32 v5, v6, v5
	v_mul_f32_e32 v6, v7, v5
	s_delay_alu instid0(VALU_DEP_1) | instskip(NEXT) | instid1(VALU_DEP_1)
	v_fma_f32 v8, -v4, v6, v7
	v_fmac_f32_e32 v6, v8, v5
	s_delay_alu instid0(VALU_DEP_1) | instskip(NEXT) | instid1(VALU_DEP_1)
	v_fma_f32 v4, -v4, v6, v7
	v_div_fmas_f32 v4, v4, v5, v6
	s_delay_alu instid0(VALU_DEP_1)
	v_div_fixup_f32 v3, v4, v2, v3
	global_store_b32 v[0:1], v3, off
	v_add_co_u32 v0, vcc_lo, v0, 4
	v_add_co_ci_u32_e32 v1, vcc_lo, 0, v1, vcc_lo
	s_cbranch_scc1 .LBB13_36
.LBB13_37:
	s_nop 0
	s_sendmsg sendmsg(MSG_DEALLOC_VGPRS)
	s_endpgm
	.section	.rodata,"a",@progbits
	.p2align	6, 0x0
	.amdhsa_kernel _ZN4vllm3moe10topkGatingILi4ELi64ELi4ELi16ELi32EifLNS0_11ScoringFuncE0EEEvPKT5_PKbPfiPT4_PiiiibPKf
		.amdhsa_group_segment_fixed_size 0
		.amdhsa_private_segment_fixed_size 0
		.amdhsa_kernarg_size 72
		.amdhsa_user_sgpr_count 15
		.amdhsa_user_sgpr_dispatch_ptr 0
		.amdhsa_user_sgpr_queue_ptr 0
		.amdhsa_user_sgpr_kernarg_segment_ptr 1
		.amdhsa_user_sgpr_dispatch_id 0
		.amdhsa_user_sgpr_private_segment_size 0
		.amdhsa_wavefront_size32 1
		.amdhsa_uses_dynamic_stack 0
		.amdhsa_enable_private_segment 0
		.amdhsa_system_sgpr_workgroup_id_x 1
		.amdhsa_system_sgpr_workgroup_id_y 0
		.amdhsa_system_sgpr_workgroup_id_z 0
		.amdhsa_system_sgpr_workgroup_info 0
		.amdhsa_system_vgpr_workitem_id 1
		.amdhsa_next_free_vgpr 28
		.amdhsa_next_free_sgpr 18
		.amdhsa_reserve_vcc 1
		.amdhsa_float_round_mode_32 0
		.amdhsa_float_round_mode_16_64 0
		.amdhsa_float_denorm_mode_32 3
		.amdhsa_float_denorm_mode_16_64 3
		.amdhsa_dx10_clamp 1
		.amdhsa_ieee_mode 1
		.amdhsa_fp16_overflow 0
		.amdhsa_workgroup_processor_mode 1
		.amdhsa_memory_ordered 1
		.amdhsa_forward_progress 0
		.amdhsa_shared_vgpr_count 0
		.amdhsa_exception_fp_ieee_invalid_op 0
		.amdhsa_exception_fp_denorm_src 0
		.amdhsa_exception_fp_ieee_div_zero 0
		.amdhsa_exception_fp_ieee_overflow 0
		.amdhsa_exception_fp_ieee_underflow 0
		.amdhsa_exception_fp_ieee_inexact 0
		.amdhsa_exception_int_div_zero 0
	.end_amdhsa_kernel
	.section	.text._ZN4vllm3moe10topkGatingILi4ELi64ELi4ELi16ELi32EifLNS0_11ScoringFuncE0EEEvPKT5_PKbPfiPT4_PiiiibPKf,"axG",@progbits,_ZN4vllm3moe10topkGatingILi4ELi64ELi4ELi16ELi32EifLNS0_11ScoringFuncE0EEEvPKT5_PKbPfiPT4_PiiiibPKf,comdat
.Lfunc_end13:
	.size	_ZN4vllm3moe10topkGatingILi4ELi64ELi4ELi16ELi32EifLNS0_11ScoringFuncE0EEEvPKT5_PKbPfiPT4_PiiiibPKf, .Lfunc_end13-_ZN4vllm3moe10topkGatingILi4ELi64ELi4ELi16ELi32EifLNS0_11ScoringFuncE0EEEvPKT5_PKbPfiPT4_PiiiibPKf
                                        ; -- End function
	.section	.AMDGPU.csdata,"",@progbits
; Kernel info:
; codeLenInByte = 2560
; NumSgprs: 20
; NumVgprs: 28
; ScratchSize: 0
; MemoryBound: 0
; FloatMode: 240
; IeeeMode: 1
; LDSByteSize: 0 bytes/workgroup (compile time only)
; SGPRBlocks: 2
; VGPRBlocks: 3
; NumSGPRsForWavesPerEU: 20
; NumVGPRsForWavesPerEU: 28
; Occupancy: 16
; WaveLimiterHint : 0
; COMPUTE_PGM_RSRC2:SCRATCH_EN: 0
; COMPUTE_PGM_RSRC2:USER_SGPR: 15
; COMPUTE_PGM_RSRC2:TRAP_HANDLER: 0
; COMPUTE_PGM_RSRC2:TGID_X_EN: 1
; COMPUTE_PGM_RSRC2:TGID_Y_EN: 0
; COMPUTE_PGM_RSRC2:TGID_Z_EN: 0
; COMPUTE_PGM_RSRC2:TIDIG_COMP_CNT: 1
	.section	.text._ZN4vllm3moe10topkGatingILi4ELi128ELi4ELi16ELi64EifLNS0_11ScoringFuncE0EEEvPKT5_PKbPfiPT4_PiiiibPKf,"axG",@progbits,_ZN4vllm3moe10topkGatingILi4ELi128ELi4ELi16ELi64EifLNS0_11ScoringFuncE0EEEvPKT5_PKbPfiPT4_PiiiibPKf,comdat
	.protected	_ZN4vllm3moe10topkGatingILi4ELi128ELi4ELi16ELi64EifLNS0_11ScoringFuncE0EEEvPKT5_PKbPfiPT4_PiiiibPKf ; -- Begin function _ZN4vllm3moe10topkGatingILi4ELi128ELi4ELi16ELi64EifLNS0_11ScoringFuncE0EEEvPKT5_PKbPfiPT4_PiiiibPKf
	.globl	_ZN4vllm3moe10topkGatingILi4ELi128ELi4ELi16ELi64EifLNS0_11ScoringFuncE0EEEvPKT5_PKbPfiPT4_PiiiibPKf
	.p2align	8
	.type	_ZN4vllm3moe10topkGatingILi4ELi128ELi4ELi16ELi64EifLNS0_11ScoringFuncE0EEEvPKT5_PKbPfiPT4_PiiiibPKf,@function
_ZN4vllm3moe10topkGatingILi4ELi128ELi4ELi16ELi64EifLNS0_11ScoringFuncE0EEEvPKT5_PKbPfiPT4_PiiiibPKf: ; @_ZN4vllm3moe10topkGatingILi4ELi128ELi4ELi16ELi64EifLNS0_11ScoringFuncE0EEEvPKT5_PKbPfiPT4_PiiiibPKf
; %bb.0:
	s_load_b32 s14, s[0:1], 0x18
	v_bfe_u32 v1, v0, 10, 10
	v_and_b32_e32 v0, 0x3ff, v0
	s_lshl_b32 s2, s15, 3
	s_delay_alu instid0(VALU_DEP_2) | instskip(NEXT) | instid1(VALU_DEP_2)
	v_lshlrev_b32_e32 v1, 1, v1
	v_lshrrev_b32_e32 v2, 5, v0
	s_delay_alu instid0(VALU_DEP_1) | instskip(SKIP_2) | instid1(VALU_DEP_1)
	v_add3_u32 v8, s2, v1, v2
	s_mov_b32 s2, exec_lo
	s_waitcnt lgkmcnt(0)
	v_cmpx_gt_i32_e64 s14, v8
	s_cbranch_execz .LBB14_41
; %bb.1:
	s_clause 0x1
	s_load_b128 s[4:7], s[0:1], 0x0
	s_load_b64 s[12:13], s[0:1], 0x10
	s_mov_b32 s8, -1
	s_mov_b32 s15, -1
	s_waitcnt lgkmcnt(0)
	s_cmp_eq_u64 s[6:7], 0
	s_cbranch_scc1 .LBB14_3
; %bb.2:
	v_ashrrev_i32_e32 v2, 31, v8
	v_add_co_u32 v1, vcc_lo, s6, v8
	s_delay_alu instid0(VALU_DEP_2) | instskip(SKIP_3) | instid1(VALU_DEP_1)
	v_add_co_ci_u32_e32 v2, vcc_lo, s7, v2, vcc_lo
	global_load_u8 v1, v[1:2], off
	s_waitcnt vmcnt(0)
	v_and_b32_e32 v1, 1, v1
	v_cmp_eq_u32_e32 vcc_lo, 1, v1
	s_xor_b32 s2, vcc_lo, -1
	s_delay_alu instid0(SALU_CYCLE_1)
	s_or_not1_b32 s15, s2, exec_lo
.LBB14_3:
	v_lshlrev_b32_e32 v1, 7, v8
	v_and_b32_e32 v9, 31, v0
	v_mbcnt_lo_u32_b32 v4, -1, 0
	s_load_b64 s[2:3], s[0:1], 0x40
	s_delay_alu instid0(VALU_DEP_3) | instskip(NEXT) | instid1(VALU_DEP_2)
	v_ashrrev_i32_e32 v2, 31, v1
	v_xor_b32_e32 v5, 16, v4
	s_delay_alu instid0(VALU_DEP_2) | instskip(SKIP_1) | instid1(VALU_DEP_2)
	v_lshlrev_b64 v[0:1], 2, v[1:2]
	v_lshlrev_b32_e32 v2, 4, v9
	v_add_co_u32 v0, vcc_lo, s4, v0
	s_delay_alu instid0(VALU_DEP_3) | instskip(NEXT) | instid1(VALU_DEP_2)
	v_add_co_ci_u32_e32 v1, vcc_lo, s5, v1, vcc_lo
	v_add_co_u32 v0, vcc_lo, v0, v2
	s_delay_alu instid0(VALU_DEP_2)
	v_add_co_ci_u32_e32 v1, vcc_lo, 0, v1, vcc_lo
	v_cmp_gt_i32_e32 vcc_lo, 32, v5
	s_waitcnt lgkmcnt(0)
	s_cmp_eq_u64 s[2:3], 0
	global_load_b128 v[0:3], v[0:1], off
	v_cndmask_b32_e32 v5, v4, v5, vcc_lo
	s_waitcnt vmcnt(0)
	v_dual_max_f32 v6, v1, v1 :: v_dual_max_f32 v7, v0, v0
	s_delay_alu instid0(VALU_DEP_1) | instskip(SKIP_1) | instid1(VALU_DEP_1)
	v_max_f32_e32 v6, v7, v6
	v_xor_b32_e32 v7, 8, v4
	v_cmp_gt_i32_e32 vcc_lo, 32, v7
	v_lshlrev_b32_e32 v10, 2, v5
	s_delay_alu instid0(VALU_DEP_4) | instskip(SKIP_4) | instid1(VALU_DEP_1)
	v_max3_f32 v5, v6, v2, v3
	v_cndmask_b32_e32 v7, v4, v7, vcc_lo
	ds_bpermute_b32 v6, v10, v5
	v_lshlrev_b32_e32 v11, 2, v7
	v_xor_b32_e32 v7, 4, v4
	v_cmp_gt_i32_e32 vcc_lo, 32, v7
	v_cndmask_b32_e32 v7, v4, v7, vcc_lo
	s_delay_alu instid0(VALU_DEP_1) | instskip(SKIP_3) | instid1(VALU_DEP_2)
	v_lshlrev_b32_e32 v12, 2, v7
	s_waitcnt lgkmcnt(0)
	v_max_f32_e32 v6, v6, v6
	v_xor_b32_e32 v7, 2, v4
	v_max_f32_e32 v5, v5, v6
	s_delay_alu instid0(VALU_DEP_2) | instskip(SKIP_2) | instid1(VALU_DEP_1)
	v_cmp_gt_i32_e32 vcc_lo, 32, v7
	ds_bpermute_b32 v6, v11, v5
	v_cndmask_b32_e32 v7, v4, v7, vcc_lo
	v_lshlrev_b32_e32 v13, 2, v7
	v_xor_b32_e32 v7, 1, v4
	s_delay_alu instid0(VALU_DEP_1) | instskip(SKIP_3) | instid1(VALU_DEP_1)
	v_cmp_gt_i32_e32 vcc_lo, 32, v7
	v_cndmask_b32_e32 v4, v4, v7, vcc_lo
	s_waitcnt lgkmcnt(0)
	v_max_f32_e32 v6, v6, v6
	v_dual_max_f32 v5, v5, v6 :: v_dual_lshlrev_b32 v14, 2, v4
	ds_bpermute_b32 v6, v12, v5
	s_waitcnt lgkmcnt(0)
	v_max_f32_e32 v6, v6, v6
	s_delay_alu instid0(VALU_DEP_1) | instskip(SKIP_3) | instid1(VALU_DEP_1)
	v_max_f32_e32 v5, v5, v6
	ds_bpermute_b32 v6, v13, v5
	s_waitcnt lgkmcnt(0)
	v_max_f32_e32 v6, v6, v6
	v_max_f32_e32 v4, v5, v6
	ds_bpermute_b32 v5, v14, v4
	s_waitcnt lgkmcnt(0)
	v_max_f32_e32 v5, v5, v5
	s_delay_alu instid0(VALU_DEP_1) | instskip(NEXT) | instid1(VALU_DEP_1)
	v_max_f32_e32 v4, v4, v5
	v_sub_f32_e32 v3, v3, v4
	s_delay_alu instid0(VALU_DEP_1) | instskip(SKIP_2) | instid1(VALU_DEP_3)
	v_dual_mul_f32 v7, 0x3fb8aa3b, v3 :: v_dual_sub_f32 v2, v2, v4
	v_sub_f32_e32 v1, v1, v4
	v_sub_f32_e32 v0, v0, v4
	v_rndne_f32_e32 v22, v7
	s_delay_alu instid0(VALU_DEP_3) | instskip(NEXT) | instid1(VALU_DEP_3)
	v_dual_mul_f32 v6, 0x3fb8aa3b, v2 :: v_dual_mul_f32 v5, 0x3fb8aa3b, v1
	v_cmp_ngt_f32_e32 vcc_lo, 0xc2ce8ed0, v0
	s_delay_alu instid0(VALU_DEP_2) | instskip(NEXT) | instid1(VALU_DEP_3)
	v_fma_f32 v19, 0x3fb8aa3b, v2, -v6
	v_rndne_f32_e32 v18, v5
	v_mul_f32_e32 v4, 0x3fb8aa3b, v0
	v_fma_f32 v17, 0x3fb8aa3b, v1, -v5
	v_rndne_f32_e32 v20, v6
	v_fmac_f32_e32 v19, 0x32a5705f, v2
	v_sub_f32_e32 v5, v5, v18
	v_fma_f32 v15, 0x3fb8aa3b, v0, -v4
	v_rndne_f32_e32 v16, v4
	v_dual_sub_f32 v6, v6, v20 :: v_dual_fmac_f32 v17, 0x32a5705f, v1
	s_delay_alu instid0(VALU_DEP_3) | instskip(NEXT) | instid1(VALU_DEP_3)
	v_fmac_f32_e32 v15, 0x32a5705f, v0
	v_sub_f32_e32 v4, v4, v16
	s_delay_alu instid0(VALU_DEP_3) | instskip(SKIP_1) | instid1(VALU_DEP_3)
	v_dual_add_f32 v6, v6, v19 :: v_dual_add_f32 v5, v5, v17
	v_cvt_i32_f32_e32 v17, v20
	v_add_f32_e32 v4, v4, v15
	v_cvt_i32_f32_e32 v15, v16
	s_delay_alu instid0(VALU_DEP_4)
	v_exp_f32_e32 v5, v5
	v_fma_f32 v21, 0x3fb8aa3b, v3, -v7
	v_exp_f32_e32 v6, v6
	v_exp_f32_e32 v4, v4
	v_cvt_i32_f32_e32 v16, v18
	v_cvt_i32_f32_e32 v18, v22
	s_delay_alu instid0(TRANS32_DEP_3) | instid1(VALU_DEP_2)
	v_ldexp_f32 v5, v5, v16
	s_waitcnt_depctr 0xfff
	v_ldexp_f32 v6, v6, v17
	v_ldexp_f32 v4, v4, v15
	s_delay_alu instid0(VALU_DEP_1)
	v_dual_fmac_f32 v21, 0x32a5705f, v3 :: v_dual_cndmask_b32 v4, 0, v4
	v_cmp_ngt_f32_e32 vcc_lo, 0xc2ce8ed0, v1
	v_cndmask_b32_e32 v5, 0, v5, vcc_lo
	v_cmp_ngt_f32_e32 vcc_lo, 0xc2ce8ed0, v2
	v_cndmask_b32_e32 v6, 0, v6, vcc_lo
	v_cmp_nlt_f32_e32 vcc_lo, 0x42b17218, v0
	v_dual_sub_f32 v7, v7, v22 :: v_dual_cndmask_b32 v0, 0x7f800000, v4
	s_delay_alu instid0(VALU_DEP_1) | instskip(SKIP_1) | instid1(VALU_DEP_2)
	v_add_f32_e32 v7, v7, v21
	v_cmp_nlt_f32_e32 vcc_lo, 0x42b17218, v1
	v_exp_f32_e32 v7, v7
	v_cndmask_b32_e32 v1, 0x7f800000, v5, vcc_lo
	v_cmp_ngt_f32_e32 vcc_lo, 0xc2ce8ed0, v3
	s_delay_alu instid0(VALU_DEP_2) | instskip(SKIP_2) | instid1(VALU_DEP_1)
	v_add_f32_e32 v5, v0, v1
	s_waitcnt_depctr 0xfff
	v_ldexp_f32 v7, v7, v18
	v_cndmask_b32_e32 v4, 0, v7, vcc_lo
	v_cmp_nlt_f32_e32 vcc_lo, 0x42b17218, v2
	v_cndmask_b32_e32 v2, 0x7f800000, v6, vcc_lo
	v_cmp_nlt_f32_e32 vcc_lo, 0x42b17218, v3
	s_delay_alu instid0(VALU_DEP_2) | instskip(NEXT) | instid1(VALU_DEP_1)
	v_dual_cndmask_b32 v3, 0x7f800000, v4 :: v_dual_add_f32 v4, v5, v2
	v_add_f32_e32 v4, v4, v3
	ds_bpermute_b32 v5, v10, v4
	s_waitcnt lgkmcnt(0)
	v_add_f32_e32 v4, v4, v5
	ds_bpermute_b32 v5, v11, v4
	s_waitcnt lgkmcnt(0)
	;; [unrolled: 3-line block ×5, first 2 shown]
	v_add_f32_e32 v4, v4, v5
	s_delay_alu instid0(VALU_DEP_1) | instskip(SKIP_1) | instid1(VALU_DEP_2)
	v_div_scale_f32 v5, null, v4, v4, 1.0
	v_div_scale_f32 v15, vcc_lo, 1.0, v4, 1.0
	v_rcp_f32_e32 v6, v5
	s_waitcnt_depctr 0xfff
	v_fma_f32 v7, -v5, v6, 1.0
	s_delay_alu instid0(VALU_DEP_1) | instskip(NEXT) | instid1(VALU_DEP_1)
	v_fmac_f32_e32 v6, v7, v6
	v_mul_f32_e32 v7, v15, v6
	s_delay_alu instid0(VALU_DEP_1) | instskip(NEXT) | instid1(VALU_DEP_1)
	v_fma_f32 v16, -v5, v7, v15
	v_fmac_f32_e32 v7, v16, v6
	s_delay_alu instid0(VALU_DEP_1) | instskip(SKIP_1) | instid1(VALU_DEP_2)
	v_fma_f32 v5, -v5, v7, v15
	v_lshlrev_b32_e32 v15, 2, v9
	v_div_fmas_f32 v5, v5, v6, v7
	s_delay_alu instid0(VALU_DEP_1) | instskip(NEXT) | instid1(VALU_DEP_1)
	v_div_fixup_f32 v4, v5, v4, 1.0
	v_mul_f32_e32 v0, v4, v0
	v_mul_f32_e32 v2, v4, v2
	;; [unrolled: 1-line block ×4, first 2 shown]
	s_delay_alu instid0(VALU_DEP_4) | instskip(SKIP_1) | instid1(VALU_DEP_4)
	v_cmp_class_f32_e64 vcc_lo, v0, 0x1f8
	v_cndmask_b32_e32 v0, 0, v0, vcc_lo
	v_cmp_class_f32_e64 vcc_lo, v1, 0x1f8
	v_cndmask_b32_e32 v1, 0, v1, vcc_lo
	v_cmp_class_f32_e64 vcc_lo, v2, 0x1f8
	v_cndmask_b32_e32 v2, 0, v2, vcc_lo
	v_cmp_class_f32_e64 vcc_lo, v3, 0x1f8
	v_cndmask_b32_e32 v3, 0, v3, vcc_lo
	s_cbranch_scc1 .LBB14_35
; %bb.4:
	v_lshlrev_b32_e32 v4, 2, v15
	global_load_b128 v[4:7], v4, s[2:3]
	s_waitcnt vmcnt(0)
	v_dual_add_f32 v5, v5, v1 :: v_dual_add_f32 v4, v4, v0
	v_dual_add_f32 v7, v7, v3 :: v_dual_add_f32 v6, v6, v2
	s_cbranch_execnz .LBB14_6
.LBB14_5:
	v_dual_mov_b32 v7, v3 :: v_dual_mov_b32 v6, v2
	v_dual_mov_b32 v5, v1 :: v_dual_mov_b32 v4, v0
.LBB14_6:
	s_load_b128 s[4:7], s[0:1], 0x30
	v_cmp_eq_u32_e64 s2, 0, v9
	s_waitcnt lgkmcnt(0)
	s_bitcmp1_b32 s7, 0
	s_mov_b32 s7, 0
	s_cselect_b32 vcc_lo, -1, 0
	s_cmp_gt_i32 s4, 0
	s_cselect_b32 s3, -1, 0
	s_cmp_lt_i32 s4, 1
	s_cbranch_scc1 .LBB14_36
; %bb.7:
	s_load_b128 s[8:11], s[0:1], 0x20
	v_mul_lo_u32 v17, v8, s4
	v_mov_b32_e32 v16, 0
	v_mov_b32_e32 v18, v8
	s_branch .LBB14_10
.LBB14_8:                               ;   in Loop: Header=BB14_10 Depth=1
	s_or_b32 exec_lo, exec_lo, s1
.LBB14_9:                               ;   in Loop: Header=BB14_10 Depth=1
	v_add_nc_u32_e32 v18, s14, v18
	s_cmp_eq_u32 s4, s7
	s_cbranch_scc1 .LBB14_37
.LBB14_10:                              ; =>This Inner Loop Header: Depth=1
	v_cmp_gt_f32_e64 s0, v5, v4
	s_mov_b32 s17, exec_lo
	s_delay_alu instid0(VALU_DEP_1) | instskip(SKIP_2) | instid1(VALU_DEP_3)
	v_cndmask_b32_e64 v19, v4, v5, s0
	v_cndmask_b32_e64 v20, 0, 1, s0
	;; [unrolled: 1-line block ×3, first 2 shown]
	v_cmp_gt_f32_e64 s1, v6, v19
	s_delay_alu instid0(VALU_DEP_1) | instskip(NEXT) | instid1(VALU_DEP_4)
	v_cndmask_b32_e64 v19, v19, v6, s1
	v_cndmask_b32_e64 v20, v20, 2, s1
	s_waitcnt lgkmcnt(0)
	v_cndmask_b32_e64 v22, v21, v2, s1
	s_delay_alu instid0(VALU_DEP_3) | instskip(NEXT) | instid1(VALU_DEP_1)
	v_cmp_gt_f32_e64 s0, v7, v19
	v_cndmask_b32_e64 v21, v19, v7, s0
	v_cndmask_b32_e64 v19, v20, 3, s0
	s_delay_alu instid0(VALU_DEP_4)
	v_cndmask_b32_e64 v20, v22, v3, s0
	ds_bpermute_b32 v22, v10, v21
	v_or_b32_e32 v19, v15, v19
	ds_bpermute_b32 v24, v10, v20
	ds_bpermute_b32 v23, v10, v19
	s_waitcnt lgkmcnt(0)
	v_cmp_lt_f32_e64 s16, v21, v22
	v_cmpx_nlt_f32_e32 v21, v22
; %bb.11:                               ;   in Loop: Header=BB14_10 Depth=1
	v_cmp_eq_f32_e64 s0, v21, v22
	v_cmp_lt_i32_e64 s1, v23, v19
	s_delay_alu instid0(VALU_DEP_1) | instskip(SKIP_2) | instid1(SALU_CYCLE_1)
	s_and_b32 s0, s0, s1
	s_and_not1_b32 s1, s16, exec_lo
	s_and_b32 s0, s0, exec_lo
	s_or_b32 s16, s1, s0
; %bb.12:                               ;   in Loop: Header=BB14_10 Depth=1
	s_or_b32 exec_lo, exec_lo, s17
	s_and_saveexec_b32 s0, s16
; %bb.13:                               ;   in Loop: Header=BB14_10 Depth=1
	v_dual_mov_b32 v20, v24 :: v_dual_mov_b32 v21, v22
	v_mov_b32_e32 v19, v23
; %bb.14:                               ;   in Loop: Header=BB14_10 Depth=1
	s_or_b32 exec_lo, exec_lo, s0
	ds_bpermute_b32 v23, v11, v21
	ds_bpermute_b32 v24, v11, v20
	;; [unrolled: 1-line block ×3, first 2 shown]
	s_mov_b32 s17, exec_lo
	s_waitcnt lgkmcnt(2)
	v_cmp_lt_f32_e64 s16, v21, v23
	v_cmpx_nlt_f32_e32 v21, v23
	s_cbranch_execz .LBB14_16
; %bb.15:                               ;   in Loop: Header=BB14_10 Depth=1
	v_cmp_eq_f32_e64 s0, v21, v23
	s_waitcnt lgkmcnt(0)
	v_cmp_lt_i32_e64 s1, v22, v19
	s_delay_alu instid0(VALU_DEP_1) | instskip(SKIP_2) | instid1(SALU_CYCLE_1)
	s_and_b32 s0, s0, s1
	s_and_not1_b32 s1, s16, exec_lo
	s_and_b32 s0, s0, exec_lo
	s_or_b32 s16, s1, s0
.LBB14_16:                              ;   in Loop: Header=BB14_10 Depth=1
	s_or_b32 exec_lo, exec_lo, s17
	s_delay_alu instid0(VALU_DEP_2)
	s_and_saveexec_b32 s0, s16
	s_cbranch_execz .LBB14_18
; %bb.17:                               ;   in Loop: Header=BB14_10 Depth=1
	s_waitcnt lgkmcnt(1)
	v_dual_mov_b32 v20, v24 :: v_dual_mov_b32 v21, v23
	s_waitcnt lgkmcnt(0)
	v_mov_b32_e32 v19, v22
.LBB14_18:                              ;   in Loop: Header=BB14_10 Depth=1
	s_or_b32 exec_lo, exec_lo, s0
	ds_bpermute_b32 v23, v12, v21
	s_waitcnt lgkmcnt(2)
	ds_bpermute_b32 v24, v12, v20
	s_waitcnt lgkmcnt(2)
	ds_bpermute_b32 v22, v12, v19
	s_mov_b32 s17, exec_lo
	s_waitcnt lgkmcnt(2)
	v_cmp_lt_f32_e64 s16, v21, v23
	v_cmpx_nlt_f32_e32 v21, v23
	s_cbranch_execz .LBB14_20
; %bb.19:                               ;   in Loop: Header=BB14_10 Depth=1
	v_cmp_eq_f32_e64 s0, v21, v23
	s_waitcnt lgkmcnt(0)
	v_cmp_lt_i32_e64 s1, v22, v19
	s_delay_alu instid0(VALU_DEP_1) | instskip(SKIP_2) | instid1(SALU_CYCLE_1)
	s_and_b32 s0, s0, s1
	s_and_not1_b32 s1, s16, exec_lo
	s_and_b32 s0, s0, exec_lo
	s_or_b32 s16, s1, s0
.LBB14_20:                              ;   in Loop: Header=BB14_10 Depth=1
	s_or_b32 exec_lo, exec_lo, s17
	s_delay_alu instid0(VALU_DEP_2)
	s_and_saveexec_b32 s0, s16
	s_cbranch_execz .LBB14_22
; %bb.21:                               ;   in Loop: Header=BB14_10 Depth=1
	s_waitcnt lgkmcnt(1)
	v_dual_mov_b32 v20, v24 :: v_dual_mov_b32 v21, v23
	s_waitcnt lgkmcnt(0)
	v_mov_b32_e32 v19, v22
.LBB14_22:                              ;   in Loop: Header=BB14_10 Depth=1
	s_or_b32 exec_lo, exec_lo, s0
	ds_bpermute_b32 v23, v13, v21
	s_waitcnt lgkmcnt(2)
	ds_bpermute_b32 v24, v13, v20
	s_waitcnt lgkmcnt(2)
	ds_bpermute_b32 v22, v13, v19
	s_mov_b32 s17, exec_lo
	s_waitcnt lgkmcnt(2)
	v_cmp_lt_f32_e64 s16, v21, v23
	v_cmpx_nlt_f32_e32 v21, v23
	s_cbranch_execz .LBB14_24
; %bb.23:                               ;   in Loop: Header=BB14_10 Depth=1
	v_cmp_eq_f32_e64 s0, v21, v23
	s_waitcnt lgkmcnt(0)
	v_cmp_lt_i32_e64 s1, v22, v19
	s_delay_alu instid0(VALU_DEP_1) | instskip(SKIP_2) | instid1(SALU_CYCLE_1)
	s_and_b32 s0, s0, s1
	s_and_not1_b32 s1, s16, exec_lo
	s_and_b32 s0, s0, exec_lo
	s_or_b32 s16, s1, s0
.LBB14_24:                              ;   in Loop: Header=BB14_10 Depth=1
	s_or_b32 exec_lo, exec_lo, s17
	s_delay_alu instid0(VALU_DEP_2)
	s_and_saveexec_b32 s0, s16
	s_cbranch_execz .LBB14_26
; %bb.25:                               ;   in Loop: Header=BB14_10 Depth=1
	s_waitcnt lgkmcnt(1)
	v_dual_mov_b32 v20, v24 :: v_dual_mov_b32 v21, v23
	s_waitcnt lgkmcnt(0)
	v_mov_b32_e32 v19, v22
.LBB14_26:                              ;   in Loop: Header=BB14_10 Depth=1
	s_or_b32 exec_lo, exec_lo, s0
	s_waitcnt lgkmcnt(1)
	ds_bpermute_b32 v24, v14, v21
	ds_bpermute_b32 v23, v14, v20
	s_waitcnt lgkmcnt(2)
	ds_bpermute_b32 v22, v14, v19
	s_mov_b32 s17, exec_lo
	s_waitcnt lgkmcnt(2)
	v_cmp_lt_f32_e64 s16, v21, v24
	v_cmpx_nlt_f32_e32 v21, v24
	s_cbranch_execnz .LBB14_30
; %bb.27:                               ;   in Loop: Header=BB14_10 Depth=1
	s_or_b32 exec_lo, exec_lo, s17
	s_delay_alu instid0(VALU_DEP_2)
	s_and_saveexec_b32 s0, s16
	s_cbranch_execnz .LBB14_31
.LBB14_28:                              ;   in Loop: Header=BB14_10 Depth=1
	s_or_b32 exec_lo, exec_lo, s0
	s_and_saveexec_b32 s16, s2
	s_cbranch_execnz .LBB14_32
.LBB14_29:                              ;   in Loop: Header=BB14_10 Depth=1
	s_or_b32 exec_lo, exec_lo, s16
	s_add_i32 s7, s7, 1
	s_delay_alu instid0(SALU_CYCLE_1)
	s_cmp_ge_i32 s7, s4
	s_cbranch_scc1 .LBB14_9
	s_branch .LBB14_33
.LBB14_30:                              ;   in Loop: Header=BB14_10 Depth=1
	v_cmp_eq_f32_e64 s0, v21, v24
	s_waitcnt lgkmcnt(0)
	v_cmp_lt_i32_e64 s1, v22, v19
	s_delay_alu instid0(VALU_DEP_1) | instskip(SKIP_2) | instid1(SALU_CYCLE_1)
	s_and_b32 s0, s0, s1
	s_and_not1_b32 s1, s16, exec_lo
	s_and_b32 s0, s0, exec_lo
	s_or_b32 s16, s1, s0
	s_or_b32 exec_lo, exec_lo, s17
	s_and_saveexec_b32 s0, s16
	s_cbranch_execz .LBB14_28
.LBB14_31:                              ;   in Loop: Header=BB14_10 Depth=1
	s_waitcnt lgkmcnt(0)
	v_dual_mov_b32 v20, v23 :: v_dual_mov_b32 v19, v22
	s_or_b32 exec_lo, exec_lo, s0
	s_and_saveexec_b32 s16, s2
	s_cbranch_execz .LBB14_29
.LBB14_32:                              ;   in Loop: Header=BB14_10 Depth=1
	s_delay_alu instid0(VALU_DEP_1)
	v_dual_add_f32 v28, v16, v20 :: v_dual_add_nc_u32 v21, s7, v17
	v_cmp_le_i32_e64 s0, s5, v19
	v_cmp_gt_i32_e64 s1, s6, v19
	s_waitcnt lgkmcnt(1)
	v_subrev_nc_u32_e32 v23, s5, v19
	s_waitcnt lgkmcnt(0)
	v_ashrrev_i32_e32 v22, 31, v21
	v_cndmask_b32_e32 v16, v16, v28, vcc_lo
	s_and_b32 s0, s0, s1
	s_delay_alu instid0(SALU_CYCLE_1) | instskip(NEXT) | instid1(VALU_DEP_2)
	s_and_b32 s0, s15, s0
	v_lshlrev_b64 v[21:22], 2, v[21:22]
	v_cndmask_b32_e64 v27, 0x80, v23, s0
	s_delay_alu instid0(VALU_DEP_2) | instskip(NEXT) | instid1(VALU_DEP_1)
	v_add_co_u32 v23, s0, s12, v21
	v_add_co_ci_u32_e64 v24, s0, s13, v22, s0
	v_add_co_u32 v25, s0, s8, v21
	s_delay_alu instid0(VALU_DEP_1) | instskip(SKIP_1) | instid1(VALU_DEP_1)
	v_add_co_ci_u32_e64 v26, s0, s9, v22, s0
	v_add_co_u32 v21, s0, s10, v21
	v_add_co_ci_u32_e64 v22, s0, s11, v22, s0
	global_store_b32 v[23:24], v20, off
	global_store_b32 v[25:26], v27, off
	;; [unrolled: 1-line block ×3, first 2 shown]
	s_or_b32 exec_lo, exec_lo, s16
	s_add_i32 s7, s7, 1
	s_delay_alu instid0(SALU_CYCLE_1)
	s_cmp_ge_i32 s7, s4
	s_cbranch_scc1 .LBB14_9
.LBB14_33:                              ;   in Loop: Header=BB14_10 Depth=1
	v_ashrrev_i32_e32 v20, 31, v19
	s_mov_b32 s1, exec_lo
	s_delay_alu instid0(VALU_DEP_1) | instskip(NEXT) | instid1(VALU_DEP_1)
	v_lshrrev_b32_e32 v21, 30, v20
	v_add_nc_u32_e32 v21, v19, v21
	s_waitcnt lgkmcnt(0)
	s_delay_alu instid0(VALU_DEP_1) | instskip(SKIP_1) | instid1(VALU_DEP_2)
	v_ashrrev_i32_e32 v22, 31, v21
	v_ashrrev_i32_e32 v21, 2, v21
	v_lshrrev_b32_e32 v22, 27, v22
	s_delay_alu instid0(VALU_DEP_1) | instskip(NEXT) | instid1(VALU_DEP_1)
	v_add_nc_u32_e32 v22, v21, v22
	v_and_b32_e32 v22, 0xffffffe0, v22
	s_delay_alu instid0(VALU_DEP_1) | instskip(NEXT) | instid1(VALU_DEP_1)
	v_sub_nc_u32_e32 v22, v21, v22
	v_cmpx_eq_u32_e64 v9, v22
	s_cbranch_execz .LBB14_8
; %bb.34:                               ;   in Loop: Header=BB14_10 Depth=1
	v_lshrrev_b32_e32 v20, 25, v20
	v_lshlrev_b32_e32 v21, 2, v21
	s_delay_alu instid0(VALU_DEP_2) | instskip(NEXT) | instid1(VALU_DEP_2)
	v_add_nc_u32_e32 v20, v19, v20
	v_sub_nc_u32_e32 v19, v19, v21
	s_delay_alu instid0(VALU_DEP_2) | instskip(NEXT) | instid1(VALU_DEP_1)
	v_ashrrev_i32_e32 v20, 7, v20
	v_lshl_add_u32 v19, v20, 2, v19
	s_delay_alu instid0(VALU_DEP_1) | instskip(NEXT) | instid1(VALU_DEP_1)
	v_cmp_ne_u32_e64 s0, 3, v19
	v_cndmask_b32_e64 v7, 0xc61c4000, v7, s0
	v_cmp_ne_u32_e64 s0, 2, v19
	s_delay_alu instid0(VALU_DEP_1) | instskip(SKIP_1) | instid1(VALU_DEP_1)
	v_cndmask_b32_e64 v6, 0xc61c4000, v6, s0
	v_cmp_ne_u32_e64 s0, 1, v19
	v_cndmask_b32_e64 v5, 0xc61c4000, v5, s0
	v_cmp_ne_u32_e64 s0, 0, v19
	s_delay_alu instid0(VALU_DEP_1)
	v_cndmask_b32_e64 v4, 0xc61c4000, v4, s0
	s_branch .LBB14_8
.LBB14_35:
                                        ; implicit-def: $vgpr4_vgpr5_vgpr6_vgpr7
	s_and_not1_b32 vcc_lo, exec_lo, s8
	s_cbranch_vccz .LBB14_5
	s_branch .LBB14_6
.LBB14_36:
	v_mov_b32_e32 v16, 0
.LBB14_37:
	v_cmp_eq_u32_e64 s0, 0, v9
	s_delay_alu instid0(VALU_DEP_1) | instskip(NEXT) | instid1(SALU_CYCLE_1)
	s_and_b32 s0, s0, vcc_lo
	s_and_b32 exec_lo, exec_lo, s0
	s_cbranch_execz .LBB14_41
; %bb.38:
	s_and_not1_b32 vcc_lo, exec_lo, s3
	s_cbranch_vccnz .LBB14_41
; %bb.39:
	v_mul_lo_u32 v0, v8, s4
	v_cmp_lt_f32_e32 vcc_lo, 0, v16
	v_cndmask_b32_e32 v2, 1.0, v16, vcc_lo
	s_delay_alu instid0(VALU_DEP_3) | instskip(NEXT) | instid1(VALU_DEP_1)
	v_ashrrev_i32_e32 v1, 31, v0
	v_lshlrev_b64 v[0:1], 2, v[0:1]
	s_delay_alu instid0(VALU_DEP_1) | instskip(NEXT) | instid1(VALU_DEP_2)
	v_add_co_u32 v0, vcc_lo, s12, v0
	v_add_co_ci_u32_e32 v1, vcc_lo, s13, v1, vcc_lo
	.p2align	6
.LBB14_40:                              ; =>This Inner Loop Header: Depth=1
	global_load_b32 v3, v[0:1], off
	s_add_i32 s4, s4, -1
	s_delay_alu instid0(SALU_CYCLE_1) | instskip(SKIP_3) | instid1(VALU_DEP_2)
	s_cmp_lg_u32 s4, 0
	s_waitcnt vmcnt(0)
	v_div_scale_f32 v4, null, v2, v2, v3
	v_div_scale_f32 v7, vcc_lo, v3, v2, v3
	v_rcp_f32_e32 v5, v4
	s_waitcnt_depctr 0xfff
	v_fma_f32 v6, -v4, v5, 1.0
	s_delay_alu instid0(VALU_DEP_1) | instskip(NEXT) | instid1(VALU_DEP_1)
	v_fmac_f32_e32 v5, v6, v5
	v_mul_f32_e32 v6, v7, v5
	s_delay_alu instid0(VALU_DEP_1) | instskip(NEXT) | instid1(VALU_DEP_1)
	v_fma_f32 v8, -v4, v6, v7
	v_fmac_f32_e32 v6, v8, v5
	s_delay_alu instid0(VALU_DEP_1) | instskip(NEXT) | instid1(VALU_DEP_1)
	v_fma_f32 v4, -v4, v6, v7
	v_div_fmas_f32 v4, v4, v5, v6
	s_delay_alu instid0(VALU_DEP_1)
	v_div_fixup_f32 v3, v4, v2, v3
	global_store_b32 v[0:1], v3, off
	v_add_co_u32 v0, vcc_lo, v0, 4
	v_add_co_ci_u32_e32 v1, vcc_lo, 0, v1, vcc_lo
	s_cbranch_scc1 .LBB14_40
.LBB14_41:
	s_nop 0
	s_sendmsg sendmsg(MSG_DEALLOC_VGPRS)
	s_endpgm
	.section	.rodata,"a",@progbits
	.p2align	6, 0x0
	.amdhsa_kernel _ZN4vllm3moe10topkGatingILi4ELi128ELi4ELi16ELi64EifLNS0_11ScoringFuncE0EEEvPKT5_PKbPfiPT4_PiiiibPKf
		.amdhsa_group_segment_fixed_size 0
		.amdhsa_private_segment_fixed_size 0
		.amdhsa_kernarg_size 72
		.amdhsa_user_sgpr_count 15
		.amdhsa_user_sgpr_dispatch_ptr 0
		.amdhsa_user_sgpr_queue_ptr 0
		.amdhsa_user_sgpr_kernarg_segment_ptr 1
		.amdhsa_user_sgpr_dispatch_id 0
		.amdhsa_user_sgpr_private_segment_size 0
		.amdhsa_wavefront_size32 1
		.amdhsa_uses_dynamic_stack 0
		.amdhsa_enable_private_segment 0
		.amdhsa_system_sgpr_workgroup_id_x 1
		.amdhsa_system_sgpr_workgroup_id_y 0
		.amdhsa_system_sgpr_workgroup_id_z 0
		.amdhsa_system_sgpr_workgroup_info 0
		.amdhsa_system_vgpr_workitem_id 1
		.amdhsa_next_free_vgpr 29
		.amdhsa_next_free_sgpr 18
		.amdhsa_reserve_vcc 1
		.amdhsa_float_round_mode_32 0
		.amdhsa_float_round_mode_16_64 0
		.amdhsa_float_denorm_mode_32 3
		.amdhsa_float_denorm_mode_16_64 3
		.amdhsa_dx10_clamp 1
		.amdhsa_ieee_mode 1
		.amdhsa_fp16_overflow 0
		.amdhsa_workgroup_processor_mode 1
		.amdhsa_memory_ordered 1
		.amdhsa_forward_progress 0
		.amdhsa_shared_vgpr_count 0
		.amdhsa_exception_fp_ieee_invalid_op 0
		.amdhsa_exception_fp_denorm_src 0
		.amdhsa_exception_fp_ieee_div_zero 0
		.amdhsa_exception_fp_ieee_overflow 0
		.amdhsa_exception_fp_ieee_underflow 0
		.amdhsa_exception_fp_ieee_inexact 0
		.amdhsa_exception_int_div_zero 0
	.end_amdhsa_kernel
	.section	.text._ZN4vllm3moe10topkGatingILi4ELi128ELi4ELi16ELi64EifLNS0_11ScoringFuncE0EEEvPKT5_PKbPfiPT4_PiiiibPKf,"axG",@progbits,_ZN4vllm3moe10topkGatingILi4ELi128ELi4ELi16ELi64EifLNS0_11ScoringFuncE0EEEvPKT5_PKbPfiPT4_PiiiibPKf,comdat
.Lfunc_end14:
	.size	_ZN4vllm3moe10topkGatingILi4ELi128ELi4ELi16ELi64EifLNS0_11ScoringFuncE0EEEvPKT5_PKbPfiPT4_PiiiibPKf, .Lfunc_end14-_ZN4vllm3moe10topkGatingILi4ELi128ELi4ELi16ELi64EifLNS0_11ScoringFuncE0EEEvPKT5_PKbPfiPT4_PiiiibPKf
                                        ; -- End function
	.section	.AMDGPU.csdata,"",@progbits
; Kernel info:
; codeLenInByte = 2760
; NumSgprs: 20
; NumVgprs: 29
; ScratchSize: 0
; MemoryBound: 0
; FloatMode: 240
; IeeeMode: 1
; LDSByteSize: 0 bytes/workgroup (compile time only)
; SGPRBlocks: 2
; VGPRBlocks: 3
; NumSGPRsForWavesPerEU: 20
; NumVGPRsForWavesPerEU: 29
; Occupancy: 16
; WaveLimiterHint : 0
; COMPUTE_PGM_RSRC2:SCRATCH_EN: 0
; COMPUTE_PGM_RSRC2:USER_SGPR: 15
; COMPUTE_PGM_RSRC2:TRAP_HANDLER: 0
; COMPUTE_PGM_RSRC2:TGID_X_EN: 1
; COMPUTE_PGM_RSRC2:TGID_Y_EN: 0
; COMPUTE_PGM_RSRC2:TGID_Z_EN: 0
; COMPUTE_PGM_RSRC2:TIDIG_COMP_CNT: 1
	.section	.text._ZN4vllm3moe10topkGatingILi4ELi128ELi4ELi16ELi32EifLNS0_11ScoringFuncE0EEEvPKT5_PKbPfiPT4_PiiiibPKf,"axG",@progbits,_ZN4vllm3moe10topkGatingILi4ELi128ELi4ELi16ELi32EifLNS0_11ScoringFuncE0EEEvPKT5_PKbPfiPT4_PiiiibPKf,comdat
	.protected	_ZN4vllm3moe10topkGatingILi4ELi128ELi4ELi16ELi32EifLNS0_11ScoringFuncE0EEEvPKT5_PKbPfiPT4_PiiiibPKf ; -- Begin function _ZN4vllm3moe10topkGatingILi4ELi128ELi4ELi16ELi32EifLNS0_11ScoringFuncE0EEEvPKT5_PKbPfiPT4_PiiiibPKf
	.globl	_ZN4vllm3moe10topkGatingILi4ELi128ELi4ELi16ELi32EifLNS0_11ScoringFuncE0EEEvPKT5_PKbPfiPT4_PiiiibPKf
	.p2align	8
	.type	_ZN4vllm3moe10topkGatingILi4ELi128ELi4ELi16ELi32EifLNS0_11ScoringFuncE0EEEvPKT5_PKbPfiPT4_PiiiibPKf,@function
_ZN4vllm3moe10topkGatingILi4ELi128ELi4ELi16ELi32EifLNS0_11ScoringFuncE0EEEvPKT5_PKbPfiPT4_PiiiibPKf: ; @_ZN4vllm3moe10topkGatingILi4ELi128ELi4ELi16ELi32EifLNS0_11ScoringFuncE0EEEvPKT5_PKbPfiPT4_PiiiibPKf
; %bb.0:
	s_load_b32 s14, s[0:1], 0x18
	v_and_b32_e32 v1, 0x3ff, v0
	v_bfe_u32 v0, v0, 10, 10
	s_lshl_b32 s2, s15, 2
	s_delay_alu instid0(VALU_DEP_2) | instskip(NEXT) | instid1(VALU_DEP_1)
	v_lshrrev_b32_e32 v2, 5, v1
	v_add3_u32 v8, s2, v0, v2
	s_mov_b32 s2, exec_lo
	s_waitcnt lgkmcnt(0)
	s_delay_alu instid0(VALU_DEP_1)
	v_cmpx_gt_i32_e64 s14, v8
	s_cbranch_execz .LBB15_41
; %bb.1:
	s_clause 0x1
	s_load_b128 s[4:7], s[0:1], 0x0
	s_load_b64 s[12:13], s[0:1], 0x10
	s_mov_b32 s8, -1
	s_mov_b32 s15, -1
	s_waitcnt lgkmcnt(0)
	s_cmp_eq_u64 s[6:7], 0
	s_cbranch_scc1 .LBB15_3
; %bb.2:
	v_ashrrev_i32_e32 v0, 31, v8
	v_add_co_u32 v2, vcc_lo, s6, v8
	s_delay_alu instid0(VALU_DEP_2) | instskip(SKIP_3) | instid1(VALU_DEP_1)
	v_add_co_ci_u32_e32 v3, vcc_lo, s7, v0, vcc_lo
	global_load_u8 v0, v[2:3], off
	s_waitcnt vmcnt(0)
	v_and_b32_e32 v0, 1, v0
	v_cmp_eq_u32_e32 vcc_lo, 1, v0
	s_xor_b32 s2, vcc_lo, -1
	s_delay_alu instid0(SALU_CYCLE_1)
	s_or_not1_b32 s15, s2, exec_lo
.LBB15_3:
	v_mbcnt_lo_u32_b32 v4, -1, 0
	v_and_b32_e32 v9, 31, v1
	s_load_b64 s[2:3], s[0:1], 0x40
	s_delay_alu instid0(VALU_DEP_2) | instskip(SKIP_1) | instid1(VALU_DEP_1)
	v_xor_b32_e32 v5, 16, v4
	v_lshlrev_b32_e32 v2, 7, v8
	v_ashrrev_i32_e32 v3, 31, v2
	s_delay_alu instid0(VALU_DEP_1) | instskip(SKIP_3) | instid1(VALU_DEP_2)
	v_lshlrev_b64 v[0:1], 2, v[2:3]
	v_lshlrev_b32_e32 v2, 4, v9
	s_waitcnt lgkmcnt(0)
	s_cmp_eq_u64 s[2:3], 0
	v_add_co_u32 v0, vcc_lo, s4, v0
	s_delay_alu instid0(VALU_DEP_3) | instskip(NEXT) | instid1(VALU_DEP_2)
	v_add_co_ci_u32_e32 v1, vcc_lo, s5, v1, vcc_lo
	v_add_co_u32 v0, vcc_lo, v0, v2
	s_delay_alu instid0(VALU_DEP_2) | instskip(SKIP_3) | instid1(VALU_DEP_1)
	v_add_co_ci_u32_e32 v1, vcc_lo, 0, v1, vcc_lo
	v_cmp_gt_i32_e32 vcc_lo, 32, v5
	global_load_b128 v[0:3], v[0:1], off
	v_cndmask_b32_e32 v5, v4, v5, vcc_lo
	v_lshlrev_b32_e32 v10, 2, v5
	s_waitcnt vmcnt(0)
	v_dual_max_f32 v6, v1, v1 :: v_dual_max_f32 v7, v0, v0
	s_delay_alu instid0(VALU_DEP_1) | instskip(SKIP_1) | instid1(VALU_DEP_2)
	v_max_f32_e32 v6, v7, v6
	v_xor_b32_e32 v7, 8, v4
	v_max3_f32 v5, v6, v2, v3
	s_delay_alu instid0(VALU_DEP_2) | instskip(SKIP_2) | instid1(VALU_DEP_1)
	v_cmp_gt_i32_e32 vcc_lo, 32, v7
	ds_bpermute_b32 v6, v10, v5
	v_cndmask_b32_e32 v7, v4, v7, vcc_lo
	v_lshlrev_b32_e32 v11, 2, v7
	v_xor_b32_e32 v7, 4, v4
	s_delay_alu instid0(VALU_DEP_1) | instskip(SKIP_2) | instid1(VALU_DEP_1)
	v_cmp_gt_i32_e32 vcc_lo, 32, v7
	s_waitcnt lgkmcnt(0)
	v_max_f32_e32 v6, v6, v6
	v_max_f32_e32 v5, v5, v6
	ds_bpermute_b32 v6, v11, v5
	s_waitcnt lgkmcnt(0)
	v_dual_cndmask_b32 v7, v4, v7 :: v_dual_max_f32 v6, v6, v6
	s_delay_alu instid0(VALU_DEP_1) | instskip(SKIP_1) | instid1(VALU_DEP_3)
	v_lshlrev_b32_e32 v12, 2, v7
	v_xor_b32_e32 v7, 2, v4
	v_max_f32_e32 v5, v5, v6
	s_delay_alu instid0(VALU_DEP_2) | instskip(SKIP_3) | instid1(VALU_DEP_1)
	v_cmp_gt_i32_e32 vcc_lo, 32, v7
	ds_bpermute_b32 v6, v12, v5
	s_waitcnt lgkmcnt(0)
	v_dual_cndmask_b32 v7, v4, v7 :: v_dual_max_f32 v6, v6, v6
	v_lshlrev_b32_e32 v13, 2, v7
	v_xor_b32_e32 v7, 1, v4
	s_delay_alu instid0(VALU_DEP_1) | instskip(NEXT) | instid1(VALU_DEP_4)
	v_cmp_gt_i32_e32 vcc_lo, 32, v7
	v_dual_max_f32 v5, v5, v6 :: v_dual_cndmask_b32 v4, v4, v7
	ds_bpermute_b32 v6, v13, v5
	v_lshlrev_b32_e32 v14, 2, v4
	s_waitcnt lgkmcnt(0)
	v_max_f32_e32 v6, v6, v6
	s_delay_alu instid0(VALU_DEP_1) | instskip(SKIP_3) | instid1(VALU_DEP_1)
	v_max_f32_e32 v4, v5, v6
	ds_bpermute_b32 v5, v14, v4
	s_waitcnt lgkmcnt(0)
	v_max_f32_e32 v5, v5, v5
	v_max_f32_e32 v4, v4, v5
	s_delay_alu instid0(VALU_DEP_1) | instskip(NEXT) | instid1(VALU_DEP_1)
	v_sub_f32_e32 v3, v3, v4
	v_dual_mul_f32 v7, 0x3fb8aa3b, v3 :: v_dual_sub_f32 v2, v2, v4
	v_sub_f32_e32 v1, v1, v4
	s_delay_alu instid0(VALU_DEP_2) | instskip(NEXT) | instid1(VALU_DEP_2)
	v_rndne_f32_e32 v22, v7
	v_dual_mul_f32 v6, 0x3fb8aa3b, v2 :: v_dual_mul_f32 v5, 0x3fb8aa3b, v1
	s_delay_alu instid0(VALU_DEP_1) | instskip(NEXT) | instid1(VALU_DEP_2)
	v_rndne_f32_e32 v20, v6
	v_fma_f32 v17, 0x3fb8aa3b, v1, -v5
	v_sub_f32_e32 v0, v0, v4
	v_rndne_f32_e32 v18, v5
	s_delay_alu instid0(VALU_DEP_3) | instskip(NEXT) | instid1(VALU_DEP_2)
	v_fmac_f32_e32 v17, 0x32a5705f, v1
	v_dual_mul_f32 v4, 0x3fb8aa3b, v0 :: v_dual_sub_f32 v5, v5, v18
	v_fma_f32 v19, 0x3fb8aa3b, v2, -v6
	v_sub_f32_e32 v6, v6, v20
	v_cmp_ngt_f32_e32 vcc_lo, 0xc2ce8ed0, v0
	s_delay_alu instid0(VALU_DEP_4) | instskip(SKIP_2) | instid1(VALU_DEP_3)
	v_fma_f32 v15, 0x3fb8aa3b, v0, -v4
	v_rndne_f32_e32 v16, v4
	v_fmac_f32_e32 v19, 0x32a5705f, v2
	v_fmac_f32_e32 v15, 0x32a5705f, v0
	s_delay_alu instid0(VALU_DEP_3) | instskip(NEXT) | instid1(VALU_DEP_3)
	v_sub_f32_e32 v4, v4, v16
	v_add_f32_e32 v6, v6, v19
	s_delay_alu instid0(VALU_DEP_2) | instskip(SKIP_2) | instid1(VALU_DEP_4)
	v_add_f32_e32 v4, v4, v15
	v_cvt_i32_f32_e32 v15, v16
	v_fma_f32 v21, 0x3fb8aa3b, v3, -v7
	v_exp_f32_e32 v6, v6
	v_cvt_i32_f32_e32 v16, v18
	v_exp_f32_e32 v4, v4
	v_sub_f32_e32 v7, v7, v22
	v_fmac_f32_e32 v21, 0x32a5705f, v3
	v_cvt_i32_f32_e32 v18, v22
	s_waitcnt_depctr 0xfff
	v_ldexp_f32 v4, v4, v15
	v_add_f32_e32 v5, v5, v17
	v_cvt_i32_f32_e32 v17, v20
	s_delay_alu instid0(VALU_DEP_3) | instskip(NEXT) | instid1(VALU_DEP_3)
	v_cndmask_b32_e32 v4, 0, v4, vcc_lo
	v_exp_f32_e32 v5, v5
	v_cmp_ngt_f32_e32 vcc_lo, 0xc2ce8ed0, v1
	s_delay_alu instid0(VALU_DEP_3) | instskip(SKIP_2) | instid1(VALU_DEP_1)
	v_ldexp_f32 v6, v6, v17
	s_waitcnt_depctr 0xfff
	v_ldexp_f32 v5, v5, v16
	v_cndmask_b32_e32 v5, 0, v5, vcc_lo
	v_cmp_ngt_f32_e32 vcc_lo, 0xc2ce8ed0, v2
	v_dual_add_f32 v7, v7, v21 :: v_dual_cndmask_b32 v6, 0, v6
	s_delay_alu instid0(VALU_DEP_1)
	v_exp_f32_e32 v7, v7
	v_cmp_nlt_f32_e32 vcc_lo, 0x42b17218, v0
	v_cndmask_b32_e32 v0, 0x7f800000, v4, vcc_lo
	v_cmp_nlt_f32_e32 vcc_lo, 0x42b17218, v1
	s_waitcnt_depctr 0xfff
	v_ldexp_f32 v7, v7, v18
	v_cndmask_b32_e32 v1, 0x7f800000, v5, vcc_lo
	v_cmp_ngt_f32_e32 vcc_lo, 0xc2ce8ed0, v3
	s_delay_alu instid0(VALU_DEP_2) | instskip(SKIP_3) | instid1(VALU_DEP_2)
	v_dual_add_f32 v5, v0, v1 :: v_dual_cndmask_b32 v4, 0, v7
	v_cmp_nlt_f32_e32 vcc_lo, 0x42b17218, v2
	v_cndmask_b32_e32 v2, 0x7f800000, v6, vcc_lo
	v_cmp_nlt_f32_e32 vcc_lo, 0x42b17218, v3
	v_dual_cndmask_b32 v3, 0x7f800000, v4 :: v_dual_add_f32 v4, v5, v2
	s_delay_alu instid0(VALU_DEP_1)
	v_add_f32_e32 v4, v4, v3
	ds_bpermute_b32 v5, v10, v4
	s_waitcnt lgkmcnt(0)
	v_add_f32_e32 v4, v4, v5
	ds_bpermute_b32 v5, v11, v4
	s_waitcnt lgkmcnt(0)
	;; [unrolled: 3-line block ×5, first 2 shown]
	v_add_f32_e32 v4, v4, v5
	s_delay_alu instid0(VALU_DEP_1) | instskip(SKIP_1) | instid1(VALU_DEP_2)
	v_div_scale_f32 v5, null, v4, v4, 1.0
	v_div_scale_f32 v15, vcc_lo, 1.0, v4, 1.0
	v_rcp_f32_e32 v6, v5
	s_waitcnt_depctr 0xfff
	v_fma_f32 v7, -v5, v6, 1.0
	s_delay_alu instid0(VALU_DEP_1) | instskip(NEXT) | instid1(VALU_DEP_1)
	v_fmac_f32_e32 v6, v7, v6
	v_mul_f32_e32 v7, v15, v6
	s_delay_alu instid0(VALU_DEP_1) | instskip(NEXT) | instid1(VALU_DEP_1)
	v_fma_f32 v16, -v5, v7, v15
	v_fmac_f32_e32 v7, v16, v6
	s_delay_alu instid0(VALU_DEP_1) | instskip(SKIP_1) | instid1(VALU_DEP_2)
	v_fma_f32 v5, -v5, v7, v15
	v_lshlrev_b32_e32 v15, 2, v9
	v_div_fmas_f32 v5, v5, v6, v7
	s_delay_alu instid0(VALU_DEP_1) | instskip(NEXT) | instid1(VALU_DEP_1)
	v_div_fixup_f32 v4, v5, v4, 1.0
	v_mul_f32_e32 v1, v4, v1
	v_mul_f32_e32 v0, v4, v0
	v_mul_f32_e32 v2, v4, v2
	s_delay_alu instid0(VALU_DEP_2)
	v_cmp_class_f32_e64 vcc_lo, v0, 0x1f8
	v_cndmask_b32_e32 v0, 0, v0, vcc_lo
	v_cmp_class_f32_e64 vcc_lo, v1, 0x1f8
	v_cndmask_b32_e32 v1, 0, v1, vcc_lo
	v_cmp_class_f32_e64 vcc_lo, v2, 0x1f8
	v_dual_mul_f32 v3, v4, v3 :: v_dual_cndmask_b32 v2, 0, v2
	s_delay_alu instid0(VALU_DEP_1)
	v_cmp_class_f32_e64 vcc_lo, v3, 0x1f8
	v_cndmask_b32_e32 v3, 0, v3, vcc_lo
	s_cbranch_scc1 .LBB15_35
; %bb.4:
	v_lshlrev_b32_e32 v4, 2, v15
	global_load_b128 v[4:7], v4, s[2:3]
	s_waitcnt vmcnt(0)
	v_dual_add_f32 v5, v5, v1 :: v_dual_add_f32 v4, v4, v0
	v_dual_add_f32 v7, v7, v3 :: v_dual_add_f32 v6, v6, v2
	s_cbranch_execnz .LBB15_6
.LBB15_5:
	v_dual_mov_b32 v7, v3 :: v_dual_mov_b32 v6, v2
	v_dual_mov_b32 v5, v1 :: v_dual_mov_b32 v4, v0
.LBB15_6:
	s_load_b128 s[4:7], s[0:1], 0x30
	v_cmp_eq_u32_e64 s2, 0, v9
	s_waitcnt lgkmcnt(0)
	s_bitcmp1_b32 s7, 0
	s_mov_b32 s7, 0
	s_cselect_b32 vcc_lo, -1, 0
	s_cmp_gt_i32 s4, 0
	s_cselect_b32 s3, -1, 0
	s_cmp_lt_i32 s4, 1
	s_cbranch_scc1 .LBB15_36
; %bb.7:
	s_load_b128 s[8:11], s[0:1], 0x20
	v_mul_lo_u32 v17, v8, s4
	v_mov_b32_e32 v16, 0
	v_mov_b32_e32 v18, v8
	s_branch .LBB15_10
.LBB15_8:                               ;   in Loop: Header=BB15_10 Depth=1
	s_or_b32 exec_lo, exec_lo, s1
.LBB15_9:                               ;   in Loop: Header=BB15_10 Depth=1
	v_add_nc_u32_e32 v18, s14, v18
	s_cmp_eq_u32 s4, s7
	s_cbranch_scc1 .LBB15_37
.LBB15_10:                              ; =>This Inner Loop Header: Depth=1
	v_cmp_gt_f32_e64 s0, v5, v4
	s_mov_b32 s17, exec_lo
	s_delay_alu instid0(VALU_DEP_1) | instskip(SKIP_2) | instid1(VALU_DEP_3)
	v_cndmask_b32_e64 v19, v4, v5, s0
	v_cndmask_b32_e64 v20, 0, 1, s0
	;; [unrolled: 1-line block ×3, first 2 shown]
	v_cmp_gt_f32_e64 s1, v6, v19
	s_delay_alu instid0(VALU_DEP_1) | instskip(NEXT) | instid1(VALU_DEP_4)
	v_cndmask_b32_e64 v19, v19, v6, s1
	v_cndmask_b32_e64 v20, v20, 2, s1
	s_waitcnt lgkmcnt(0)
	v_cndmask_b32_e64 v22, v21, v2, s1
	s_delay_alu instid0(VALU_DEP_3) | instskip(NEXT) | instid1(VALU_DEP_1)
	v_cmp_gt_f32_e64 s0, v7, v19
	v_cndmask_b32_e64 v21, v19, v7, s0
	v_cndmask_b32_e64 v19, v20, 3, s0
	s_delay_alu instid0(VALU_DEP_4)
	v_cndmask_b32_e64 v20, v22, v3, s0
	ds_bpermute_b32 v22, v10, v21
	v_or_b32_e32 v19, v15, v19
	ds_bpermute_b32 v24, v10, v20
	ds_bpermute_b32 v23, v10, v19
	s_waitcnt lgkmcnt(0)
	v_cmp_lt_f32_e64 s16, v21, v22
	v_cmpx_nlt_f32_e32 v21, v22
; %bb.11:                               ;   in Loop: Header=BB15_10 Depth=1
	v_cmp_eq_f32_e64 s0, v21, v22
	v_cmp_lt_i32_e64 s1, v23, v19
	s_delay_alu instid0(VALU_DEP_1) | instskip(SKIP_2) | instid1(SALU_CYCLE_1)
	s_and_b32 s0, s0, s1
	s_and_not1_b32 s1, s16, exec_lo
	s_and_b32 s0, s0, exec_lo
	s_or_b32 s16, s1, s0
; %bb.12:                               ;   in Loop: Header=BB15_10 Depth=1
	s_or_b32 exec_lo, exec_lo, s17
	s_and_saveexec_b32 s0, s16
; %bb.13:                               ;   in Loop: Header=BB15_10 Depth=1
	v_dual_mov_b32 v20, v24 :: v_dual_mov_b32 v21, v22
	v_mov_b32_e32 v19, v23
; %bb.14:                               ;   in Loop: Header=BB15_10 Depth=1
	s_or_b32 exec_lo, exec_lo, s0
	ds_bpermute_b32 v23, v11, v21
	ds_bpermute_b32 v24, v11, v20
	;; [unrolled: 1-line block ×3, first 2 shown]
	s_mov_b32 s17, exec_lo
	s_waitcnt lgkmcnt(2)
	v_cmp_lt_f32_e64 s16, v21, v23
	v_cmpx_nlt_f32_e32 v21, v23
	s_cbranch_execz .LBB15_16
; %bb.15:                               ;   in Loop: Header=BB15_10 Depth=1
	v_cmp_eq_f32_e64 s0, v21, v23
	s_waitcnt lgkmcnt(0)
	v_cmp_lt_i32_e64 s1, v22, v19
	s_delay_alu instid0(VALU_DEP_1) | instskip(SKIP_2) | instid1(SALU_CYCLE_1)
	s_and_b32 s0, s0, s1
	s_and_not1_b32 s1, s16, exec_lo
	s_and_b32 s0, s0, exec_lo
	s_or_b32 s16, s1, s0
.LBB15_16:                              ;   in Loop: Header=BB15_10 Depth=1
	s_or_b32 exec_lo, exec_lo, s17
	s_delay_alu instid0(VALU_DEP_2)
	s_and_saveexec_b32 s0, s16
	s_cbranch_execz .LBB15_18
; %bb.17:                               ;   in Loop: Header=BB15_10 Depth=1
	s_waitcnt lgkmcnt(1)
	v_dual_mov_b32 v20, v24 :: v_dual_mov_b32 v21, v23
	s_waitcnt lgkmcnt(0)
	v_mov_b32_e32 v19, v22
.LBB15_18:                              ;   in Loop: Header=BB15_10 Depth=1
	s_or_b32 exec_lo, exec_lo, s0
	ds_bpermute_b32 v23, v12, v21
	s_waitcnt lgkmcnt(2)
	ds_bpermute_b32 v24, v12, v20
	s_waitcnt lgkmcnt(2)
	ds_bpermute_b32 v22, v12, v19
	s_mov_b32 s17, exec_lo
	s_waitcnt lgkmcnt(2)
	v_cmp_lt_f32_e64 s16, v21, v23
	v_cmpx_nlt_f32_e32 v21, v23
	s_cbranch_execz .LBB15_20
; %bb.19:                               ;   in Loop: Header=BB15_10 Depth=1
	v_cmp_eq_f32_e64 s0, v21, v23
	s_waitcnt lgkmcnt(0)
	v_cmp_lt_i32_e64 s1, v22, v19
	s_delay_alu instid0(VALU_DEP_1) | instskip(SKIP_2) | instid1(SALU_CYCLE_1)
	s_and_b32 s0, s0, s1
	s_and_not1_b32 s1, s16, exec_lo
	s_and_b32 s0, s0, exec_lo
	s_or_b32 s16, s1, s0
.LBB15_20:                              ;   in Loop: Header=BB15_10 Depth=1
	s_or_b32 exec_lo, exec_lo, s17
	s_delay_alu instid0(VALU_DEP_2)
	s_and_saveexec_b32 s0, s16
	s_cbranch_execz .LBB15_22
; %bb.21:                               ;   in Loop: Header=BB15_10 Depth=1
	s_waitcnt lgkmcnt(1)
	v_dual_mov_b32 v20, v24 :: v_dual_mov_b32 v21, v23
	s_waitcnt lgkmcnt(0)
	v_mov_b32_e32 v19, v22
.LBB15_22:                              ;   in Loop: Header=BB15_10 Depth=1
	s_or_b32 exec_lo, exec_lo, s0
	ds_bpermute_b32 v23, v13, v21
	s_waitcnt lgkmcnt(2)
	ds_bpermute_b32 v24, v13, v20
	s_waitcnt lgkmcnt(2)
	ds_bpermute_b32 v22, v13, v19
	s_mov_b32 s17, exec_lo
	s_waitcnt lgkmcnt(2)
	v_cmp_lt_f32_e64 s16, v21, v23
	v_cmpx_nlt_f32_e32 v21, v23
	s_cbranch_execz .LBB15_24
; %bb.23:                               ;   in Loop: Header=BB15_10 Depth=1
	v_cmp_eq_f32_e64 s0, v21, v23
	s_waitcnt lgkmcnt(0)
	v_cmp_lt_i32_e64 s1, v22, v19
	s_delay_alu instid0(VALU_DEP_1) | instskip(SKIP_2) | instid1(SALU_CYCLE_1)
	s_and_b32 s0, s0, s1
	s_and_not1_b32 s1, s16, exec_lo
	s_and_b32 s0, s0, exec_lo
	s_or_b32 s16, s1, s0
.LBB15_24:                              ;   in Loop: Header=BB15_10 Depth=1
	s_or_b32 exec_lo, exec_lo, s17
	s_delay_alu instid0(VALU_DEP_2)
	s_and_saveexec_b32 s0, s16
	s_cbranch_execz .LBB15_26
; %bb.25:                               ;   in Loop: Header=BB15_10 Depth=1
	s_waitcnt lgkmcnt(1)
	v_dual_mov_b32 v20, v24 :: v_dual_mov_b32 v21, v23
	s_waitcnt lgkmcnt(0)
	v_mov_b32_e32 v19, v22
.LBB15_26:                              ;   in Loop: Header=BB15_10 Depth=1
	s_or_b32 exec_lo, exec_lo, s0
	s_waitcnt lgkmcnt(1)
	ds_bpermute_b32 v24, v14, v21
	ds_bpermute_b32 v23, v14, v20
	s_waitcnt lgkmcnt(2)
	ds_bpermute_b32 v22, v14, v19
	s_mov_b32 s17, exec_lo
	s_waitcnt lgkmcnt(2)
	v_cmp_lt_f32_e64 s16, v21, v24
	v_cmpx_nlt_f32_e32 v21, v24
	s_cbranch_execnz .LBB15_30
; %bb.27:                               ;   in Loop: Header=BB15_10 Depth=1
	s_or_b32 exec_lo, exec_lo, s17
	s_delay_alu instid0(VALU_DEP_2)
	s_and_saveexec_b32 s0, s16
	s_cbranch_execnz .LBB15_31
.LBB15_28:                              ;   in Loop: Header=BB15_10 Depth=1
	s_or_b32 exec_lo, exec_lo, s0
	s_and_saveexec_b32 s16, s2
	s_cbranch_execnz .LBB15_32
.LBB15_29:                              ;   in Loop: Header=BB15_10 Depth=1
	s_or_b32 exec_lo, exec_lo, s16
	s_add_i32 s7, s7, 1
	s_delay_alu instid0(SALU_CYCLE_1)
	s_cmp_ge_i32 s7, s4
	s_cbranch_scc1 .LBB15_9
	s_branch .LBB15_33
.LBB15_30:                              ;   in Loop: Header=BB15_10 Depth=1
	v_cmp_eq_f32_e64 s0, v21, v24
	s_waitcnt lgkmcnt(0)
	v_cmp_lt_i32_e64 s1, v22, v19
	s_delay_alu instid0(VALU_DEP_1) | instskip(SKIP_2) | instid1(SALU_CYCLE_1)
	s_and_b32 s0, s0, s1
	s_and_not1_b32 s1, s16, exec_lo
	s_and_b32 s0, s0, exec_lo
	s_or_b32 s16, s1, s0
	s_or_b32 exec_lo, exec_lo, s17
	s_and_saveexec_b32 s0, s16
	s_cbranch_execz .LBB15_28
.LBB15_31:                              ;   in Loop: Header=BB15_10 Depth=1
	s_waitcnt lgkmcnt(0)
	v_dual_mov_b32 v20, v23 :: v_dual_mov_b32 v19, v22
	s_or_b32 exec_lo, exec_lo, s0
	s_and_saveexec_b32 s16, s2
	s_cbranch_execz .LBB15_29
.LBB15_32:                              ;   in Loop: Header=BB15_10 Depth=1
	s_delay_alu instid0(VALU_DEP_1)
	v_dual_add_f32 v28, v16, v20 :: v_dual_add_nc_u32 v21, s7, v17
	v_cmp_le_i32_e64 s0, s5, v19
	v_cmp_gt_i32_e64 s1, s6, v19
	s_waitcnt lgkmcnt(1)
	v_subrev_nc_u32_e32 v23, s5, v19
	s_waitcnt lgkmcnt(0)
	v_ashrrev_i32_e32 v22, 31, v21
	v_cndmask_b32_e32 v16, v16, v28, vcc_lo
	s_and_b32 s0, s0, s1
	s_delay_alu instid0(SALU_CYCLE_1) | instskip(NEXT) | instid1(VALU_DEP_2)
	s_and_b32 s0, s15, s0
	v_lshlrev_b64 v[21:22], 2, v[21:22]
	v_cndmask_b32_e64 v27, 0x80, v23, s0
	s_delay_alu instid0(VALU_DEP_2) | instskip(NEXT) | instid1(VALU_DEP_1)
	v_add_co_u32 v23, s0, s12, v21
	v_add_co_ci_u32_e64 v24, s0, s13, v22, s0
	v_add_co_u32 v25, s0, s8, v21
	s_delay_alu instid0(VALU_DEP_1) | instskip(SKIP_1) | instid1(VALU_DEP_1)
	v_add_co_ci_u32_e64 v26, s0, s9, v22, s0
	v_add_co_u32 v21, s0, s10, v21
	v_add_co_ci_u32_e64 v22, s0, s11, v22, s0
	global_store_b32 v[23:24], v20, off
	global_store_b32 v[25:26], v27, off
	;; [unrolled: 1-line block ×3, first 2 shown]
	s_or_b32 exec_lo, exec_lo, s16
	s_add_i32 s7, s7, 1
	s_delay_alu instid0(SALU_CYCLE_1)
	s_cmp_ge_i32 s7, s4
	s_cbranch_scc1 .LBB15_9
.LBB15_33:                              ;   in Loop: Header=BB15_10 Depth=1
	v_ashrrev_i32_e32 v20, 31, v19
	s_mov_b32 s1, exec_lo
	s_delay_alu instid0(VALU_DEP_1) | instskip(NEXT) | instid1(VALU_DEP_1)
	v_lshrrev_b32_e32 v21, 30, v20
	v_add_nc_u32_e32 v21, v19, v21
	s_waitcnt lgkmcnt(0)
	s_delay_alu instid0(VALU_DEP_1) | instskip(SKIP_1) | instid1(VALU_DEP_2)
	v_ashrrev_i32_e32 v22, 31, v21
	v_ashrrev_i32_e32 v21, 2, v21
	v_lshrrev_b32_e32 v22, 27, v22
	s_delay_alu instid0(VALU_DEP_1) | instskip(NEXT) | instid1(VALU_DEP_1)
	v_add_nc_u32_e32 v22, v21, v22
	v_and_b32_e32 v22, 0xffffffe0, v22
	s_delay_alu instid0(VALU_DEP_1) | instskip(NEXT) | instid1(VALU_DEP_1)
	v_sub_nc_u32_e32 v22, v21, v22
	v_cmpx_eq_u32_e64 v9, v22
	s_cbranch_execz .LBB15_8
; %bb.34:                               ;   in Loop: Header=BB15_10 Depth=1
	v_lshrrev_b32_e32 v20, 25, v20
	v_lshlrev_b32_e32 v21, 2, v21
	s_delay_alu instid0(VALU_DEP_2) | instskip(NEXT) | instid1(VALU_DEP_2)
	v_add_nc_u32_e32 v20, v19, v20
	v_sub_nc_u32_e32 v19, v19, v21
	s_delay_alu instid0(VALU_DEP_2) | instskip(NEXT) | instid1(VALU_DEP_1)
	v_ashrrev_i32_e32 v20, 7, v20
	v_lshl_add_u32 v19, v20, 2, v19
	s_delay_alu instid0(VALU_DEP_1) | instskip(NEXT) | instid1(VALU_DEP_1)
	v_cmp_ne_u32_e64 s0, 3, v19
	v_cndmask_b32_e64 v7, 0xc61c4000, v7, s0
	v_cmp_ne_u32_e64 s0, 2, v19
	s_delay_alu instid0(VALU_DEP_1) | instskip(SKIP_1) | instid1(VALU_DEP_1)
	v_cndmask_b32_e64 v6, 0xc61c4000, v6, s0
	v_cmp_ne_u32_e64 s0, 1, v19
	v_cndmask_b32_e64 v5, 0xc61c4000, v5, s0
	v_cmp_ne_u32_e64 s0, 0, v19
	s_delay_alu instid0(VALU_DEP_1)
	v_cndmask_b32_e64 v4, 0xc61c4000, v4, s0
	s_branch .LBB15_8
.LBB15_35:
                                        ; implicit-def: $vgpr4_vgpr5_vgpr6_vgpr7
	s_and_not1_b32 vcc_lo, exec_lo, s8
	s_cbranch_vccz .LBB15_5
	s_branch .LBB15_6
.LBB15_36:
	v_mov_b32_e32 v16, 0
.LBB15_37:
	v_cmp_eq_u32_e64 s0, 0, v9
	s_delay_alu instid0(VALU_DEP_1) | instskip(NEXT) | instid1(SALU_CYCLE_1)
	s_and_b32 s0, s0, vcc_lo
	s_and_b32 exec_lo, exec_lo, s0
	s_cbranch_execz .LBB15_41
; %bb.38:
	s_and_not1_b32 vcc_lo, exec_lo, s3
	s_cbranch_vccnz .LBB15_41
; %bb.39:
	v_mul_lo_u32 v0, v8, s4
	v_cmp_lt_f32_e32 vcc_lo, 0, v16
	v_cndmask_b32_e32 v2, 1.0, v16, vcc_lo
	s_delay_alu instid0(VALU_DEP_3) | instskip(NEXT) | instid1(VALU_DEP_1)
	v_ashrrev_i32_e32 v1, 31, v0
	v_lshlrev_b64 v[0:1], 2, v[0:1]
	s_delay_alu instid0(VALU_DEP_1) | instskip(NEXT) | instid1(VALU_DEP_2)
	v_add_co_u32 v0, vcc_lo, s12, v0
	v_add_co_ci_u32_e32 v1, vcc_lo, s13, v1, vcc_lo
	.p2align	6
.LBB15_40:                              ; =>This Inner Loop Header: Depth=1
	global_load_b32 v3, v[0:1], off
	s_add_i32 s4, s4, -1
	s_delay_alu instid0(SALU_CYCLE_1) | instskip(SKIP_3) | instid1(VALU_DEP_2)
	s_cmp_lg_u32 s4, 0
	s_waitcnt vmcnt(0)
	v_div_scale_f32 v4, null, v2, v2, v3
	v_div_scale_f32 v7, vcc_lo, v3, v2, v3
	v_rcp_f32_e32 v5, v4
	s_waitcnt_depctr 0xfff
	v_fma_f32 v6, -v4, v5, 1.0
	s_delay_alu instid0(VALU_DEP_1) | instskip(NEXT) | instid1(VALU_DEP_1)
	v_fmac_f32_e32 v5, v6, v5
	v_mul_f32_e32 v6, v7, v5
	s_delay_alu instid0(VALU_DEP_1) | instskip(NEXT) | instid1(VALU_DEP_1)
	v_fma_f32 v8, -v4, v6, v7
	v_fmac_f32_e32 v6, v8, v5
	s_delay_alu instid0(VALU_DEP_1) | instskip(NEXT) | instid1(VALU_DEP_1)
	v_fma_f32 v4, -v4, v6, v7
	v_div_fmas_f32 v4, v4, v5, v6
	s_delay_alu instid0(VALU_DEP_1)
	v_div_fixup_f32 v3, v4, v2, v3
	global_store_b32 v[0:1], v3, off
	v_add_co_u32 v0, vcc_lo, v0, 4
	v_add_co_ci_u32_e32 v1, vcc_lo, 0, v1, vcc_lo
	s_cbranch_scc1 .LBB15_40
.LBB15_41:
	s_nop 0
	s_sendmsg sendmsg(MSG_DEALLOC_VGPRS)
	s_endpgm
	.section	.rodata,"a",@progbits
	.p2align	6, 0x0
	.amdhsa_kernel _ZN4vllm3moe10topkGatingILi4ELi128ELi4ELi16ELi32EifLNS0_11ScoringFuncE0EEEvPKT5_PKbPfiPT4_PiiiibPKf
		.amdhsa_group_segment_fixed_size 0
		.amdhsa_private_segment_fixed_size 0
		.amdhsa_kernarg_size 72
		.amdhsa_user_sgpr_count 15
		.amdhsa_user_sgpr_dispatch_ptr 0
		.amdhsa_user_sgpr_queue_ptr 0
		.amdhsa_user_sgpr_kernarg_segment_ptr 1
		.amdhsa_user_sgpr_dispatch_id 0
		.amdhsa_user_sgpr_private_segment_size 0
		.amdhsa_wavefront_size32 1
		.amdhsa_uses_dynamic_stack 0
		.amdhsa_enable_private_segment 0
		.amdhsa_system_sgpr_workgroup_id_x 1
		.amdhsa_system_sgpr_workgroup_id_y 0
		.amdhsa_system_sgpr_workgroup_id_z 0
		.amdhsa_system_sgpr_workgroup_info 0
		.amdhsa_system_vgpr_workitem_id 1
		.amdhsa_next_free_vgpr 29
		.amdhsa_next_free_sgpr 18
		.amdhsa_reserve_vcc 1
		.amdhsa_float_round_mode_32 0
		.amdhsa_float_round_mode_16_64 0
		.amdhsa_float_denorm_mode_32 3
		.amdhsa_float_denorm_mode_16_64 3
		.amdhsa_dx10_clamp 1
		.amdhsa_ieee_mode 1
		.amdhsa_fp16_overflow 0
		.amdhsa_workgroup_processor_mode 1
		.amdhsa_memory_ordered 1
		.amdhsa_forward_progress 0
		.amdhsa_shared_vgpr_count 0
		.amdhsa_exception_fp_ieee_invalid_op 0
		.amdhsa_exception_fp_denorm_src 0
		.amdhsa_exception_fp_ieee_div_zero 0
		.amdhsa_exception_fp_ieee_overflow 0
		.amdhsa_exception_fp_ieee_underflow 0
		.amdhsa_exception_fp_ieee_inexact 0
		.amdhsa_exception_int_div_zero 0
	.end_amdhsa_kernel
	.section	.text._ZN4vllm3moe10topkGatingILi4ELi128ELi4ELi16ELi32EifLNS0_11ScoringFuncE0EEEvPKT5_PKbPfiPT4_PiiiibPKf,"axG",@progbits,_ZN4vllm3moe10topkGatingILi4ELi128ELi4ELi16ELi32EifLNS0_11ScoringFuncE0EEEvPKT5_PKbPfiPT4_PiiiibPKf,comdat
.Lfunc_end15:
	.size	_ZN4vllm3moe10topkGatingILi4ELi128ELi4ELi16ELi32EifLNS0_11ScoringFuncE0EEEvPKT5_PKbPfiPT4_PiiiibPKf, .Lfunc_end15-_ZN4vllm3moe10topkGatingILi4ELi128ELi4ELi16ELi32EifLNS0_11ScoringFuncE0EEEvPKT5_PKbPfiPT4_PiiiibPKf
                                        ; -- End function
	.section	.AMDGPU.csdata,"",@progbits
; Kernel info:
; codeLenInByte = 2768
; NumSgprs: 20
; NumVgprs: 29
; ScratchSize: 0
; MemoryBound: 0
; FloatMode: 240
; IeeeMode: 1
; LDSByteSize: 0 bytes/workgroup (compile time only)
; SGPRBlocks: 2
; VGPRBlocks: 3
; NumSGPRsForWavesPerEU: 20
; NumVGPRsForWavesPerEU: 29
; Occupancy: 16
; WaveLimiterHint : 0
; COMPUTE_PGM_RSRC2:SCRATCH_EN: 0
; COMPUTE_PGM_RSRC2:USER_SGPR: 15
; COMPUTE_PGM_RSRC2:TRAP_HANDLER: 0
; COMPUTE_PGM_RSRC2:TGID_X_EN: 1
; COMPUTE_PGM_RSRC2:TGID_Y_EN: 0
; COMPUTE_PGM_RSRC2:TGID_Z_EN: 0
; COMPUTE_PGM_RSRC2:TIDIG_COMP_CNT: 1
	.section	.text._ZN4vllm3moe10topkGatingILi4ELi256ELi4ELi16ELi64EifLNS0_11ScoringFuncE0EEEvPKT5_PKbPfiPT4_PiiiibPKf,"axG",@progbits,_ZN4vllm3moe10topkGatingILi4ELi256ELi4ELi16ELi64EifLNS0_11ScoringFuncE0EEEvPKT5_PKbPfiPT4_PiiiibPKf,comdat
	.protected	_ZN4vllm3moe10topkGatingILi4ELi256ELi4ELi16ELi64EifLNS0_11ScoringFuncE0EEEvPKT5_PKbPfiPT4_PiiiibPKf ; -- Begin function _ZN4vllm3moe10topkGatingILi4ELi256ELi4ELi16ELi64EifLNS0_11ScoringFuncE0EEEvPKT5_PKbPfiPT4_PiiiibPKf
	.globl	_ZN4vllm3moe10topkGatingILi4ELi256ELi4ELi16ELi64EifLNS0_11ScoringFuncE0EEEvPKT5_PKbPfiPT4_PiiiibPKf
	.p2align	8
	.type	_ZN4vllm3moe10topkGatingILi4ELi256ELi4ELi16ELi64EifLNS0_11ScoringFuncE0EEEvPKT5_PKbPfiPT4_PiiiibPKf,@function
_ZN4vllm3moe10topkGatingILi4ELi256ELi4ELi16ELi64EifLNS0_11ScoringFuncE0EEEvPKT5_PKbPfiPT4_PiiiibPKf: ; @_ZN4vllm3moe10topkGatingILi4ELi256ELi4ELi16ELi64EifLNS0_11ScoringFuncE0EEEvPKT5_PKbPfiPT4_PiiiibPKf
; %bb.0:
	s_load_b32 s14, s[0:1], 0x18
	v_and_b32_e32 v1, 0x3ff, v0
	v_bfe_u32 v0, v0, 10, 10
	s_lshl_b32 s2, s15, 2
	s_delay_alu instid0(VALU_DEP_2) | instskip(NEXT) | instid1(VALU_DEP_1)
	v_lshrrev_b32_e32 v2, 6, v1
	v_add3_u32 v8, s2, v0, v2
	s_mov_b32 s2, exec_lo
	s_waitcnt lgkmcnt(0)
	s_delay_alu instid0(VALU_DEP_1)
	v_cmpx_gt_i32_e64 s14, v8
	s_cbranch_execz .LBB16_45
; %bb.1:
	s_clause 0x1
	s_load_b128 s[4:7], s[0:1], 0x0
	s_load_b64 s[12:13], s[0:1], 0x10
	s_mov_b32 s8, -1
	s_mov_b32 s15, -1
	s_waitcnt lgkmcnt(0)
	s_cmp_eq_u64 s[6:7], 0
	s_cbranch_scc1 .LBB16_3
; %bb.2:
	v_ashrrev_i32_e32 v0, 31, v8
	v_add_co_u32 v2, vcc_lo, s6, v8
	s_delay_alu instid0(VALU_DEP_2) | instskip(SKIP_3) | instid1(VALU_DEP_1)
	v_add_co_ci_u32_e32 v3, vcc_lo, s7, v0, vcc_lo
	global_load_u8 v0, v[2:3], off
	s_waitcnt vmcnt(0)
	v_and_b32_e32 v0, 1, v0
	v_cmp_eq_u32_e32 vcc_lo, 1, v0
	s_xor_b32 s2, vcc_lo, -1
	s_delay_alu instid0(SALU_CYCLE_1)
	s_or_not1_b32 s15, s2, exec_lo
.LBB16_3:
	v_mbcnt_lo_u32_b32 v4, -1, 0
	v_and_b32_e32 v9, 63, v1
	s_load_b64 s[2:3], s[0:1], 0x40
	s_delay_alu instid0(VALU_DEP_2) | instskip(SKIP_1) | instid1(VALU_DEP_1)
	v_or_b32_e32 v5, 32, v4
	v_lshlrev_b32_e32 v2, 8, v8
	v_ashrrev_i32_e32 v3, 31, v2
	s_delay_alu instid0(VALU_DEP_1) | instskip(SKIP_3) | instid1(VALU_DEP_2)
	v_lshlrev_b64 v[0:1], 2, v[2:3]
	v_lshlrev_b32_e32 v2, 4, v9
	s_waitcnt lgkmcnt(0)
	s_cmp_eq_u64 s[2:3], 0
	v_add_co_u32 v0, vcc_lo, s4, v0
	s_delay_alu instid0(VALU_DEP_3) | instskip(NEXT) | instid1(VALU_DEP_2)
	v_add_co_ci_u32_e32 v1, vcc_lo, s5, v1, vcc_lo
	v_add_co_u32 v0, vcc_lo, v0, v2
	s_delay_alu instid0(VALU_DEP_2) | instskip(SKIP_3) | instid1(VALU_DEP_1)
	v_add_co_ci_u32_e32 v1, vcc_lo, 0, v1, vcc_lo
	v_cmp_gt_i32_e32 vcc_lo, 64, v5
	global_load_b128 v[0:3], v[0:1], off
	v_cndmask_b32_e32 v5, v4, v5, vcc_lo
	v_lshlrev_b32_e32 v10, 2, v5
	s_waitcnt vmcnt(0)
	v_dual_max_f32 v6, v1, v1 :: v_dual_max_f32 v7, v0, v0
	s_delay_alu instid0(VALU_DEP_1) | instskip(SKIP_1) | instid1(VALU_DEP_2)
	v_max_f32_e32 v6, v7, v6
	v_xor_b32_e32 v7, 16, v4
	v_max3_f32 v5, v6, v2, v3
	s_delay_alu instid0(VALU_DEP_2) | instskip(SKIP_2) | instid1(VALU_DEP_1)
	v_cmp_gt_i32_e32 vcc_lo, 64, v7
	ds_bpermute_b32 v6, v10, v5
	v_cndmask_b32_e32 v7, v4, v7, vcc_lo
	v_lshlrev_b32_e32 v11, 2, v7
	v_xor_b32_e32 v7, 8, v4
	s_delay_alu instid0(VALU_DEP_1) | instskip(SKIP_2) | instid1(VALU_DEP_1)
	v_cmp_gt_i32_e32 vcc_lo, 64, v7
	s_waitcnt lgkmcnt(0)
	v_max_f32_e32 v6, v6, v6
	v_max_f32_e32 v5, v5, v6
	ds_bpermute_b32 v6, v11, v5
	s_waitcnt lgkmcnt(0)
	v_dual_cndmask_b32 v7, v4, v7 :: v_dual_max_f32 v6, v6, v6
	s_delay_alu instid0(VALU_DEP_1) | instskip(SKIP_1) | instid1(VALU_DEP_3)
	v_lshlrev_b32_e32 v12, 2, v7
	v_xor_b32_e32 v7, 4, v4
	v_max_f32_e32 v5, v5, v6
	s_delay_alu instid0(VALU_DEP_2) | instskip(SKIP_3) | instid1(VALU_DEP_1)
	v_cmp_gt_i32_e32 vcc_lo, 64, v7
	ds_bpermute_b32 v6, v12, v5
	s_waitcnt lgkmcnt(0)
	v_dual_cndmask_b32 v7, v4, v7 :: v_dual_max_f32 v6, v6, v6
	v_lshlrev_b32_e32 v13, 2, v7
	v_xor_b32_e32 v7, 2, v4
	s_delay_alu instid0(VALU_DEP_1) | instskip(SKIP_1) | instid1(VALU_DEP_1)
	v_cmp_gt_i32_e32 vcc_lo, 64, v7
	v_cndmask_b32_e32 v7, v4, v7, vcc_lo
	v_dual_max_f32 v5, v5, v6 :: v_dual_lshlrev_b32 v14, 2, v7
	ds_bpermute_b32 v6, v13, v5
	v_xor_b32_e32 v7, 1, v4
	s_delay_alu instid0(VALU_DEP_1) | instskip(SKIP_3) | instid1(VALU_DEP_1)
	v_cmp_gt_i32_e32 vcc_lo, 64, v7
	v_cndmask_b32_e32 v4, v4, v7, vcc_lo
	s_waitcnt lgkmcnt(0)
	v_max_f32_e32 v6, v6, v6
	v_max_f32_e32 v5, v5, v6
	ds_bpermute_b32 v6, v14, v5
	s_waitcnt lgkmcnt(0)
	v_dual_max_f32 v6, v6, v6 :: v_dual_lshlrev_b32 v15, 2, v4
	s_delay_alu instid0(VALU_DEP_1) | instskip(SKIP_3) | instid1(VALU_DEP_1)
	v_max_f32_e32 v4, v5, v6
	ds_bpermute_b32 v5, v15, v4
	s_waitcnt lgkmcnt(0)
	v_max_f32_e32 v5, v5, v5
	v_max_f32_e32 v4, v4, v5
	s_delay_alu instid0(VALU_DEP_1) | instskip(NEXT) | instid1(VALU_DEP_1)
	v_sub_f32_e32 v3, v3, v4
	v_dual_mul_f32 v7, 0x3fb8aa3b, v3 :: v_dual_sub_f32 v2, v2, v4
	v_sub_f32_e32 v1, v1, v4
	v_sub_f32_e32 v0, v0, v4
	s_delay_alu instid0(VALU_DEP_3) | instskip(NEXT) | instid1(VALU_DEP_3)
	v_rndne_f32_e32 v23, v7
	v_dual_mul_f32 v6, 0x3fb8aa3b, v2 :: v_dual_mul_f32 v5, 0x3fb8aa3b, v1
	s_delay_alu instid0(VALU_DEP_3) | instskip(NEXT) | instid1(VALU_DEP_2)
	v_cmp_ngt_f32_e32 vcc_lo, 0xc2ce8ed0, v0
	v_rndne_f32_e32 v21, v6
	s_delay_alu instid0(VALU_DEP_3) | instskip(SKIP_3) | instid1(VALU_DEP_4)
	v_rndne_f32_e32 v19, v5
	v_mul_f32_e32 v4, 0x3fb8aa3b, v0
	v_fma_f32 v18, 0x3fb8aa3b, v1, -v5
	v_fma_f32 v20, 0x3fb8aa3b, v2, -v6
	v_sub_f32_e32 v5, v5, v19
	s_delay_alu instid0(VALU_DEP_4) | instskip(SKIP_1) | instid1(VALU_DEP_2)
	v_fma_f32 v16, 0x3fb8aa3b, v0, -v4
	v_rndne_f32_e32 v17, v4
	v_fmac_f32_e32 v16, 0x32a5705f, v0
	s_delay_alu instid0(VALU_DEP_2) | instskip(SKIP_1) | instid1(VALU_DEP_2)
	v_sub_f32_e32 v4, v4, v17
	v_fma_f32 v22, 0x3fb8aa3b, v3, -v7
	v_dual_sub_f32 v7, v7, v23 :: v_dual_add_f32 v4, v4, v16
	s_delay_alu instid0(VALU_DEP_2)
	v_fmac_f32_e32 v22, 0x32a5705f, v3
	v_fmac_f32_e32 v18, 0x32a5705f, v1
	v_cvt_i32_f32_e32 v16, v17
	v_cvt_i32_f32_e32 v17, v19
	v_exp_f32_e32 v4, v4
	v_dual_add_f32 v7, v7, v22 :: v_dual_sub_f32 v6, v6, v21
	v_add_f32_e32 v5, v5, v18
	v_cvt_i32_f32_e32 v18, v21
	v_cvt_i32_f32_e32 v19, v23
	s_delay_alu instid0(VALU_DEP_4) | instskip(NEXT) | instid1(VALU_DEP_3)
	v_exp_f32_e32 v7, v7
	v_exp_f32_e32 v5, v5
	s_delay_alu instid0(TRANS32_DEP_3) | instskip(NEXT) | instid1(VALU_DEP_1)
	v_ldexp_f32 v4, v4, v16
	v_cndmask_b32_e32 v4, 0, v4, vcc_lo
	v_cmp_ngt_f32_e32 vcc_lo, 0xc2ce8ed0, v1
	s_waitcnt_depctr 0xfff
	v_ldexp_f32 v7, v7, v19
	v_ldexp_f32 v5, v5, v17
	s_delay_alu instid0(VALU_DEP_1) | instskip(NEXT) | instid1(VALU_DEP_1)
	v_dual_fmac_f32 v20, 0x32a5705f, v2 :: v_dual_cndmask_b32 v5, 0, v5
	v_add_f32_e32 v6, v6, v20
	v_cmp_ngt_f32_e32 vcc_lo, 0xc2ce8ed0, v2
	s_delay_alu instid0(VALU_DEP_2) | instskip(SKIP_2) | instid1(VALU_DEP_1)
	v_exp_f32_e32 v6, v6
	s_waitcnt_depctr 0xfff
	v_ldexp_f32 v6, v6, v18
	v_cndmask_b32_e32 v6, 0, v6, vcc_lo
	v_cmp_nlt_f32_e32 vcc_lo, 0x42b17218, v0
	v_cndmask_b32_e32 v0, 0x7f800000, v4, vcc_lo
	v_cmp_nlt_f32_e32 vcc_lo, 0x42b17218, v1
	v_cndmask_b32_e32 v1, 0x7f800000, v5, vcc_lo
	v_cmp_ngt_f32_e32 vcc_lo, 0xc2ce8ed0, v3
	s_delay_alu instid0(VALU_DEP_2) | instskip(SKIP_3) | instid1(VALU_DEP_2)
	v_dual_add_f32 v5, v0, v1 :: v_dual_cndmask_b32 v4, 0, v7
	v_cmp_nlt_f32_e32 vcc_lo, 0x42b17218, v2
	v_cndmask_b32_e32 v2, 0x7f800000, v6, vcc_lo
	v_cmp_nlt_f32_e32 vcc_lo, 0x42b17218, v3
	v_dual_cndmask_b32 v3, 0x7f800000, v4 :: v_dual_add_f32 v4, v5, v2
	s_delay_alu instid0(VALU_DEP_1)
	v_add_f32_e32 v4, v4, v3
	ds_bpermute_b32 v5, v10, v4
	s_waitcnt lgkmcnt(0)
	v_add_f32_e32 v4, v4, v5
	ds_bpermute_b32 v5, v11, v4
	s_waitcnt lgkmcnt(0)
	;; [unrolled: 3-line block ×6, first 2 shown]
	v_add_f32_e32 v4, v4, v5
	s_delay_alu instid0(VALU_DEP_1) | instskip(SKIP_1) | instid1(VALU_DEP_2)
	v_div_scale_f32 v5, null, v4, v4, 1.0
	v_div_scale_f32 v16, vcc_lo, 1.0, v4, 1.0
	v_rcp_f32_e32 v6, v5
	s_waitcnt_depctr 0xfff
	v_fma_f32 v7, -v5, v6, 1.0
	s_delay_alu instid0(VALU_DEP_1) | instskip(NEXT) | instid1(VALU_DEP_1)
	v_fmac_f32_e32 v6, v7, v6
	v_mul_f32_e32 v7, v16, v6
	s_delay_alu instid0(VALU_DEP_1) | instskip(NEXT) | instid1(VALU_DEP_1)
	v_fma_f32 v17, -v5, v7, v16
	v_fmac_f32_e32 v7, v17, v6
	s_delay_alu instid0(VALU_DEP_1) | instskip(SKIP_1) | instid1(VALU_DEP_2)
	v_fma_f32 v5, -v5, v7, v16
	v_lshlrev_b32_e32 v16, 2, v9
	v_div_fmas_f32 v5, v5, v6, v7
	s_delay_alu instid0(VALU_DEP_1) | instskip(NEXT) | instid1(VALU_DEP_1)
	v_div_fixup_f32 v4, v5, v4, 1.0
	v_mul_f32_e32 v0, v4, v0
	v_mul_f32_e32 v1, v4, v1
	;; [unrolled: 1-line block ×4, first 2 shown]
	s_delay_alu instid0(VALU_DEP_4)
	v_cmp_class_f32_e64 vcc_lo, v0, 0x1f8
	v_cndmask_b32_e32 v0, 0, v0, vcc_lo
	v_cmp_class_f32_e64 vcc_lo, v1, 0x1f8
	v_cndmask_b32_e32 v1, 0, v1, vcc_lo
	;; [unrolled: 2-line block ×4, first 2 shown]
	s_cbranch_scc1 .LBB16_39
; %bb.4:
	v_lshlrev_b32_e32 v4, 2, v16
	global_load_b128 v[4:7], v4, s[2:3]
	s_waitcnt vmcnt(0)
	v_dual_add_f32 v5, v5, v1 :: v_dual_add_f32 v4, v4, v0
	v_dual_add_f32 v7, v7, v3 :: v_dual_add_f32 v6, v6, v2
	s_cbranch_execnz .LBB16_6
.LBB16_5:
	v_dual_mov_b32 v7, v3 :: v_dual_mov_b32 v6, v2
	v_dual_mov_b32 v5, v1 :: v_dual_mov_b32 v4, v0
.LBB16_6:
	s_load_b128 s[4:7], s[0:1], 0x30
	v_cmp_eq_u32_e64 s2, 0, v9
	s_waitcnt lgkmcnt(0)
	s_bitcmp1_b32 s7, 0
	s_mov_b32 s7, 0
	s_cselect_b32 vcc_lo, -1, 0
	s_cmp_gt_i32 s4, 0
	s_cselect_b32 s3, -1, 0
	s_cmp_lt_i32 s4, 1
	s_cbranch_scc1 .LBB16_40
; %bb.7:
	s_load_b128 s[8:11], s[0:1], 0x20
	v_mul_lo_u32 v18, v8, s4
	v_mov_b32_e32 v17, 0
	v_mov_b32_e32 v19, v8
	s_branch .LBB16_10
.LBB16_8:                               ;   in Loop: Header=BB16_10 Depth=1
	s_or_b32 exec_lo, exec_lo, s1
.LBB16_9:                               ;   in Loop: Header=BB16_10 Depth=1
	v_add_nc_u32_e32 v19, s14, v19
	s_cmp_eq_u32 s4, s7
	s_cbranch_scc1 .LBB16_41
.LBB16_10:                              ; =>This Inner Loop Header: Depth=1
	v_cmp_gt_f32_e64 s0, v5, v4
	s_mov_b32 s17, exec_lo
	s_delay_alu instid0(VALU_DEP_1) | instskip(SKIP_2) | instid1(VALU_DEP_3)
	v_cndmask_b32_e64 v20, v4, v5, s0
	v_cndmask_b32_e64 v21, 0, 1, s0
	;; [unrolled: 1-line block ×3, first 2 shown]
	v_cmp_gt_f32_e64 s1, v6, v20
	s_delay_alu instid0(VALU_DEP_1) | instskip(NEXT) | instid1(VALU_DEP_4)
	v_cndmask_b32_e64 v20, v20, v6, s1
	v_cndmask_b32_e64 v21, v21, 2, s1
	s_waitcnt lgkmcnt(0)
	v_cndmask_b32_e64 v23, v22, v2, s1
	s_delay_alu instid0(VALU_DEP_3) | instskip(NEXT) | instid1(VALU_DEP_1)
	v_cmp_gt_f32_e64 s0, v7, v20
	v_cndmask_b32_e64 v22, v20, v7, s0
	v_cndmask_b32_e64 v20, v21, 3, s0
	s_delay_alu instid0(VALU_DEP_4)
	v_cndmask_b32_e64 v21, v23, v3, s0
	ds_bpermute_b32 v23, v10, v22
	v_or_b32_e32 v20, v16, v20
	ds_bpermute_b32 v25, v10, v21
	ds_bpermute_b32 v24, v10, v20
	s_waitcnt lgkmcnt(0)
	v_cmp_lt_f32_e64 s16, v22, v23
	v_cmpx_nlt_f32_e32 v22, v23
; %bb.11:                               ;   in Loop: Header=BB16_10 Depth=1
	v_cmp_eq_f32_e64 s0, v22, v23
	v_cmp_lt_i32_e64 s1, v24, v20
	s_delay_alu instid0(VALU_DEP_1) | instskip(SKIP_2) | instid1(SALU_CYCLE_1)
	s_and_b32 s0, s0, s1
	s_and_not1_b32 s1, s16, exec_lo
	s_and_b32 s0, s0, exec_lo
	s_or_b32 s16, s1, s0
; %bb.12:                               ;   in Loop: Header=BB16_10 Depth=1
	s_or_b32 exec_lo, exec_lo, s17
	s_and_saveexec_b32 s0, s16
; %bb.13:                               ;   in Loop: Header=BB16_10 Depth=1
	v_dual_mov_b32 v21, v25 :: v_dual_mov_b32 v22, v23
	v_mov_b32_e32 v20, v24
; %bb.14:                               ;   in Loop: Header=BB16_10 Depth=1
	s_or_b32 exec_lo, exec_lo, s0
	ds_bpermute_b32 v24, v11, v22
	ds_bpermute_b32 v25, v11, v21
	;; [unrolled: 1-line block ×3, first 2 shown]
	s_mov_b32 s17, exec_lo
	s_waitcnt lgkmcnt(2)
	v_cmp_lt_f32_e64 s16, v22, v24
	v_cmpx_nlt_f32_e32 v22, v24
	s_cbranch_execz .LBB16_16
; %bb.15:                               ;   in Loop: Header=BB16_10 Depth=1
	v_cmp_eq_f32_e64 s0, v22, v24
	s_waitcnt lgkmcnt(0)
	v_cmp_lt_i32_e64 s1, v23, v20
	s_delay_alu instid0(VALU_DEP_1) | instskip(SKIP_2) | instid1(SALU_CYCLE_1)
	s_and_b32 s0, s0, s1
	s_and_not1_b32 s1, s16, exec_lo
	s_and_b32 s0, s0, exec_lo
	s_or_b32 s16, s1, s0
.LBB16_16:                              ;   in Loop: Header=BB16_10 Depth=1
	s_or_b32 exec_lo, exec_lo, s17
	s_delay_alu instid0(VALU_DEP_2)
	s_and_saveexec_b32 s0, s16
	s_cbranch_execz .LBB16_18
; %bb.17:                               ;   in Loop: Header=BB16_10 Depth=1
	s_waitcnt lgkmcnt(1)
	v_dual_mov_b32 v21, v25 :: v_dual_mov_b32 v22, v24
	s_waitcnt lgkmcnt(0)
	v_mov_b32_e32 v20, v23
.LBB16_18:                              ;   in Loop: Header=BB16_10 Depth=1
	s_or_b32 exec_lo, exec_lo, s0
	ds_bpermute_b32 v24, v12, v22
	s_waitcnt lgkmcnt(2)
	ds_bpermute_b32 v25, v12, v21
	s_waitcnt lgkmcnt(2)
	ds_bpermute_b32 v23, v12, v20
	s_mov_b32 s17, exec_lo
	s_waitcnt lgkmcnt(2)
	v_cmp_lt_f32_e64 s16, v22, v24
	v_cmpx_nlt_f32_e32 v22, v24
	s_cbranch_execz .LBB16_20
; %bb.19:                               ;   in Loop: Header=BB16_10 Depth=1
	v_cmp_eq_f32_e64 s0, v22, v24
	s_waitcnt lgkmcnt(0)
	v_cmp_lt_i32_e64 s1, v23, v20
	s_delay_alu instid0(VALU_DEP_1) | instskip(SKIP_2) | instid1(SALU_CYCLE_1)
	s_and_b32 s0, s0, s1
	s_and_not1_b32 s1, s16, exec_lo
	s_and_b32 s0, s0, exec_lo
	s_or_b32 s16, s1, s0
.LBB16_20:                              ;   in Loop: Header=BB16_10 Depth=1
	s_or_b32 exec_lo, exec_lo, s17
	s_delay_alu instid0(VALU_DEP_2)
	s_and_saveexec_b32 s0, s16
	s_cbranch_execz .LBB16_22
; %bb.21:                               ;   in Loop: Header=BB16_10 Depth=1
	s_waitcnt lgkmcnt(1)
	v_dual_mov_b32 v21, v25 :: v_dual_mov_b32 v22, v24
	s_waitcnt lgkmcnt(0)
	v_mov_b32_e32 v20, v23
.LBB16_22:                              ;   in Loop: Header=BB16_10 Depth=1
	s_or_b32 exec_lo, exec_lo, s0
	ds_bpermute_b32 v24, v13, v22
	s_waitcnt lgkmcnt(2)
	ds_bpermute_b32 v25, v13, v21
	s_waitcnt lgkmcnt(2)
	ds_bpermute_b32 v23, v13, v20
	;; [unrolled: 31-line block ×3, first 2 shown]
	s_mov_b32 s17, exec_lo
	s_waitcnt lgkmcnt(2)
	v_cmp_lt_f32_e64 s16, v22, v24
	v_cmpx_nlt_f32_e32 v22, v24
	s_cbranch_execz .LBB16_28
; %bb.27:                               ;   in Loop: Header=BB16_10 Depth=1
	v_cmp_eq_f32_e64 s0, v22, v24
	s_waitcnt lgkmcnt(0)
	v_cmp_lt_i32_e64 s1, v23, v20
	s_delay_alu instid0(VALU_DEP_1) | instskip(SKIP_2) | instid1(SALU_CYCLE_1)
	s_and_b32 s0, s0, s1
	s_and_not1_b32 s1, s16, exec_lo
	s_and_b32 s0, s0, exec_lo
	s_or_b32 s16, s1, s0
.LBB16_28:                              ;   in Loop: Header=BB16_10 Depth=1
	s_or_b32 exec_lo, exec_lo, s17
	s_delay_alu instid0(VALU_DEP_2)
	s_and_saveexec_b32 s0, s16
	s_cbranch_execz .LBB16_30
; %bb.29:                               ;   in Loop: Header=BB16_10 Depth=1
	s_waitcnt lgkmcnt(1)
	v_dual_mov_b32 v21, v25 :: v_dual_mov_b32 v22, v24
	s_waitcnt lgkmcnt(0)
	v_mov_b32_e32 v20, v23
.LBB16_30:                              ;   in Loop: Header=BB16_10 Depth=1
	s_or_b32 exec_lo, exec_lo, s0
	s_waitcnt lgkmcnt(1)
	ds_bpermute_b32 v25, v15, v22
	ds_bpermute_b32 v24, v15, v21
	s_waitcnt lgkmcnt(2)
	ds_bpermute_b32 v23, v15, v20
	s_mov_b32 s17, exec_lo
	s_waitcnt lgkmcnt(2)
	v_cmp_lt_f32_e64 s16, v22, v25
	v_cmpx_nlt_f32_e32 v22, v25
	s_cbranch_execnz .LBB16_34
; %bb.31:                               ;   in Loop: Header=BB16_10 Depth=1
	s_or_b32 exec_lo, exec_lo, s17
	s_delay_alu instid0(VALU_DEP_2)
	s_and_saveexec_b32 s0, s16
	s_cbranch_execnz .LBB16_35
.LBB16_32:                              ;   in Loop: Header=BB16_10 Depth=1
	s_or_b32 exec_lo, exec_lo, s0
	s_and_saveexec_b32 s16, s2
	s_cbranch_execnz .LBB16_36
.LBB16_33:                              ;   in Loop: Header=BB16_10 Depth=1
	s_or_b32 exec_lo, exec_lo, s16
	s_add_i32 s7, s7, 1
	s_delay_alu instid0(SALU_CYCLE_1)
	s_cmp_ge_i32 s7, s4
	s_cbranch_scc1 .LBB16_9
	s_branch .LBB16_37
.LBB16_34:                              ;   in Loop: Header=BB16_10 Depth=1
	v_cmp_eq_f32_e64 s0, v22, v25
	s_waitcnt lgkmcnt(0)
	v_cmp_lt_i32_e64 s1, v23, v20
	s_delay_alu instid0(VALU_DEP_1) | instskip(SKIP_2) | instid1(SALU_CYCLE_1)
	s_and_b32 s0, s0, s1
	s_and_not1_b32 s1, s16, exec_lo
	s_and_b32 s0, s0, exec_lo
	s_or_b32 s16, s1, s0
	s_or_b32 exec_lo, exec_lo, s17
	s_and_saveexec_b32 s0, s16
	s_cbranch_execz .LBB16_32
.LBB16_35:                              ;   in Loop: Header=BB16_10 Depth=1
	s_waitcnt lgkmcnt(0)
	v_dual_mov_b32 v21, v24 :: v_dual_mov_b32 v20, v23
	s_or_b32 exec_lo, exec_lo, s0
	s_and_saveexec_b32 s16, s2
	s_cbranch_execz .LBB16_33
.LBB16_36:                              ;   in Loop: Header=BB16_10 Depth=1
	s_delay_alu instid0(VALU_DEP_1)
	v_dual_add_f32 v29, v17, v21 :: v_dual_add_nc_u32 v22, s7, v18
	v_cmp_le_i32_e64 s0, s5, v20
	v_cmp_gt_i32_e64 s1, s6, v20
	s_waitcnt lgkmcnt(1)
	v_subrev_nc_u32_e32 v24, s5, v20
	s_waitcnt lgkmcnt(0)
	v_ashrrev_i32_e32 v23, 31, v22
	v_cndmask_b32_e32 v17, v17, v29, vcc_lo
	s_and_b32 s0, s0, s1
	s_delay_alu instid0(SALU_CYCLE_1) | instskip(NEXT) | instid1(VALU_DEP_2)
	s_and_b32 s0, s15, s0
	v_lshlrev_b64 v[22:23], 2, v[22:23]
	v_cndmask_b32_e64 v28, 0x100, v24, s0
	s_delay_alu instid0(VALU_DEP_2) | instskip(NEXT) | instid1(VALU_DEP_1)
	v_add_co_u32 v24, s0, s12, v22
	v_add_co_ci_u32_e64 v25, s0, s13, v23, s0
	v_add_co_u32 v26, s0, s8, v22
	s_delay_alu instid0(VALU_DEP_1) | instskip(SKIP_1) | instid1(VALU_DEP_1)
	v_add_co_ci_u32_e64 v27, s0, s9, v23, s0
	v_add_co_u32 v22, s0, s10, v22
	v_add_co_ci_u32_e64 v23, s0, s11, v23, s0
	global_store_b32 v[24:25], v21, off
	global_store_b32 v[26:27], v28, off
	global_store_b32 v[22:23], v19, off
	s_or_b32 exec_lo, exec_lo, s16
	s_add_i32 s7, s7, 1
	s_delay_alu instid0(SALU_CYCLE_1)
	s_cmp_ge_i32 s7, s4
	s_cbranch_scc1 .LBB16_9
.LBB16_37:                              ;   in Loop: Header=BB16_10 Depth=1
	v_ashrrev_i32_e32 v21, 31, v20
	s_mov_b32 s1, exec_lo
	s_delay_alu instid0(VALU_DEP_1) | instskip(NEXT) | instid1(VALU_DEP_1)
	v_lshrrev_b32_e32 v22, 30, v21
	v_add_nc_u32_e32 v22, v20, v22
	s_waitcnt lgkmcnt(0)
	s_delay_alu instid0(VALU_DEP_1) | instskip(SKIP_1) | instid1(VALU_DEP_2)
	v_ashrrev_i32_e32 v23, 31, v22
	v_ashrrev_i32_e32 v22, 2, v22
	v_lshrrev_b32_e32 v23, 26, v23
	s_delay_alu instid0(VALU_DEP_1) | instskip(NEXT) | instid1(VALU_DEP_1)
	v_add_nc_u32_e32 v23, v22, v23
	v_and_b32_e32 v23, 0xffffffc0, v23
	s_delay_alu instid0(VALU_DEP_1) | instskip(NEXT) | instid1(VALU_DEP_1)
	v_sub_nc_u32_e32 v23, v22, v23
	v_cmpx_eq_u32_e64 v9, v23
	s_cbranch_execz .LBB16_8
; %bb.38:                               ;   in Loop: Header=BB16_10 Depth=1
	v_lshrrev_b32_e32 v21, 24, v21
	v_lshlrev_b32_e32 v22, 2, v22
	s_delay_alu instid0(VALU_DEP_2) | instskip(NEXT) | instid1(VALU_DEP_2)
	v_add_nc_u32_e32 v21, v20, v21
	v_sub_nc_u32_e32 v20, v20, v22
	s_delay_alu instid0(VALU_DEP_2) | instskip(NEXT) | instid1(VALU_DEP_1)
	v_ashrrev_i32_e32 v21, 8, v21
	v_lshl_add_u32 v20, v21, 2, v20
	s_delay_alu instid0(VALU_DEP_1) | instskip(NEXT) | instid1(VALU_DEP_1)
	v_cmp_ne_u32_e64 s0, 3, v20
	v_cndmask_b32_e64 v7, 0xc61c4000, v7, s0
	v_cmp_ne_u32_e64 s0, 2, v20
	s_delay_alu instid0(VALU_DEP_1) | instskip(SKIP_1) | instid1(VALU_DEP_1)
	v_cndmask_b32_e64 v6, 0xc61c4000, v6, s0
	v_cmp_ne_u32_e64 s0, 1, v20
	v_cndmask_b32_e64 v5, 0xc61c4000, v5, s0
	v_cmp_ne_u32_e64 s0, 0, v20
	s_delay_alu instid0(VALU_DEP_1)
	v_cndmask_b32_e64 v4, 0xc61c4000, v4, s0
	s_branch .LBB16_8
.LBB16_39:
                                        ; implicit-def: $vgpr4_vgpr5_vgpr6_vgpr7
	s_and_not1_b32 vcc_lo, exec_lo, s8
	s_cbranch_vccz .LBB16_5
	s_branch .LBB16_6
.LBB16_40:
	v_mov_b32_e32 v17, 0
.LBB16_41:
	v_cmp_eq_u32_e64 s0, 0, v9
	s_delay_alu instid0(VALU_DEP_1) | instskip(NEXT) | instid1(SALU_CYCLE_1)
	s_and_b32 s0, s0, vcc_lo
	s_and_b32 exec_lo, exec_lo, s0
	s_cbranch_execz .LBB16_45
; %bb.42:
	s_and_not1_b32 vcc_lo, exec_lo, s3
	s_cbranch_vccnz .LBB16_45
; %bb.43:
	v_mul_lo_u32 v0, v8, s4
	v_cmp_lt_f32_e32 vcc_lo, 0, v17
	v_cndmask_b32_e32 v2, 1.0, v17, vcc_lo
	s_delay_alu instid0(VALU_DEP_3) | instskip(NEXT) | instid1(VALU_DEP_1)
	v_ashrrev_i32_e32 v1, 31, v0
	v_lshlrev_b64 v[0:1], 2, v[0:1]
	s_delay_alu instid0(VALU_DEP_1) | instskip(NEXT) | instid1(VALU_DEP_2)
	v_add_co_u32 v0, vcc_lo, s12, v0
	v_add_co_ci_u32_e32 v1, vcc_lo, s13, v1, vcc_lo
	.p2align	6
.LBB16_44:                              ; =>This Inner Loop Header: Depth=1
	global_load_b32 v3, v[0:1], off
	s_add_i32 s4, s4, -1
	s_delay_alu instid0(SALU_CYCLE_1) | instskip(SKIP_3) | instid1(VALU_DEP_2)
	s_cmp_lg_u32 s4, 0
	s_waitcnt vmcnt(0)
	v_div_scale_f32 v4, null, v2, v2, v3
	v_div_scale_f32 v7, vcc_lo, v3, v2, v3
	v_rcp_f32_e32 v5, v4
	s_waitcnt_depctr 0xfff
	v_fma_f32 v6, -v4, v5, 1.0
	s_delay_alu instid0(VALU_DEP_1) | instskip(NEXT) | instid1(VALU_DEP_1)
	v_fmac_f32_e32 v5, v6, v5
	v_mul_f32_e32 v6, v7, v5
	s_delay_alu instid0(VALU_DEP_1) | instskip(NEXT) | instid1(VALU_DEP_1)
	v_fma_f32 v8, -v4, v6, v7
	v_fmac_f32_e32 v6, v8, v5
	s_delay_alu instid0(VALU_DEP_1) | instskip(NEXT) | instid1(VALU_DEP_1)
	v_fma_f32 v4, -v4, v6, v7
	v_div_fmas_f32 v4, v4, v5, v6
	s_delay_alu instid0(VALU_DEP_1)
	v_div_fixup_f32 v3, v4, v2, v3
	global_store_b32 v[0:1], v3, off
	v_add_co_u32 v0, vcc_lo, v0, 4
	v_add_co_ci_u32_e32 v1, vcc_lo, 0, v1, vcc_lo
	s_cbranch_scc1 .LBB16_44
.LBB16_45:
	s_nop 0
	s_sendmsg sendmsg(MSG_DEALLOC_VGPRS)
	s_endpgm
	.section	.rodata,"a",@progbits
	.p2align	6, 0x0
	.amdhsa_kernel _ZN4vllm3moe10topkGatingILi4ELi256ELi4ELi16ELi64EifLNS0_11ScoringFuncE0EEEvPKT5_PKbPfiPT4_PiiiibPKf
		.amdhsa_group_segment_fixed_size 0
		.amdhsa_private_segment_fixed_size 0
		.amdhsa_kernarg_size 72
		.amdhsa_user_sgpr_count 15
		.amdhsa_user_sgpr_dispatch_ptr 0
		.amdhsa_user_sgpr_queue_ptr 0
		.amdhsa_user_sgpr_kernarg_segment_ptr 1
		.amdhsa_user_sgpr_dispatch_id 0
		.amdhsa_user_sgpr_private_segment_size 0
		.amdhsa_wavefront_size32 1
		.amdhsa_uses_dynamic_stack 0
		.amdhsa_enable_private_segment 0
		.amdhsa_system_sgpr_workgroup_id_x 1
		.amdhsa_system_sgpr_workgroup_id_y 0
		.amdhsa_system_sgpr_workgroup_id_z 0
		.amdhsa_system_sgpr_workgroup_info 0
		.amdhsa_system_vgpr_workitem_id 1
		.amdhsa_next_free_vgpr 30
		.amdhsa_next_free_sgpr 18
		.amdhsa_reserve_vcc 1
		.amdhsa_float_round_mode_32 0
		.amdhsa_float_round_mode_16_64 0
		.amdhsa_float_denorm_mode_32 3
		.amdhsa_float_denorm_mode_16_64 3
		.amdhsa_dx10_clamp 1
		.amdhsa_ieee_mode 1
		.amdhsa_fp16_overflow 0
		.amdhsa_workgroup_processor_mode 1
		.amdhsa_memory_ordered 1
		.amdhsa_forward_progress 0
		.amdhsa_shared_vgpr_count 0
		.amdhsa_exception_fp_ieee_invalid_op 0
		.amdhsa_exception_fp_denorm_src 0
		.amdhsa_exception_fp_ieee_div_zero 0
		.amdhsa_exception_fp_ieee_overflow 0
		.amdhsa_exception_fp_ieee_underflow 0
		.amdhsa_exception_fp_ieee_inexact 0
		.amdhsa_exception_int_div_zero 0
	.end_amdhsa_kernel
	.section	.text._ZN4vllm3moe10topkGatingILi4ELi256ELi4ELi16ELi64EifLNS0_11ScoringFuncE0EEEvPKT5_PKbPfiPT4_PiiiibPKf,"axG",@progbits,_ZN4vllm3moe10topkGatingILi4ELi256ELi4ELi16ELi64EifLNS0_11ScoringFuncE0EEEvPKT5_PKbPfiPT4_PiiiibPKf,comdat
.Lfunc_end16:
	.size	_ZN4vllm3moe10topkGatingILi4ELi256ELi4ELi16ELi64EifLNS0_11ScoringFuncE0EEEvPKT5_PKbPfiPT4_PiiiibPKf, .Lfunc_end16-_ZN4vllm3moe10topkGatingILi4ELi256ELi4ELi16ELi64EifLNS0_11ScoringFuncE0EEEvPKT5_PKbPfiPT4_PiiiibPKf
                                        ; -- End function
	.section	.AMDGPU.csdata,"",@progbits
; Kernel info:
; codeLenInByte = 2956
; NumSgprs: 20
; NumVgprs: 30
; ScratchSize: 0
; MemoryBound: 0
; FloatMode: 240
; IeeeMode: 1
; LDSByteSize: 0 bytes/workgroup (compile time only)
; SGPRBlocks: 2
; VGPRBlocks: 3
; NumSGPRsForWavesPerEU: 20
; NumVGPRsForWavesPerEU: 30
; Occupancy: 16
; WaveLimiterHint : 0
; COMPUTE_PGM_RSRC2:SCRATCH_EN: 0
; COMPUTE_PGM_RSRC2:USER_SGPR: 15
; COMPUTE_PGM_RSRC2:TRAP_HANDLER: 0
; COMPUTE_PGM_RSRC2:TGID_X_EN: 1
; COMPUTE_PGM_RSRC2:TGID_Y_EN: 0
; COMPUTE_PGM_RSRC2:TGID_Z_EN: 0
; COMPUTE_PGM_RSRC2:TIDIG_COMP_CNT: 1
	.section	.text._ZN4vllm3moe10topkGatingILi8ELi256ELi4ELi16ELi32EifLNS0_11ScoringFuncE0EEEvPKT5_PKbPfiPT4_PiiiibPKf,"axG",@progbits,_ZN4vllm3moe10topkGatingILi8ELi256ELi4ELi16ELi32EifLNS0_11ScoringFuncE0EEEvPKT5_PKbPfiPT4_PiiiibPKf,comdat
	.protected	_ZN4vllm3moe10topkGatingILi8ELi256ELi4ELi16ELi32EifLNS0_11ScoringFuncE0EEEvPKT5_PKbPfiPT4_PiiiibPKf ; -- Begin function _ZN4vllm3moe10topkGatingILi8ELi256ELi4ELi16ELi32EifLNS0_11ScoringFuncE0EEEvPKT5_PKbPfiPT4_PiiiibPKf
	.globl	_ZN4vllm3moe10topkGatingILi8ELi256ELi4ELi16ELi32EifLNS0_11ScoringFuncE0EEEvPKT5_PKbPfiPT4_PiiiibPKf
	.p2align	8
	.type	_ZN4vllm3moe10topkGatingILi8ELi256ELi4ELi16ELi32EifLNS0_11ScoringFuncE0EEEvPKT5_PKbPfiPT4_PiiiibPKf,@function
_ZN4vllm3moe10topkGatingILi8ELi256ELi4ELi16ELi32EifLNS0_11ScoringFuncE0EEEvPKT5_PKbPfiPT4_PiiiibPKf: ; @_ZN4vllm3moe10topkGatingILi8ELi256ELi4ELi16ELi32EifLNS0_11ScoringFuncE0EEEvPKT5_PKbPfiPT4_PiiiibPKf
; %bb.0:
	s_load_b32 s14, s[0:1], 0x18
	v_and_b32_e32 v1, 0x3ff, v0
	v_bfe_u32 v0, v0, 10, 10
	s_lshl_b32 s2, s15, 2
	s_delay_alu instid0(VALU_DEP_2) | instskip(NEXT) | instid1(VALU_DEP_1)
	v_lshrrev_b32_e32 v2, 5, v1
	v_add3_u32 v16, s2, v0, v2
	s_mov_b32 s2, exec_lo
	s_waitcnt lgkmcnt(0)
	s_delay_alu instid0(VALU_DEP_1)
	v_cmpx_gt_i32_e64 s14, v16
	s_cbranch_execz .LBB17_41
; %bb.1:
	s_clause 0x1
	s_load_b128 s[4:7], s[0:1], 0x0
	s_load_b64 s[12:13], s[0:1], 0x10
	s_mov_b32 s8, -1
	s_mov_b32 s15, -1
	s_waitcnt lgkmcnt(0)
	s_cmp_eq_u64 s[6:7], 0
	s_cbranch_scc1 .LBB17_3
; %bb.2:
	v_ashrrev_i32_e32 v0, 31, v16
	v_add_co_u32 v2, vcc_lo, s6, v16
	s_delay_alu instid0(VALU_DEP_2) | instskip(SKIP_3) | instid1(VALU_DEP_1)
	v_add_co_ci_u32_e32 v3, vcc_lo, s7, v0, vcc_lo
	global_load_u8 v0, v[2:3], off
	s_waitcnt vmcnt(0)
	v_and_b32_e32 v0, 1, v0
	v_cmp_eq_u32_e32 vcc_lo, 1, v0
	s_xor_b32 s2, vcc_lo, -1
	s_delay_alu instid0(SALU_CYCLE_1)
	s_or_not1_b32 s15, s2, exec_lo
.LBB17_3:
	v_mbcnt_lo_u32_b32 v10, -1, 0
	v_lshlrev_b32_e32 v2, 8, v16
	v_and_b32_e32 v17, 31, v1
	s_load_b64 s[2:3], s[0:1], 0x40
	s_delay_alu instid0(VALU_DEP_3) | instskip(NEXT) | instid1(VALU_DEP_3)
	v_xor_b32_e32 v11, 8, v10
	v_ashrrev_i32_e32 v3, 31, v2
	s_delay_alu instid0(VALU_DEP_1) | instskip(SKIP_1) | instid1(VALU_DEP_2)
	v_lshlrev_b64 v[0:1], 2, v[2:3]
	v_lshlrev_b32_e32 v2, 4, v17
	v_add_co_u32 v0, vcc_lo, s4, v0
	s_delay_alu instid0(VALU_DEP_3) | instskip(NEXT) | instid1(VALU_DEP_2)
	v_add_co_ci_u32_e32 v1, vcc_lo, s5, v1, vcc_lo
	v_add_co_u32 v4, vcc_lo, v0, v2
	s_delay_alu instid0(VALU_DEP_2)
	v_add_co_ci_u32_e32 v5, vcc_lo, 0, v1, vcc_lo
	s_waitcnt lgkmcnt(0)
	s_cmp_eq_u64 s[2:3], 0
	s_clause 0x1
	global_load_b128 v[0:3], v[4:5], off
	global_load_b128 v[4:7], v[4:5], off offset:512
	s_waitcnt vmcnt(1)
	v_dual_max_f32 v9, v0, v0 :: v_dual_max_f32 v8, v1, v1
	s_delay_alu instid0(VALU_DEP_1) | instskip(SKIP_1) | instid1(VALU_DEP_2)
	v_max_f32_e32 v8, v9, v8
	v_xor_b32_e32 v9, 16, v10
	v_max3_f32 v8, v8, v2, v3
	s_delay_alu instid0(VALU_DEP_2) | instskip(SKIP_1) | instid1(VALU_DEP_2)
	v_cmp_gt_i32_e32 vcc_lo, 32, v9
	s_waitcnt vmcnt(0)
	v_max3_f32 v8, v8, v4, v5
	v_cndmask_b32_e32 v9, v10, v9, vcc_lo
	v_cmp_gt_i32_e32 vcc_lo, 32, v11
	s_delay_alu instid0(VALU_DEP_3) | instskip(SKIP_1) | instid1(VALU_DEP_1)
	v_max3_f32 v8, v8, v6, v7
	v_cndmask_b32_e32 v11, v10, v11, vcc_lo
	v_lshlrev_b32_e32 v19, 2, v11
	v_xor_b32_e32 v11, 4, v10
	s_delay_alu instid0(VALU_DEP_1) | instskip(SKIP_4) | instid1(VALU_DEP_1)
	v_cmp_gt_i32_e32 vcc_lo, 32, v11
	v_dual_cndmask_b32 v11, v10, v11 :: v_dual_lshlrev_b32 v18, 2, v9
	ds_bpermute_b32 v9, v18, v8
	v_lshlrev_b32_e32 v20, 2, v11
	v_xor_b32_e32 v11, 2, v10
	v_cmp_gt_i32_e32 vcc_lo, 32, v11
	v_cndmask_b32_e32 v11, v10, v11, vcc_lo
	s_waitcnt lgkmcnt(0)
	v_max_f32_e32 v9, v9, v9
	s_delay_alu instid0(VALU_DEP_2) | instskip(SKIP_1) | instid1(VALU_DEP_3)
	v_lshlrev_b32_e32 v21, 2, v11
	v_xor_b32_e32 v11, 1, v10
	v_max_f32_e32 v8, v8, v9
	s_delay_alu instid0(VALU_DEP_2) | instskip(SKIP_3) | instid1(VALU_DEP_1)
	v_cmp_gt_i32_e32 vcc_lo, 32, v11
	ds_bpermute_b32 v9, v19, v8
	v_cndmask_b32_e32 v10, v10, v11, vcc_lo
	s_waitcnt lgkmcnt(0)
	v_dual_max_f32 v9, v9, v9 :: v_dual_lshlrev_b32 v22, 2, v10
	s_delay_alu instid0(VALU_DEP_1) | instskip(SKIP_3) | instid1(VALU_DEP_1)
	v_max_f32_e32 v8, v8, v9
	ds_bpermute_b32 v9, v20, v8
	s_waitcnt lgkmcnt(0)
	v_max_f32_e32 v9, v9, v9
	v_max_f32_e32 v8, v8, v9
	ds_bpermute_b32 v9, v21, v8
	s_waitcnt lgkmcnt(0)
	v_max_f32_e32 v9, v9, v9
	s_delay_alu instid0(VALU_DEP_1) | instskip(SKIP_3) | instid1(VALU_DEP_1)
	v_max_f32_e32 v8, v8, v9
	ds_bpermute_b32 v9, v22, v8
	s_waitcnt lgkmcnt(0)
	v_max_f32_e32 v9, v9, v9
	v_max_f32_e32 v8, v8, v9
	s_delay_alu instid0(VALU_DEP_1) | instskip(NEXT) | instid1(VALU_DEP_1)
	v_sub_f32_e32 v7, v7, v8
	v_dual_mul_f32 v15, 0x3fb8aa3b, v7 :: v_dual_sub_f32 v2, v2, v8
	v_sub_f32_e32 v1, v1, v8
	v_sub_f32_e32 v0, v0, v8
	;; [unrolled: 1-line block ×4, first 2 shown]
	v_mul_f32_e32 v10, 0x3fb8aa3b, v2
	v_dual_sub_f32 v4, v4, v8 :: v_dual_mul_f32 v9, 0x3fb8aa3b, v1
	v_sub_f32_e32 v3, v3, v8
	v_cmp_ngt_f32_e32 vcc_lo, 0xc2ce8ed0, v0
	s_delay_alu instid0(VALU_DEP_4) | instskip(SKIP_4) | instid1(VALU_DEP_4)
	v_fma_f32 v27, 0x3fb8aa3b, v2, -v10
	v_rndne_f32_e32 v28, v10
	v_rndne_f32_e32 v26, v9
	v_mul_f32_e32 v8, 0x3fb8aa3b, v0
	v_fma_f32 v25, 0x3fb8aa3b, v1, -v9
	v_dual_fmac_f32 v27, 0x32a5705f, v2 :: v_dual_sub_f32 v10, v10, v28
	s_delay_alu instid0(VALU_DEP_4) | instskip(NEXT) | instid1(VALU_DEP_4)
	v_sub_f32_e32 v9, v9, v26
	v_fma_f32 v23, 0x3fb8aa3b, v0, -v8
	v_rndne_f32_e32 v24, v8
	s_delay_alu instid0(VALU_DEP_4) | instskip(SKIP_1) | instid1(VALU_DEP_4)
	v_dual_fmac_f32 v25, 0x32a5705f, v1 :: v_dual_add_f32 v10, v10, v27
	v_cvt_i32_f32_e32 v26, v26
	v_fmac_f32_e32 v23, 0x32a5705f, v0
	s_delay_alu instid0(VALU_DEP_3) | instskip(SKIP_3) | instid1(VALU_DEP_3)
	v_dual_sub_f32 v8, v8, v24 :: v_dual_add_f32 v9, v9, v25
	v_cvt_i32_f32_e32 v24, v24
	v_exp_f32_e32 v10, v10
	v_cvt_i32_f32_e32 v28, v28
	v_dual_add_f32 v8, v8, v23 :: v_dual_mul_f32 v13, 0x3fb8aa3b, v5
	v_dual_mul_f32 v14, 0x3fb8aa3b, v6 :: v_dual_mul_f32 v11, 0x3fb8aa3b, v3
	v_exp_f32_e32 v9, v9
	s_delay_alu instid0(VALU_DEP_2) | instskip(NEXT) | instid1(VALU_DEP_2)
	v_exp_f32_e32 v8, v8
	v_rndne_f32_e32 v34, v13
	v_fma_f32 v33, 0x3fb8aa3b, v5, -v13
	v_fma_f32 v29, 0x3fb8aa3b, v3, -v11
	v_rndne_f32_e32 v30, v11
	v_mul_f32_e32 v12, 0x3fb8aa3b, v4
	v_fma_f32 v37, 0x3fb8aa3b, v7, -v15
	v_ldexp_f32 v10, v10, v28
	v_rndne_f32_e32 v38, v15
	v_sub_f32_e32 v11, v11, v30
	v_ldexp_f32 v8, v8, v24
	v_rndne_f32_e32 v32, v12
	v_fmac_f32_e32 v29, 0x32a5705f, v3
	v_sub_f32_e32 v13, v13, v34
	v_ldexp_f32 v9, v9, v26
	v_cndmask_b32_e32 v8, 0, v8, vcc_lo
	v_cmp_ngt_f32_e32 vcc_lo, 0xc2ce8ed0, v1
	v_fma_f32 v31, 0x3fb8aa3b, v4, -v12
	v_dual_sub_f32 v12, v12, v32 :: v_dual_add_f32 v11, v11, v29
	v_cvt_i32_f32_e32 v30, v30
	v_cndmask_b32_e32 v9, 0, v9, vcc_lo
	v_cmp_ngt_f32_e32 vcc_lo, 0xc2ce8ed0, v2
	v_fmac_f32_e32 v37, 0x32a5705f, v7
	v_exp_f32_e32 v11, v11
	v_fma_f32 v35, 0x3fb8aa3b, v6, -v14
	v_rndne_f32_e32 v36, v14
	v_cndmask_b32_e32 v10, 0, v10, vcc_lo
	v_cmp_nlt_f32_e32 vcc_lo, 0x42b17218, v0
	v_sub_f32_e32 v15, v15, v38
	s_delay_alu instid0(VALU_DEP_4)
	v_dual_fmac_f32 v33, 0x32a5705f, v5 :: v_dual_sub_f32 v14, v14, v36
	v_cvt_i32_f32_e32 v32, v32
	v_cndmask_b32_e32 v0, 0x7f800000, v8, vcc_lo
	v_cmp_nlt_f32_e32 vcc_lo, 0x42b17218, v1
	v_ldexp_f32 v11, v11, v30
	v_cvt_i32_f32_e32 v34, v34
	v_cvt_i32_f32_e32 v23, v36
	v_cvt_i32_f32_e32 v25, v38
	v_cndmask_b32_e32 v1, 0x7f800000, v9, vcc_lo
	v_cmp_ngt_f32_e32 vcc_lo, 0xc2ce8ed0, v3
	v_dual_fmac_f32 v35, 0x32a5705f, v6 :: v_dual_cndmask_b32 v8, 0, v11
	s_delay_alu instid0(VALU_DEP_1) | instskip(SKIP_1) | instid1(VALU_DEP_2)
	v_dual_fmac_f32 v31, 0x32a5705f, v4 :: v_dual_add_f32 v14, v14, v35
	v_cmp_nlt_f32_e32 vcc_lo, 0x42b17218, v2
	v_add_f32_e32 v12, v12, v31
	s_delay_alu instid0(VALU_DEP_3) | instskip(SKIP_2) | instid1(VALU_DEP_3)
	v_exp_f32_e32 v14, v14
	v_cndmask_b32_e32 v2, 0x7f800000, v10, vcc_lo
	v_cmp_ngt_f32_e32 vcc_lo, 0xc2ce8ed0, v4
	v_exp_f32_e32 v12, v12
	s_waitcnt_depctr 0xfff
	v_ldexp_f32 v14, v14, v23
	v_add_f32_e32 v9, v0, v1
	v_add_f32_e32 v15, v15, v37
	v_lshlrev_b32_e32 v23, 2, v17
	v_ldexp_f32 v12, v12, v32
	s_delay_alu instid0(VALU_DEP_1) | instskip(SKIP_1) | instid1(VALU_DEP_2)
	v_dual_cndmask_b32 v10, 0, v12 :: v_dual_add_f32 v13, v13, v33
	v_cmp_nlt_f32_e32 vcc_lo, 0x42b17218, v3
	v_exp_f32_e32 v13, v13
	v_cndmask_b32_e32 v3, 0x7f800000, v8, vcc_lo
	v_cmp_ngt_f32_e32 vcc_lo, 0xc2ce8ed0, v5
	v_add_f32_e32 v8, v9, v2
	v_exp_f32_e32 v15, v15
	s_delay_alu instid0(VALU_DEP_1) | instskip(SKIP_3) | instid1(VALU_DEP_2)
	v_add_f32_e32 v8, v8, v3
	s_waitcnt_depctr 0xfff
	v_ldexp_f32 v13, v13, v34
	v_ldexp_f32 v15, v15, v25
	v_cndmask_b32_e32 v9, 0, v13, vcc_lo
	v_cmp_nlt_f32_e32 vcc_lo, 0x42b17218, v4
	v_cndmask_b32_e32 v4, 0x7f800000, v10, vcc_lo
	v_cmp_ngt_f32_e32 vcc_lo, 0xc2ce8ed0, v6
	s_delay_alu instid0(VALU_DEP_2) | instskip(SKIP_4) | instid1(VALU_DEP_2)
	v_add_f32_e32 v8, v8, v4
	v_cndmask_b32_e32 v10, 0, v14, vcc_lo
	v_cmp_nlt_f32_e32 vcc_lo, 0x42b17218, v5
	v_cndmask_b32_e32 v5, 0x7f800000, v9, vcc_lo
	v_cmp_ngt_f32_e32 vcc_lo, 0xc2ce8ed0, v7
	v_dual_add_f32 v8, v8, v5 :: v_dual_cndmask_b32 v9, 0, v15
	v_cmp_nlt_f32_e32 vcc_lo, 0x42b17218, v6
	v_cndmask_b32_e32 v6, 0x7f800000, v10, vcc_lo
	v_cmp_nlt_f32_e32 vcc_lo, 0x42b17218, v7
	s_delay_alu instid0(VALU_DEP_2) | instskip(NEXT) | instid1(VALU_DEP_1)
	v_dual_add_f32 v8, v8, v6 :: v_dual_cndmask_b32 v7, 0x7f800000, v9
	v_add_f32_e32 v8, v8, v7
	ds_bpermute_b32 v9, v18, v8
	s_waitcnt lgkmcnt(0)
	v_add_f32_e32 v8, v8, v9
	ds_bpermute_b32 v9, v19, v8
	s_waitcnt lgkmcnt(0)
	;; [unrolled: 3-line block ×5, first 2 shown]
	v_add_f32_e32 v8, v8, v9
	s_delay_alu instid0(VALU_DEP_1) | instskip(SKIP_1) | instid1(VALU_DEP_2)
	v_div_scale_f32 v9, null, v8, v8, 1.0
	v_div_scale_f32 v12, vcc_lo, 1.0, v8, 1.0
	v_rcp_f32_e32 v10, v9
	s_waitcnt_depctr 0xfff
	v_fma_f32 v11, -v9, v10, 1.0
	s_delay_alu instid0(VALU_DEP_1) | instskip(NEXT) | instid1(VALU_DEP_1)
	v_fmac_f32_e32 v10, v11, v10
	v_mul_f32_e32 v11, v12, v10
	s_delay_alu instid0(VALU_DEP_1) | instskip(NEXT) | instid1(VALU_DEP_1)
	v_fma_f32 v13, -v9, v11, v12
	v_fmac_f32_e32 v11, v13, v10
	s_delay_alu instid0(VALU_DEP_1) | instskip(NEXT) | instid1(VALU_DEP_1)
	v_fma_f32 v9, -v9, v11, v12
	v_div_fmas_f32 v9, v9, v10, v11
	s_delay_alu instid0(VALU_DEP_1) | instskip(NEXT) | instid1(VALU_DEP_1)
	v_div_fixup_f32 v8, v9, v8, 1.0
	v_mul_f32_e32 v0, v8, v0
	v_mul_f32_e32 v2, v8, v2
	;; [unrolled: 1-line block ×5, first 2 shown]
	v_cmp_class_f32_e64 vcc_lo, v0, 0x1f8
	v_mul_f32_e32 v4, v8, v4
	v_mul_f32_e32 v3, v8, v3
	v_dual_mul_f32 v7, v8, v7 :: v_dual_cndmask_b32 v0, 0, v0
	v_cmp_class_f32_e64 vcc_lo, v1, 0x1f8
	v_cndmask_b32_e32 v1, 0, v1, vcc_lo
	v_cmp_class_f32_e64 vcc_lo, v2, 0x1f8
	v_cndmask_b32_e32 v2, 0, v2, vcc_lo
	;; [unrolled: 2-line block ×7, first 2 shown]
	s_cbranch_scc1 .LBB17_35
; %bb.4:
	v_lshlrev_b32_e32 v12, 2, v23
	s_clause 0x1
	global_load_b128 v[8:11], v12, s[2:3]
	global_load_b128 v[12:15], v12, s[2:3] offset:512
	s_waitcnt vmcnt(1)
	v_dual_add_f32 v9, v9, v1 :: v_dual_add_f32 v8, v8, v0
	v_dual_add_f32 v11, v11, v3 :: v_dual_add_f32 v10, v10, v2
	s_waitcnt vmcnt(0)
	v_dual_add_f32 v13, v13, v5 :: v_dual_add_f32 v12, v12, v4
	v_dual_add_f32 v15, v15, v7 :: v_dual_add_f32 v14, v14, v6
	s_cbranch_execnz .LBB17_6
.LBB17_5:
	v_dual_mov_b32 v15, v7 :: v_dual_mov_b32 v14, v6
	v_dual_mov_b32 v13, v5 :: v_dual_mov_b32 v12, v4
	;; [unrolled: 1-line block ×4, first 2 shown]
.LBB17_6:
	s_load_b128 s[4:7], s[0:1], 0x30
	v_cmp_eq_u32_e64 s2, 0, v17
	s_waitcnt lgkmcnt(0)
	s_bitcmp1_b32 s7, 0
	s_mov_b32 s7, 0
	s_cselect_b32 vcc_lo, -1, 0
	s_cmp_gt_i32 s4, 0
	s_cselect_b32 s3, -1, 0
	s_cmp_lt_i32 s4, 1
	s_cbranch_scc1 .LBB17_36
; %bb.7:
	s_load_b128 s[8:11], s[0:1], 0x20
	v_mul_lo_u32 v25, v16, s4
	v_mov_b32_e32 v24, 0
	v_mov_b32_e32 v26, v16
	s_branch .LBB17_10
.LBB17_8:                               ;   in Loop: Header=BB17_10 Depth=1
	s_or_b32 exec_lo, exec_lo, s1
.LBB17_9:                               ;   in Loop: Header=BB17_10 Depth=1
	v_add_nc_u32_e32 v26, s14, v26
	s_cmp_eq_u32 s4, s7
	s_cbranch_scc1 .LBB17_37
.LBB17_10:                              ; =>This Inner Loop Header: Depth=1
	v_cmp_gt_f32_e64 s0, v9, v8
	s_mov_b32 s17, exec_lo
	s_delay_alu instid0(VALU_DEP_1) | instskip(SKIP_2) | instid1(VALU_DEP_3)
	v_cndmask_b32_e64 v27, v8, v9, s0
	v_cndmask_b32_e64 v28, 0, 1, s0
	;; [unrolled: 1-line block ×3, first 2 shown]
	v_cmp_gt_f32_e64 s1, v10, v27
	s_delay_alu instid0(VALU_DEP_1) | instskip(NEXT) | instid1(VALU_DEP_4)
	v_cndmask_b32_e64 v27, v27, v10, s1
	v_cndmask_b32_e64 v28, v28, 2, s1
	s_delay_alu instid0(VALU_DEP_4) | instskip(NEXT) | instid1(VALU_DEP_3)
	v_cndmask_b32_e64 v29, v29, v2, s1
	v_cmp_gt_f32_e64 s0, v11, v27
	s_delay_alu instid0(VALU_DEP_1) | instskip(NEXT) | instid1(VALU_DEP_4)
	v_cndmask_b32_e64 v27, v27, v11, s0
	v_cndmask_b32_e64 v28, v28, 3, s0
	s_delay_alu instid0(VALU_DEP_4) | instskip(NEXT) | instid1(VALU_DEP_3)
	v_cndmask_b32_e64 v29, v29, v3, s0
	;; [unrolled: 6-line block ×4, first 2 shown]
	v_cmp_gt_f32_e64 s1, v14, v27
	s_delay_alu instid0(VALU_DEP_1) | instskip(NEXT) | instid1(VALU_DEP_4)
	v_cndmask_b32_e64 v27, v27, v14, s1
	v_cndmask_b32_e64 v28, v28, 0x82, s1
	s_waitcnt lgkmcnt(0)
	v_cndmask_b32_e64 v30, v29, v6, s1
	s_delay_alu instid0(VALU_DEP_3) | instskip(NEXT) | instid1(VALU_DEP_1)
	v_cmp_gt_f32_e64 s0, v15, v27
	v_cndmask_b32_e64 v29, v27, v15, s0
	v_cndmask_b32_e64 v27, v28, 0x83, s0
	s_delay_alu instid0(VALU_DEP_4)
	v_cndmask_b32_e64 v28, v30, v7, s0
	ds_bpermute_b32 v30, v18, v29
	v_or_b32_e32 v27, v23, v27
	ds_bpermute_b32 v32, v18, v28
	ds_bpermute_b32 v31, v18, v27
	s_waitcnt lgkmcnt(0)
	v_cmp_lt_f32_e64 s16, v29, v30
	v_cmpx_nlt_f32_e32 v29, v30
; %bb.11:                               ;   in Loop: Header=BB17_10 Depth=1
	v_cmp_eq_f32_e64 s0, v29, v30
	v_cmp_lt_i32_e64 s1, v31, v27
	s_delay_alu instid0(VALU_DEP_1) | instskip(SKIP_2) | instid1(SALU_CYCLE_1)
	s_and_b32 s0, s0, s1
	s_and_not1_b32 s1, s16, exec_lo
	s_and_b32 s0, s0, exec_lo
	s_or_b32 s16, s1, s0
; %bb.12:                               ;   in Loop: Header=BB17_10 Depth=1
	s_or_b32 exec_lo, exec_lo, s17
	s_and_saveexec_b32 s0, s16
; %bb.13:                               ;   in Loop: Header=BB17_10 Depth=1
	v_dual_mov_b32 v28, v32 :: v_dual_mov_b32 v29, v30
	v_mov_b32_e32 v27, v31
; %bb.14:                               ;   in Loop: Header=BB17_10 Depth=1
	s_or_b32 exec_lo, exec_lo, s0
	ds_bpermute_b32 v31, v19, v29
	ds_bpermute_b32 v32, v19, v28
	;; [unrolled: 1-line block ×3, first 2 shown]
	s_mov_b32 s17, exec_lo
	s_waitcnt lgkmcnt(2)
	v_cmp_lt_f32_e64 s16, v29, v31
	v_cmpx_nlt_f32_e32 v29, v31
	s_cbranch_execz .LBB17_16
; %bb.15:                               ;   in Loop: Header=BB17_10 Depth=1
	v_cmp_eq_f32_e64 s0, v29, v31
	s_waitcnt lgkmcnt(0)
	v_cmp_lt_i32_e64 s1, v30, v27
	s_delay_alu instid0(VALU_DEP_1) | instskip(SKIP_2) | instid1(SALU_CYCLE_1)
	s_and_b32 s0, s0, s1
	s_and_not1_b32 s1, s16, exec_lo
	s_and_b32 s0, s0, exec_lo
	s_or_b32 s16, s1, s0
.LBB17_16:                              ;   in Loop: Header=BB17_10 Depth=1
	s_or_b32 exec_lo, exec_lo, s17
	s_delay_alu instid0(VALU_DEP_2)
	s_and_saveexec_b32 s0, s16
	s_cbranch_execz .LBB17_18
; %bb.17:                               ;   in Loop: Header=BB17_10 Depth=1
	s_waitcnt lgkmcnt(1)
	v_dual_mov_b32 v28, v32 :: v_dual_mov_b32 v29, v31
	s_waitcnt lgkmcnt(0)
	v_mov_b32_e32 v27, v30
.LBB17_18:                              ;   in Loop: Header=BB17_10 Depth=1
	s_or_b32 exec_lo, exec_lo, s0
	ds_bpermute_b32 v31, v20, v29
	s_waitcnt lgkmcnt(2)
	ds_bpermute_b32 v32, v20, v28
	s_waitcnt lgkmcnt(2)
	ds_bpermute_b32 v30, v20, v27
	s_mov_b32 s17, exec_lo
	s_waitcnt lgkmcnt(2)
	v_cmp_lt_f32_e64 s16, v29, v31
	v_cmpx_nlt_f32_e32 v29, v31
	s_cbranch_execz .LBB17_20
; %bb.19:                               ;   in Loop: Header=BB17_10 Depth=1
	v_cmp_eq_f32_e64 s0, v29, v31
	s_waitcnt lgkmcnt(0)
	v_cmp_lt_i32_e64 s1, v30, v27
	s_delay_alu instid0(VALU_DEP_1) | instskip(SKIP_2) | instid1(SALU_CYCLE_1)
	s_and_b32 s0, s0, s1
	s_and_not1_b32 s1, s16, exec_lo
	s_and_b32 s0, s0, exec_lo
	s_or_b32 s16, s1, s0
.LBB17_20:                              ;   in Loop: Header=BB17_10 Depth=1
	s_or_b32 exec_lo, exec_lo, s17
	s_delay_alu instid0(VALU_DEP_2)
	s_and_saveexec_b32 s0, s16
	s_cbranch_execz .LBB17_22
; %bb.21:                               ;   in Loop: Header=BB17_10 Depth=1
	s_waitcnt lgkmcnt(1)
	v_dual_mov_b32 v28, v32 :: v_dual_mov_b32 v29, v31
	s_waitcnt lgkmcnt(0)
	v_mov_b32_e32 v27, v30
.LBB17_22:                              ;   in Loop: Header=BB17_10 Depth=1
	s_or_b32 exec_lo, exec_lo, s0
	ds_bpermute_b32 v31, v21, v29
	s_waitcnt lgkmcnt(2)
	ds_bpermute_b32 v32, v21, v28
	s_waitcnt lgkmcnt(2)
	ds_bpermute_b32 v30, v21, v27
	s_mov_b32 s17, exec_lo
	s_waitcnt lgkmcnt(2)
	v_cmp_lt_f32_e64 s16, v29, v31
	v_cmpx_nlt_f32_e32 v29, v31
	s_cbranch_execz .LBB17_24
; %bb.23:                               ;   in Loop: Header=BB17_10 Depth=1
	v_cmp_eq_f32_e64 s0, v29, v31
	s_waitcnt lgkmcnt(0)
	v_cmp_lt_i32_e64 s1, v30, v27
	s_delay_alu instid0(VALU_DEP_1) | instskip(SKIP_2) | instid1(SALU_CYCLE_1)
	s_and_b32 s0, s0, s1
	s_and_not1_b32 s1, s16, exec_lo
	s_and_b32 s0, s0, exec_lo
	s_or_b32 s16, s1, s0
.LBB17_24:                              ;   in Loop: Header=BB17_10 Depth=1
	s_or_b32 exec_lo, exec_lo, s17
	s_delay_alu instid0(VALU_DEP_2)
	s_and_saveexec_b32 s0, s16
	s_cbranch_execz .LBB17_26
; %bb.25:                               ;   in Loop: Header=BB17_10 Depth=1
	s_waitcnt lgkmcnt(1)
	v_dual_mov_b32 v28, v32 :: v_dual_mov_b32 v29, v31
	s_waitcnt lgkmcnt(0)
	v_mov_b32_e32 v27, v30
.LBB17_26:                              ;   in Loop: Header=BB17_10 Depth=1
	s_or_b32 exec_lo, exec_lo, s0
	s_waitcnt lgkmcnt(1)
	ds_bpermute_b32 v32, v22, v29
	ds_bpermute_b32 v31, v22, v28
	s_waitcnt lgkmcnt(2)
	ds_bpermute_b32 v30, v22, v27
	s_mov_b32 s17, exec_lo
	s_waitcnt lgkmcnt(2)
	v_cmp_lt_f32_e64 s16, v29, v32
	v_cmpx_nlt_f32_e32 v29, v32
	s_cbranch_execnz .LBB17_30
; %bb.27:                               ;   in Loop: Header=BB17_10 Depth=1
	s_or_b32 exec_lo, exec_lo, s17
	s_delay_alu instid0(VALU_DEP_2)
	s_and_saveexec_b32 s0, s16
	s_cbranch_execnz .LBB17_31
.LBB17_28:                              ;   in Loop: Header=BB17_10 Depth=1
	s_or_b32 exec_lo, exec_lo, s0
	s_and_saveexec_b32 s16, s2
	s_cbranch_execnz .LBB17_32
.LBB17_29:                              ;   in Loop: Header=BB17_10 Depth=1
	s_or_b32 exec_lo, exec_lo, s16
	s_add_i32 s7, s7, 1
	s_delay_alu instid0(SALU_CYCLE_1)
	s_cmp_ge_i32 s7, s4
	s_cbranch_scc1 .LBB17_9
	s_branch .LBB17_33
.LBB17_30:                              ;   in Loop: Header=BB17_10 Depth=1
	v_cmp_eq_f32_e64 s0, v29, v32
	s_waitcnt lgkmcnt(0)
	v_cmp_lt_i32_e64 s1, v30, v27
	s_delay_alu instid0(VALU_DEP_1) | instskip(SKIP_2) | instid1(SALU_CYCLE_1)
	s_and_b32 s0, s0, s1
	s_and_not1_b32 s1, s16, exec_lo
	s_and_b32 s0, s0, exec_lo
	s_or_b32 s16, s1, s0
	s_or_b32 exec_lo, exec_lo, s17
	s_and_saveexec_b32 s0, s16
	s_cbranch_execz .LBB17_28
.LBB17_31:                              ;   in Loop: Header=BB17_10 Depth=1
	s_waitcnt lgkmcnt(0)
	v_dual_mov_b32 v28, v31 :: v_dual_mov_b32 v27, v30
	s_or_b32 exec_lo, exec_lo, s0
	s_and_saveexec_b32 s16, s2
	s_cbranch_execz .LBB17_29
.LBB17_32:                              ;   in Loop: Header=BB17_10 Depth=1
	s_delay_alu instid0(VALU_DEP_1)
	v_dual_add_f32 v36, v24, v28 :: v_dual_add_nc_u32 v29, s7, v25
	v_cmp_le_i32_e64 s0, s5, v27
	v_cmp_gt_i32_e64 s1, s6, v27
	s_waitcnt lgkmcnt(1)
	v_subrev_nc_u32_e32 v31, s5, v27
	s_waitcnt lgkmcnt(0)
	v_ashrrev_i32_e32 v30, 31, v29
	v_cndmask_b32_e32 v24, v24, v36, vcc_lo
	s_and_b32 s0, s0, s1
	s_delay_alu instid0(SALU_CYCLE_1) | instskip(NEXT) | instid1(VALU_DEP_2)
	s_and_b32 s0, s15, s0
	v_lshlrev_b64 v[29:30], 2, v[29:30]
	v_cndmask_b32_e64 v35, 0x100, v31, s0
	s_delay_alu instid0(VALU_DEP_2) | instskip(NEXT) | instid1(VALU_DEP_1)
	v_add_co_u32 v31, s0, s12, v29
	v_add_co_ci_u32_e64 v32, s0, s13, v30, s0
	v_add_co_u32 v33, s0, s8, v29
	s_delay_alu instid0(VALU_DEP_1) | instskip(SKIP_1) | instid1(VALU_DEP_1)
	v_add_co_ci_u32_e64 v34, s0, s9, v30, s0
	v_add_co_u32 v29, s0, s10, v29
	v_add_co_ci_u32_e64 v30, s0, s11, v30, s0
	global_store_b32 v[31:32], v28, off
	global_store_b32 v[33:34], v35, off
	;; [unrolled: 1-line block ×3, first 2 shown]
	s_or_b32 exec_lo, exec_lo, s16
	s_add_i32 s7, s7, 1
	s_delay_alu instid0(SALU_CYCLE_1)
	s_cmp_ge_i32 s7, s4
	s_cbranch_scc1 .LBB17_9
.LBB17_33:                              ;   in Loop: Header=BB17_10 Depth=1
	v_ashrrev_i32_e32 v28, 31, v27
	s_mov_b32 s1, exec_lo
	s_delay_alu instid0(VALU_DEP_1) | instskip(NEXT) | instid1(VALU_DEP_1)
	v_lshrrev_b32_e32 v29, 30, v28
	v_add_nc_u32_e32 v29, v27, v29
	s_waitcnt lgkmcnt(0)
	s_delay_alu instid0(VALU_DEP_1) | instskip(SKIP_1) | instid1(VALU_DEP_2)
	v_ashrrev_i32_e32 v30, 31, v29
	v_ashrrev_i32_e32 v29, 2, v29
	v_lshrrev_b32_e32 v30, 27, v30
	s_delay_alu instid0(VALU_DEP_1) | instskip(NEXT) | instid1(VALU_DEP_1)
	v_add_nc_u32_e32 v30, v29, v30
	v_and_b32_e32 v30, 0xffffffe0, v30
	s_delay_alu instid0(VALU_DEP_1) | instskip(NEXT) | instid1(VALU_DEP_1)
	v_sub_nc_u32_e32 v30, v29, v30
	v_cmpx_eq_u32_e64 v17, v30
	s_cbranch_execz .LBB17_8
; %bb.34:                               ;   in Loop: Header=BB17_10 Depth=1
	v_lshrrev_b32_e32 v28, 25, v28
	v_lshlrev_b32_e32 v29, 2, v29
	s_delay_alu instid0(VALU_DEP_2) | instskip(NEXT) | instid1(VALU_DEP_2)
	v_add_nc_u32_e32 v28, v27, v28
	v_sub_nc_u32_e32 v27, v27, v29
	s_delay_alu instid0(VALU_DEP_2) | instskip(NEXT) | instid1(VALU_DEP_1)
	v_ashrrev_i32_e32 v28, 7, v28
	v_lshl_add_u32 v27, v28, 2, v27
	s_delay_alu instid0(VALU_DEP_1) | instskip(NEXT) | instid1(VALU_DEP_1)
	v_cmp_ne_u32_e64 s0, 7, v27
	v_cndmask_b32_e64 v15, 0xc61c4000, v15, s0
	v_cmp_ne_u32_e64 s0, 6, v27
	s_delay_alu instid0(VALU_DEP_1) | instskip(SKIP_1) | instid1(VALU_DEP_1)
	v_cndmask_b32_e64 v14, 0xc61c4000, v14, s0
	v_cmp_ne_u32_e64 s0, 5, v27
	v_cndmask_b32_e64 v13, 0xc61c4000, v13, s0
	v_cmp_ne_u32_e64 s0, 4, v27
	s_delay_alu instid0(VALU_DEP_1) | instskip(SKIP_1) | instid1(VALU_DEP_1)
	v_cndmask_b32_e64 v12, 0xc61c4000, v12, s0
	;; [unrolled: 5-line block ×3, first 2 shown]
	v_cmp_ne_u32_e64 s0, 1, v27
	v_cndmask_b32_e64 v9, 0xc61c4000, v9, s0
	v_cmp_ne_u32_e64 s0, 0, v27
	s_delay_alu instid0(VALU_DEP_1)
	v_cndmask_b32_e64 v8, 0xc61c4000, v8, s0
	s_branch .LBB17_8
.LBB17_35:
                                        ; implicit-def: $vgpr8_vgpr9_vgpr10_vgpr11_vgpr12_vgpr13_vgpr14_vgpr15
	s_and_not1_b32 vcc_lo, exec_lo, s8
	s_cbranch_vccz .LBB17_5
	s_branch .LBB17_6
.LBB17_36:
	v_mov_b32_e32 v24, 0
.LBB17_37:
	v_cmp_eq_u32_e64 s0, 0, v17
	s_delay_alu instid0(VALU_DEP_1) | instskip(NEXT) | instid1(SALU_CYCLE_1)
	s_and_b32 s0, s0, vcc_lo
	s_and_b32 exec_lo, exec_lo, s0
	s_cbranch_execz .LBB17_41
; %bb.38:
	s_and_not1_b32 vcc_lo, exec_lo, s3
	s_cbranch_vccnz .LBB17_41
; %bb.39:
	v_mul_lo_u32 v0, v16, s4
	v_cmp_lt_f32_e32 vcc_lo, 0, v24
	v_cndmask_b32_e32 v2, 1.0, v24, vcc_lo
	s_delay_alu instid0(VALU_DEP_3) | instskip(NEXT) | instid1(VALU_DEP_1)
	v_ashrrev_i32_e32 v1, 31, v0
	v_lshlrev_b64 v[0:1], 2, v[0:1]
	s_delay_alu instid0(VALU_DEP_1) | instskip(NEXT) | instid1(VALU_DEP_2)
	v_add_co_u32 v0, vcc_lo, s12, v0
	v_add_co_ci_u32_e32 v1, vcc_lo, s13, v1, vcc_lo
	.p2align	6
.LBB17_40:                              ; =>This Inner Loop Header: Depth=1
	global_load_b32 v3, v[0:1], off
	s_add_i32 s4, s4, -1
	s_delay_alu instid0(SALU_CYCLE_1) | instskip(SKIP_3) | instid1(VALU_DEP_2)
	s_cmp_lg_u32 s4, 0
	s_waitcnt vmcnt(0)
	v_div_scale_f32 v4, null, v2, v2, v3
	v_div_scale_f32 v7, vcc_lo, v3, v2, v3
	v_rcp_f32_e32 v5, v4
	s_waitcnt_depctr 0xfff
	v_fma_f32 v6, -v4, v5, 1.0
	s_delay_alu instid0(VALU_DEP_1) | instskip(NEXT) | instid1(VALU_DEP_1)
	v_fmac_f32_e32 v5, v6, v5
	v_mul_f32_e32 v6, v7, v5
	s_delay_alu instid0(VALU_DEP_1) | instskip(NEXT) | instid1(VALU_DEP_1)
	v_fma_f32 v8, -v4, v6, v7
	v_fmac_f32_e32 v6, v8, v5
	s_delay_alu instid0(VALU_DEP_1) | instskip(NEXT) | instid1(VALU_DEP_1)
	v_fma_f32 v4, -v4, v6, v7
	v_div_fmas_f32 v4, v4, v5, v6
	s_delay_alu instid0(VALU_DEP_1)
	v_div_fixup_f32 v3, v4, v2, v3
	global_store_b32 v[0:1], v3, off
	v_add_co_u32 v0, vcc_lo, v0, 4
	v_add_co_ci_u32_e32 v1, vcc_lo, 0, v1, vcc_lo
	s_cbranch_scc1 .LBB17_40
.LBB17_41:
	s_nop 0
	s_sendmsg sendmsg(MSG_DEALLOC_VGPRS)
	s_endpgm
	.section	.rodata,"a",@progbits
	.p2align	6, 0x0
	.amdhsa_kernel _ZN4vllm3moe10topkGatingILi8ELi256ELi4ELi16ELi32EifLNS0_11ScoringFuncE0EEEvPKT5_PKbPfiPT4_PiiiibPKf
		.amdhsa_group_segment_fixed_size 0
		.amdhsa_private_segment_fixed_size 0
		.amdhsa_kernarg_size 72
		.amdhsa_user_sgpr_count 15
		.amdhsa_user_sgpr_dispatch_ptr 0
		.amdhsa_user_sgpr_queue_ptr 0
		.amdhsa_user_sgpr_kernarg_segment_ptr 1
		.amdhsa_user_sgpr_dispatch_id 0
		.amdhsa_user_sgpr_private_segment_size 0
		.amdhsa_wavefront_size32 1
		.amdhsa_uses_dynamic_stack 0
		.amdhsa_enable_private_segment 0
		.amdhsa_system_sgpr_workgroup_id_x 1
		.amdhsa_system_sgpr_workgroup_id_y 0
		.amdhsa_system_sgpr_workgroup_id_z 0
		.amdhsa_system_sgpr_workgroup_info 0
		.amdhsa_system_vgpr_workitem_id 1
		.amdhsa_next_free_vgpr 39
		.amdhsa_next_free_sgpr 18
		.amdhsa_reserve_vcc 1
		.amdhsa_float_round_mode_32 0
		.amdhsa_float_round_mode_16_64 0
		.amdhsa_float_denorm_mode_32 3
		.amdhsa_float_denorm_mode_16_64 3
		.amdhsa_dx10_clamp 1
		.amdhsa_ieee_mode 1
		.amdhsa_fp16_overflow 0
		.amdhsa_workgroup_processor_mode 1
		.amdhsa_memory_ordered 1
		.amdhsa_forward_progress 0
		.amdhsa_shared_vgpr_count 0
		.amdhsa_exception_fp_ieee_invalid_op 0
		.amdhsa_exception_fp_denorm_src 0
		.amdhsa_exception_fp_ieee_div_zero 0
		.amdhsa_exception_fp_ieee_overflow 0
		.amdhsa_exception_fp_ieee_underflow 0
		.amdhsa_exception_fp_ieee_inexact 0
		.amdhsa_exception_int_div_zero 0
	.end_amdhsa_kernel
	.section	.text._ZN4vllm3moe10topkGatingILi8ELi256ELi4ELi16ELi32EifLNS0_11ScoringFuncE0EEEvPKT5_PKbPfiPT4_PiiiibPKf,"axG",@progbits,_ZN4vllm3moe10topkGatingILi8ELi256ELi4ELi16ELi32EifLNS0_11ScoringFuncE0EEEvPKT5_PKbPfiPT4_PiiiibPKf,comdat
.Lfunc_end17:
	.size	_ZN4vllm3moe10topkGatingILi8ELi256ELi4ELi16ELi32EifLNS0_11ScoringFuncE0EEEvPKT5_PKbPfiPT4_PiiiibPKf, .Lfunc_end17-_ZN4vllm3moe10topkGatingILi8ELi256ELi4ELi16ELi32EifLNS0_11ScoringFuncE0EEEvPKT5_PKbPfiPT4_PiiiibPKf
                                        ; -- End function
	.section	.AMDGPU.csdata,"",@progbits
; Kernel info:
; codeLenInByte = 3556
; NumSgprs: 20
; NumVgprs: 39
; ScratchSize: 0
; MemoryBound: 0
; FloatMode: 240
; IeeeMode: 1
; LDSByteSize: 0 bytes/workgroup (compile time only)
; SGPRBlocks: 2
; VGPRBlocks: 4
; NumSGPRsForWavesPerEU: 20
; NumVGPRsForWavesPerEU: 39
; Occupancy: 16
; WaveLimiterHint : 1
; COMPUTE_PGM_RSRC2:SCRATCH_EN: 0
; COMPUTE_PGM_RSRC2:USER_SGPR: 15
; COMPUTE_PGM_RSRC2:TRAP_HANDLER: 0
; COMPUTE_PGM_RSRC2:TGID_X_EN: 1
; COMPUTE_PGM_RSRC2:TGID_Y_EN: 0
; COMPUTE_PGM_RSRC2:TGID_Z_EN: 0
; COMPUTE_PGM_RSRC2:TIDIG_COMP_CNT: 1
	.section	.text._ZN4vllm3moe10topkGatingILi8ELi512ELi4ELi16ELi64EifLNS0_11ScoringFuncE0EEEvPKT5_PKbPfiPT4_PiiiibPKf,"axG",@progbits,_ZN4vllm3moe10topkGatingILi8ELi512ELi4ELi16ELi64EifLNS0_11ScoringFuncE0EEEvPKT5_PKbPfiPT4_PiiiibPKf,comdat
	.protected	_ZN4vllm3moe10topkGatingILi8ELi512ELi4ELi16ELi64EifLNS0_11ScoringFuncE0EEEvPKT5_PKbPfiPT4_PiiiibPKf ; -- Begin function _ZN4vllm3moe10topkGatingILi8ELi512ELi4ELi16ELi64EifLNS0_11ScoringFuncE0EEEvPKT5_PKbPfiPT4_PiiiibPKf
	.globl	_ZN4vllm3moe10topkGatingILi8ELi512ELi4ELi16ELi64EifLNS0_11ScoringFuncE0EEEvPKT5_PKbPfiPT4_PiiiibPKf
	.p2align	8
	.type	_ZN4vllm3moe10topkGatingILi8ELi512ELi4ELi16ELi64EifLNS0_11ScoringFuncE0EEEvPKT5_PKbPfiPT4_PiiiibPKf,@function
_ZN4vllm3moe10topkGatingILi8ELi512ELi4ELi16ELi64EifLNS0_11ScoringFuncE0EEEvPKT5_PKbPfiPT4_PiiiibPKf: ; @_ZN4vllm3moe10topkGatingILi8ELi512ELi4ELi16ELi64EifLNS0_11ScoringFuncE0EEEvPKT5_PKbPfiPT4_PiiiibPKf
; %bb.0:
	s_load_b32 s14, s[0:1], 0x18
	v_and_b32_e32 v1, 0x3ff, v0
	v_bfe_u32 v0, v0, 10, 10
	s_lshl_b32 s2, s15, 2
	s_delay_alu instid0(VALU_DEP_2) | instskip(NEXT) | instid1(VALU_DEP_1)
	v_lshrrev_b32_e32 v2, 6, v1
	v_add3_u32 v16, s2, v0, v2
	s_mov_b32 s2, exec_lo
	s_waitcnt lgkmcnt(0)
	s_delay_alu instid0(VALU_DEP_1)
	v_cmpx_gt_i32_e64 s14, v16
	s_cbranch_execz .LBB18_45
; %bb.1:
	s_clause 0x1
	s_load_b128 s[4:7], s[0:1], 0x0
	s_load_b64 s[12:13], s[0:1], 0x10
	s_mov_b32 s8, -1
	s_mov_b32 s15, -1
	s_waitcnt lgkmcnt(0)
	s_cmp_eq_u64 s[6:7], 0
	s_cbranch_scc1 .LBB18_3
; %bb.2:
	v_ashrrev_i32_e32 v0, 31, v16
	v_add_co_u32 v2, vcc_lo, s6, v16
	s_delay_alu instid0(VALU_DEP_2) | instskip(SKIP_3) | instid1(VALU_DEP_1)
	v_add_co_ci_u32_e32 v3, vcc_lo, s7, v0, vcc_lo
	global_load_u8 v0, v[2:3], off
	s_waitcnt vmcnt(0)
	v_and_b32_e32 v0, 1, v0
	v_cmp_eq_u32_e32 vcc_lo, 1, v0
	s_xor_b32 s2, vcc_lo, -1
	s_delay_alu instid0(SALU_CYCLE_1)
	s_or_not1_b32 s15, s2, exec_lo
.LBB18_3:
	v_mbcnt_lo_u32_b32 v10, -1, 0
	v_lshlrev_b32_e32 v2, 9, v16
	v_and_b32_e32 v17, 63, v1
	s_load_b64 s[2:3], s[0:1], 0x40
	s_delay_alu instid0(VALU_DEP_3) | instskip(NEXT) | instid1(VALU_DEP_3)
	v_xor_b32_e32 v11, 16, v10
	v_ashrrev_i32_e32 v3, 31, v2
	s_delay_alu instid0(VALU_DEP_1) | instskip(SKIP_1) | instid1(VALU_DEP_2)
	v_lshlrev_b64 v[0:1], 2, v[2:3]
	v_lshlrev_b32_e32 v2, 4, v17
	v_add_co_u32 v0, vcc_lo, s4, v0
	s_delay_alu instid0(VALU_DEP_3) | instskip(NEXT) | instid1(VALU_DEP_2)
	v_add_co_ci_u32_e32 v1, vcc_lo, s5, v1, vcc_lo
	v_add_co_u32 v4, vcc_lo, v0, v2
	s_delay_alu instid0(VALU_DEP_2)
	v_add_co_ci_u32_e32 v5, vcc_lo, 0, v1, vcc_lo
	s_waitcnt lgkmcnt(0)
	s_cmp_eq_u64 s[2:3], 0
	s_clause 0x1
	global_load_b128 v[0:3], v[4:5], off
	global_load_b128 v[4:7], v[4:5], off offset:1024
	s_waitcnt vmcnt(1)
	v_dual_max_f32 v9, v0, v0 :: v_dual_max_f32 v8, v1, v1
	s_delay_alu instid0(VALU_DEP_1) | instskip(SKIP_1) | instid1(VALU_DEP_2)
	v_max_f32_e32 v8, v9, v8
	v_or_b32_e32 v9, 32, v10
	v_max3_f32 v8, v8, v2, v3
	s_delay_alu instid0(VALU_DEP_2) | instskip(SKIP_1) | instid1(VALU_DEP_2)
	v_cmp_gt_i32_e32 vcc_lo, 64, v9
	s_waitcnt vmcnt(0)
	v_max3_f32 v8, v8, v4, v5
	v_cndmask_b32_e32 v9, v10, v9, vcc_lo
	v_cmp_gt_i32_e32 vcc_lo, 64, v11
	s_delay_alu instid0(VALU_DEP_3) | instskip(SKIP_1) | instid1(VALU_DEP_1)
	v_max3_f32 v8, v8, v6, v7
	v_cndmask_b32_e32 v11, v10, v11, vcc_lo
	v_lshlrev_b32_e32 v19, 2, v11
	v_xor_b32_e32 v11, 8, v10
	s_delay_alu instid0(VALU_DEP_1) | instskip(SKIP_4) | instid1(VALU_DEP_1)
	v_cmp_gt_i32_e32 vcc_lo, 64, v11
	v_dual_cndmask_b32 v11, v10, v11 :: v_dual_lshlrev_b32 v18, 2, v9
	ds_bpermute_b32 v9, v18, v8
	v_lshlrev_b32_e32 v20, 2, v11
	v_xor_b32_e32 v11, 4, v10
	v_cmp_gt_i32_e32 vcc_lo, 64, v11
	v_cndmask_b32_e32 v11, v10, v11, vcc_lo
	s_waitcnt lgkmcnt(0)
	v_max_f32_e32 v9, v9, v9
	s_delay_alu instid0(VALU_DEP_2) | instskip(SKIP_1) | instid1(VALU_DEP_3)
	v_lshlrev_b32_e32 v21, 2, v11
	v_xor_b32_e32 v11, 2, v10
	v_max_f32_e32 v8, v8, v9
	s_delay_alu instid0(VALU_DEP_2) | instskip(SKIP_2) | instid1(VALU_DEP_1)
	v_cmp_gt_i32_e32 vcc_lo, 64, v11
	ds_bpermute_b32 v9, v19, v8
	v_cndmask_b32_e32 v11, v10, v11, vcc_lo
	v_lshlrev_b32_e32 v22, 2, v11
	v_xor_b32_e32 v11, 1, v10
	s_delay_alu instid0(VALU_DEP_1) | instskip(SKIP_2) | instid1(VALU_DEP_1)
	v_cmp_gt_i32_e32 vcc_lo, 64, v11
	s_waitcnt lgkmcnt(0)
	v_dual_cndmask_b32 v10, v10, v11 :: v_dual_max_f32 v9, v9, v9
	v_dual_max_f32 v8, v8, v9 :: v_dual_lshlrev_b32 v23, 2, v10
	ds_bpermute_b32 v9, v20, v8
	s_waitcnt lgkmcnt(0)
	v_max_f32_e32 v9, v9, v9
	s_delay_alu instid0(VALU_DEP_1) | instskip(SKIP_3) | instid1(VALU_DEP_1)
	v_max_f32_e32 v8, v8, v9
	ds_bpermute_b32 v9, v21, v8
	s_waitcnt lgkmcnt(0)
	v_max_f32_e32 v9, v9, v9
	v_max_f32_e32 v8, v8, v9
	ds_bpermute_b32 v9, v22, v8
	s_waitcnt lgkmcnt(0)
	v_max_f32_e32 v9, v9, v9
	s_delay_alu instid0(VALU_DEP_1) | instskip(SKIP_3) | instid1(VALU_DEP_1)
	v_max_f32_e32 v8, v8, v9
	ds_bpermute_b32 v9, v23, v8
	s_waitcnt lgkmcnt(0)
	v_max_f32_e32 v9, v9, v9
	v_max_f32_e32 v8, v8, v9
	s_delay_alu instid0(VALU_DEP_1) | instskip(NEXT) | instid1(VALU_DEP_1)
	v_sub_f32_e32 v3, v3, v8
	v_dual_mul_f32 v11, 0x3fb8aa3b, v3 :: v_dual_sub_f32 v2, v2, v8
	v_sub_f32_e32 v1, v1, v8
	v_sub_f32_e32 v0, v0, v8
	;; [unrolled: 1-line block ×3, first 2 shown]
	s_delay_alu instid0(VALU_DEP_4) | instskip(NEXT) | instid1(VALU_DEP_4)
	v_dual_sub_f32 v5, v5, v8 :: v_dual_mul_f32 v10, 0x3fb8aa3b, v2
	v_dual_sub_f32 v6, v6, v8 :: v_dual_mul_f32 v9, 0x3fb8aa3b, v1
	v_rndne_f32_e32 v31, v11
	v_cmp_ngt_f32_e32 vcc_lo, 0xc2ce8ed0, v0
	s_delay_alu instid0(VALU_DEP_4) | instskip(NEXT) | instid1(VALU_DEP_4)
	v_fma_f32 v28, 0x3fb8aa3b, v2, -v10
	v_mul_f32_e32 v14, 0x3fb8aa3b, v6
	v_fma_f32 v26, 0x3fb8aa3b, v1, -v9
	v_sub_f32_e32 v7, v7, v8
	v_mul_f32_e32 v8, 0x3fb8aa3b, v0
	v_rndne_f32_e32 v27, v9
	v_rndne_f32_e32 v29, v10
	v_fma_f32 v30, 0x3fb8aa3b, v3, -v11
	v_fmac_f32_e32 v26, 0x32a5705f, v1
	v_fma_f32 v24, 0x3fb8aa3b, v0, -v8
	v_rndne_f32_e32 v25, v8
	v_dual_sub_f32 v9, v9, v27 :: v_dual_fmac_f32 v28, 0x32a5705f, v2
	s_delay_alu instid0(VALU_DEP_3) | instskip(NEXT) | instid1(VALU_DEP_3)
	v_dual_sub_f32 v11, v11, v31 :: v_dual_fmac_f32 v24, 0x32a5705f, v0
	v_sub_f32_e32 v8, v8, v25
	v_mul_f32_e32 v13, 0x3fb8aa3b, v5
	s_delay_alu instid0(VALU_DEP_4) | instskip(SKIP_1) | instid1(VALU_DEP_4)
	v_dual_fmac_f32 v30, 0x32a5705f, v3 :: v_dual_add_f32 v9, v9, v26
	v_cvt_i32_f32_e32 v25, v25
	v_add_f32_e32 v8, v8, v24
	s_delay_alu instid0(VALU_DEP_4) | instskip(SKIP_4) | instid1(VALU_DEP_2)
	v_rndne_f32_e32 v35, v13
	v_sub_f32_e32 v10, v10, v29
	v_fma_f32 v34, 0x3fb8aa3b, v5, -v13
	v_exp_f32_e32 v9, v9
	v_exp_f32_e32 v8, v8
	v_dual_sub_f32 v13, v13, v35 :: v_dual_add_f32 v10, v10, v28
	v_cvt_i32_f32_e32 v27, v27
	v_dual_mul_f32 v12, 0x3fb8aa3b, v4 :: v_dual_mul_f32 v15, 0x3fb8aa3b, v7
	v_fma_f32 v36, 0x3fb8aa3b, v6, -v14
	s_delay_alu instid0(VALU_DEP_4) | instskip(SKIP_1) | instid1(TRANS32_DEP_3)
	v_exp_f32_e32 v10, v10
	v_cvt_i32_f32_e32 v29, v29
	v_ldexp_f32 v9, v9, v27
	s_delay_alu instid0(TRANS32_DEP_2)
	v_ldexp_f32 v8, v8, v25
	v_rndne_f32_e32 v33, v12
	v_fma_f32 v32, 0x3fb8aa3b, v4, -v12
	v_add_f32_e32 v11, v11, v30
	v_fma_f32 v38, 0x3fb8aa3b, v7, -v15
	v_cndmask_b32_e32 v8, 0, v8, vcc_lo
	v_cmp_ngt_f32_e32 vcc_lo, 0xc2ce8ed0, v1
	v_fmac_f32_e32 v36, 0x32a5705f, v6
	v_ldexp_f32 v10, v10, v29
	v_sub_f32_e32 v12, v12, v33
	v_rndne_f32_e32 v39, v15
	v_cndmask_b32_e32 v9, 0, v9, vcc_lo
	v_cmp_ngt_f32_e32 vcc_lo, 0xc2ce8ed0, v2
	v_fmac_f32_e32 v32, 0x32a5705f, v4
	v_exp_f32_e32 v11, v11
	v_sub_f32_e32 v15, v15, v39
	v_cvt_i32_f32_e32 v31, v31
	v_cndmask_b32_e32 v10, 0, v10, vcc_lo
	v_cmp_nlt_f32_e32 vcc_lo, 0x42b17218, v0
	v_add_f32_e32 v12, v12, v32
	v_rndne_f32_e32 v37, v14
	v_cvt_i32_f32_e32 v33, v33
	v_cvt_i32_f32_e32 v26, v39
	v_cndmask_b32_e32 v0, 0x7f800000, v8, vcc_lo
	v_cmp_nlt_f32_e32 vcc_lo, 0x42b17218, v1
	v_exp_f32_e32 v12, v12
	v_ldexp_f32 v11, v11, v31
	v_cvt_i32_f32_e32 v35, v35
	v_cvt_i32_f32_e32 v24, v37
	v_cndmask_b32_e32 v1, 0x7f800000, v9, vcc_lo
	v_fmac_f32_e32 v38, 0x32a5705f, v7
	v_cmp_ngt_f32_e32 vcc_lo, 0xc2ce8ed0, v3
	s_delay_alu instid0(VALU_DEP_3) | instskip(NEXT) | instid1(VALU_DEP_3)
	v_add_f32_e32 v9, v0, v1
	v_dual_fmac_f32 v34, 0x32a5705f, v5 :: v_dual_add_f32 v15, v15, v38
	v_sub_f32_e32 v14, v14, v37
	v_cndmask_b32_e32 v8, 0, v11, vcc_lo
	v_cmp_nlt_f32_e32 vcc_lo, 0x42b17218, v2
	s_delay_alu instid0(VALU_DEP_4) | instskip(SKIP_3) | instid1(VALU_DEP_3)
	v_add_f32_e32 v13, v13, v34
	v_exp_f32_e32 v15, v15
	v_ldexp_f32 v12, v12, v33
	v_cndmask_b32_e32 v2, 0x7f800000, v10, vcc_lo
	v_exp_f32_e32 v13, v13
	v_cmp_ngt_f32_e32 vcc_lo, 0xc2ce8ed0, v4
	s_waitcnt_depctr 0xfff
	v_ldexp_f32 v15, v15, v26
	v_add_f32_e32 v14, v14, v36
	v_cndmask_b32_e32 v10, 0, v12, vcc_lo
	v_cmp_nlt_f32_e32 vcc_lo, 0x42b17218, v3
	v_ldexp_f32 v13, v13, v35
	s_delay_alu instid0(VALU_DEP_4) | instskip(SKIP_2) | instid1(VALU_DEP_3)
	v_exp_f32_e32 v14, v14
	v_dual_cndmask_b32 v3, 0x7f800000, v8 :: v_dual_add_f32 v8, v9, v2
	v_cmp_ngt_f32_e32 vcc_lo, 0xc2ce8ed0, v5
	v_cndmask_b32_e32 v9, 0, v13, vcc_lo
	v_cmp_nlt_f32_e32 vcc_lo, 0x42b17218, v4
	s_waitcnt_depctr 0xfff
	v_ldexp_f32 v14, v14, v24
	v_lshlrev_b32_e32 v24, 2, v17
	v_cndmask_b32_e32 v4, 0x7f800000, v10, vcc_lo
	v_cmp_ngt_f32_e32 vcc_lo, 0xc2ce8ed0, v6
	s_delay_alu instid0(VALU_DEP_4)
	v_cndmask_b32_e32 v10, 0, v14, vcc_lo
	v_cmp_nlt_f32_e32 vcc_lo, 0x42b17218, v5
	v_cndmask_b32_e32 v5, 0x7f800000, v9, vcc_lo
	v_cmp_ngt_f32_e32 vcc_lo, 0xc2ce8ed0, v7
	v_cndmask_b32_e32 v9, 0, v15, vcc_lo
	v_cmp_nlt_f32_e32 vcc_lo, 0x42b17218, v6
	v_cndmask_b32_e32 v6, 0x7f800000, v10, vcc_lo
	v_cmp_nlt_f32_e32 vcc_lo, 0x42b17218, v7
	s_delay_alu instid0(VALU_DEP_4) | instskip(NEXT) | instid1(VALU_DEP_1)
	v_dual_add_f32 v8, v8, v3 :: v_dual_cndmask_b32 v7, 0x7f800000, v9
	v_add_f32_e32 v8, v8, v4
	s_delay_alu instid0(VALU_DEP_1) | instskip(NEXT) | instid1(VALU_DEP_1)
	v_add_f32_e32 v8, v8, v5
	v_add_f32_e32 v8, v8, v6
	s_delay_alu instid0(VALU_DEP_1)
	v_add_f32_e32 v8, v8, v7
	ds_bpermute_b32 v9, v18, v8
	s_waitcnt lgkmcnt(0)
	v_add_f32_e32 v8, v8, v9
	ds_bpermute_b32 v9, v19, v8
	s_waitcnt lgkmcnt(0)
	;; [unrolled: 3-line block ×6, first 2 shown]
	v_add_f32_e32 v8, v8, v9
	s_delay_alu instid0(VALU_DEP_1) | instskip(SKIP_1) | instid1(VALU_DEP_2)
	v_div_scale_f32 v9, null, v8, v8, 1.0
	v_div_scale_f32 v12, vcc_lo, 1.0, v8, 1.0
	v_rcp_f32_e32 v10, v9
	s_waitcnt_depctr 0xfff
	v_fma_f32 v11, -v9, v10, 1.0
	s_delay_alu instid0(VALU_DEP_1) | instskip(NEXT) | instid1(VALU_DEP_1)
	v_fmac_f32_e32 v10, v11, v10
	v_mul_f32_e32 v11, v12, v10
	s_delay_alu instid0(VALU_DEP_1) | instskip(NEXT) | instid1(VALU_DEP_1)
	v_fma_f32 v13, -v9, v11, v12
	v_fmac_f32_e32 v11, v13, v10
	s_delay_alu instid0(VALU_DEP_1) | instskip(NEXT) | instid1(VALU_DEP_1)
	v_fma_f32 v9, -v9, v11, v12
	v_div_fmas_f32 v9, v9, v10, v11
	s_delay_alu instid0(VALU_DEP_1) | instskip(NEXT) | instid1(VALU_DEP_1)
	v_div_fixup_f32 v8, v9, v8, 1.0
	v_mul_f32_e32 v0, v8, v0
	v_mul_f32_e32 v1, v8, v1
	;; [unrolled: 1-line block ×5, first 2 shown]
	v_cmp_class_f32_e64 vcc_lo, v0, 0x1f8
	v_mul_f32_e32 v4, v8, v4
	v_mul_f32_e32 v5, v8, v5
	;; [unrolled: 1-line block ×3, first 2 shown]
	v_cndmask_b32_e32 v0, 0, v0, vcc_lo
	v_cmp_class_f32_e64 vcc_lo, v1, 0x1f8
	v_cndmask_b32_e32 v1, 0, v1, vcc_lo
	v_cmp_class_f32_e64 vcc_lo, v2, 0x1f8
	;; [unrolled: 2-line block ×7, first 2 shown]
	v_cndmask_b32_e32 v7, 0, v7, vcc_lo
	s_cbranch_scc1 .LBB18_39
; %bb.4:
	v_lshlrev_b32_e32 v12, 2, v24
	s_clause 0x1
	global_load_b128 v[8:11], v12, s[2:3]
	global_load_b128 v[12:15], v12, s[2:3] offset:1024
	s_waitcnt vmcnt(1)
	v_dual_add_f32 v9, v9, v1 :: v_dual_add_f32 v8, v8, v0
	v_dual_add_f32 v11, v11, v3 :: v_dual_add_f32 v10, v10, v2
	s_waitcnt vmcnt(0)
	v_dual_add_f32 v13, v13, v5 :: v_dual_add_f32 v12, v12, v4
	v_dual_add_f32 v15, v15, v7 :: v_dual_add_f32 v14, v14, v6
	s_cbranch_execnz .LBB18_6
.LBB18_5:
	v_dual_mov_b32 v15, v7 :: v_dual_mov_b32 v14, v6
	v_dual_mov_b32 v13, v5 :: v_dual_mov_b32 v12, v4
	v_dual_mov_b32 v11, v3 :: v_dual_mov_b32 v10, v2
	v_dual_mov_b32 v9, v1 :: v_dual_mov_b32 v8, v0
.LBB18_6:
	s_load_b128 s[4:7], s[0:1], 0x30
	v_cmp_eq_u32_e64 s2, 0, v17
	s_waitcnt lgkmcnt(0)
	s_bitcmp1_b32 s7, 0
	s_mov_b32 s7, 0
	s_cselect_b32 vcc_lo, -1, 0
	s_cmp_gt_i32 s4, 0
	s_cselect_b32 s3, -1, 0
	s_cmp_lt_i32 s4, 1
	s_cbranch_scc1 .LBB18_40
; %bb.7:
	s_load_b128 s[8:11], s[0:1], 0x20
	v_mul_lo_u32 v26, v16, s4
	v_mov_b32_e32 v25, 0
	v_mov_b32_e32 v27, v16
	s_branch .LBB18_10
.LBB18_8:                               ;   in Loop: Header=BB18_10 Depth=1
	s_or_b32 exec_lo, exec_lo, s1
.LBB18_9:                               ;   in Loop: Header=BB18_10 Depth=1
	v_add_nc_u32_e32 v27, s14, v27
	s_cmp_eq_u32 s4, s7
	s_cbranch_scc1 .LBB18_41
.LBB18_10:                              ; =>This Inner Loop Header: Depth=1
	v_cmp_gt_f32_e64 s0, v9, v8
	s_mov_b32 s17, exec_lo
	s_delay_alu instid0(VALU_DEP_1) | instskip(SKIP_2) | instid1(VALU_DEP_3)
	v_cndmask_b32_e64 v28, v8, v9, s0
	v_cndmask_b32_e64 v29, 0, 1, s0
	;; [unrolled: 1-line block ×3, first 2 shown]
	v_cmp_gt_f32_e64 s1, v10, v28
	s_delay_alu instid0(VALU_DEP_1) | instskip(NEXT) | instid1(VALU_DEP_4)
	v_cndmask_b32_e64 v28, v28, v10, s1
	v_cndmask_b32_e64 v29, v29, 2, s1
	s_delay_alu instid0(VALU_DEP_4) | instskip(NEXT) | instid1(VALU_DEP_3)
	v_cndmask_b32_e64 v30, v30, v2, s1
	v_cmp_gt_f32_e64 s0, v11, v28
	s_delay_alu instid0(VALU_DEP_1) | instskip(NEXT) | instid1(VALU_DEP_4)
	v_cndmask_b32_e64 v28, v28, v11, s0
	v_cndmask_b32_e64 v29, v29, 3, s0
	s_delay_alu instid0(VALU_DEP_4) | instskip(NEXT) | instid1(VALU_DEP_3)
	v_cndmask_b32_e64 v30, v30, v3, s0
	;; [unrolled: 6-line block ×4, first 2 shown]
	v_cmp_gt_f32_e64 s1, v14, v28
	s_delay_alu instid0(VALU_DEP_1) | instskip(NEXT) | instid1(VALU_DEP_4)
	v_cndmask_b32_e64 v28, v28, v14, s1
	v_cndmask_b32_e64 v29, v29, 0x102, s1
	s_waitcnt lgkmcnt(0)
	v_cndmask_b32_e64 v31, v30, v6, s1
	s_delay_alu instid0(VALU_DEP_3) | instskip(NEXT) | instid1(VALU_DEP_1)
	v_cmp_gt_f32_e64 s0, v15, v28
	v_cndmask_b32_e64 v30, v28, v15, s0
	v_cndmask_b32_e64 v28, v29, 0x103, s0
	s_delay_alu instid0(VALU_DEP_4)
	v_cndmask_b32_e64 v29, v31, v7, s0
	ds_bpermute_b32 v31, v18, v30
	v_or_b32_e32 v28, v24, v28
	ds_bpermute_b32 v33, v18, v29
	ds_bpermute_b32 v32, v18, v28
	s_waitcnt lgkmcnt(0)
	v_cmp_lt_f32_e64 s16, v30, v31
	v_cmpx_nlt_f32_e32 v30, v31
; %bb.11:                               ;   in Loop: Header=BB18_10 Depth=1
	v_cmp_eq_f32_e64 s0, v30, v31
	v_cmp_lt_i32_e64 s1, v32, v28
	s_delay_alu instid0(VALU_DEP_1) | instskip(SKIP_2) | instid1(SALU_CYCLE_1)
	s_and_b32 s0, s0, s1
	s_and_not1_b32 s1, s16, exec_lo
	s_and_b32 s0, s0, exec_lo
	s_or_b32 s16, s1, s0
; %bb.12:                               ;   in Loop: Header=BB18_10 Depth=1
	s_or_b32 exec_lo, exec_lo, s17
	s_and_saveexec_b32 s0, s16
; %bb.13:                               ;   in Loop: Header=BB18_10 Depth=1
	v_dual_mov_b32 v29, v33 :: v_dual_mov_b32 v30, v31
	v_mov_b32_e32 v28, v32
; %bb.14:                               ;   in Loop: Header=BB18_10 Depth=1
	s_or_b32 exec_lo, exec_lo, s0
	ds_bpermute_b32 v32, v19, v30
	ds_bpermute_b32 v33, v19, v29
	;; [unrolled: 1-line block ×3, first 2 shown]
	s_mov_b32 s17, exec_lo
	s_waitcnt lgkmcnt(2)
	v_cmp_lt_f32_e64 s16, v30, v32
	v_cmpx_nlt_f32_e32 v30, v32
	s_cbranch_execz .LBB18_16
; %bb.15:                               ;   in Loop: Header=BB18_10 Depth=1
	v_cmp_eq_f32_e64 s0, v30, v32
	s_waitcnt lgkmcnt(0)
	v_cmp_lt_i32_e64 s1, v31, v28
	s_delay_alu instid0(VALU_DEP_1) | instskip(SKIP_2) | instid1(SALU_CYCLE_1)
	s_and_b32 s0, s0, s1
	s_and_not1_b32 s1, s16, exec_lo
	s_and_b32 s0, s0, exec_lo
	s_or_b32 s16, s1, s0
.LBB18_16:                              ;   in Loop: Header=BB18_10 Depth=1
	s_or_b32 exec_lo, exec_lo, s17
	s_delay_alu instid0(VALU_DEP_2)
	s_and_saveexec_b32 s0, s16
	s_cbranch_execz .LBB18_18
; %bb.17:                               ;   in Loop: Header=BB18_10 Depth=1
	s_waitcnt lgkmcnt(1)
	v_dual_mov_b32 v29, v33 :: v_dual_mov_b32 v30, v32
	s_waitcnt lgkmcnt(0)
	v_mov_b32_e32 v28, v31
.LBB18_18:                              ;   in Loop: Header=BB18_10 Depth=1
	s_or_b32 exec_lo, exec_lo, s0
	ds_bpermute_b32 v32, v20, v30
	s_waitcnt lgkmcnt(2)
	ds_bpermute_b32 v33, v20, v29
	s_waitcnt lgkmcnt(2)
	ds_bpermute_b32 v31, v20, v28
	s_mov_b32 s17, exec_lo
	s_waitcnt lgkmcnt(2)
	v_cmp_lt_f32_e64 s16, v30, v32
	v_cmpx_nlt_f32_e32 v30, v32
	s_cbranch_execz .LBB18_20
; %bb.19:                               ;   in Loop: Header=BB18_10 Depth=1
	v_cmp_eq_f32_e64 s0, v30, v32
	s_waitcnt lgkmcnt(0)
	v_cmp_lt_i32_e64 s1, v31, v28
	s_delay_alu instid0(VALU_DEP_1) | instskip(SKIP_2) | instid1(SALU_CYCLE_1)
	s_and_b32 s0, s0, s1
	s_and_not1_b32 s1, s16, exec_lo
	s_and_b32 s0, s0, exec_lo
	s_or_b32 s16, s1, s0
.LBB18_20:                              ;   in Loop: Header=BB18_10 Depth=1
	s_or_b32 exec_lo, exec_lo, s17
	s_delay_alu instid0(VALU_DEP_2)
	s_and_saveexec_b32 s0, s16
	s_cbranch_execz .LBB18_22
; %bb.21:                               ;   in Loop: Header=BB18_10 Depth=1
	s_waitcnt lgkmcnt(1)
	v_dual_mov_b32 v29, v33 :: v_dual_mov_b32 v30, v32
	s_waitcnt lgkmcnt(0)
	v_mov_b32_e32 v28, v31
.LBB18_22:                              ;   in Loop: Header=BB18_10 Depth=1
	s_or_b32 exec_lo, exec_lo, s0
	ds_bpermute_b32 v32, v21, v30
	s_waitcnt lgkmcnt(2)
	ds_bpermute_b32 v33, v21, v29
	s_waitcnt lgkmcnt(2)
	ds_bpermute_b32 v31, v21, v28
	;; [unrolled: 31-line block ×3, first 2 shown]
	s_mov_b32 s17, exec_lo
	s_waitcnt lgkmcnt(2)
	v_cmp_lt_f32_e64 s16, v30, v32
	v_cmpx_nlt_f32_e32 v30, v32
	s_cbranch_execz .LBB18_28
; %bb.27:                               ;   in Loop: Header=BB18_10 Depth=1
	v_cmp_eq_f32_e64 s0, v30, v32
	s_waitcnt lgkmcnt(0)
	v_cmp_lt_i32_e64 s1, v31, v28
	s_delay_alu instid0(VALU_DEP_1) | instskip(SKIP_2) | instid1(SALU_CYCLE_1)
	s_and_b32 s0, s0, s1
	s_and_not1_b32 s1, s16, exec_lo
	s_and_b32 s0, s0, exec_lo
	s_or_b32 s16, s1, s0
.LBB18_28:                              ;   in Loop: Header=BB18_10 Depth=1
	s_or_b32 exec_lo, exec_lo, s17
	s_delay_alu instid0(VALU_DEP_2)
	s_and_saveexec_b32 s0, s16
	s_cbranch_execz .LBB18_30
; %bb.29:                               ;   in Loop: Header=BB18_10 Depth=1
	s_waitcnt lgkmcnt(1)
	v_dual_mov_b32 v29, v33 :: v_dual_mov_b32 v30, v32
	s_waitcnt lgkmcnt(0)
	v_mov_b32_e32 v28, v31
.LBB18_30:                              ;   in Loop: Header=BB18_10 Depth=1
	s_or_b32 exec_lo, exec_lo, s0
	s_waitcnt lgkmcnt(1)
	ds_bpermute_b32 v33, v23, v30
	ds_bpermute_b32 v32, v23, v29
	s_waitcnt lgkmcnt(2)
	ds_bpermute_b32 v31, v23, v28
	s_mov_b32 s17, exec_lo
	s_waitcnt lgkmcnt(2)
	v_cmp_lt_f32_e64 s16, v30, v33
	v_cmpx_nlt_f32_e32 v30, v33
	s_cbranch_execnz .LBB18_34
; %bb.31:                               ;   in Loop: Header=BB18_10 Depth=1
	s_or_b32 exec_lo, exec_lo, s17
	s_delay_alu instid0(VALU_DEP_2)
	s_and_saveexec_b32 s0, s16
	s_cbranch_execnz .LBB18_35
.LBB18_32:                              ;   in Loop: Header=BB18_10 Depth=1
	s_or_b32 exec_lo, exec_lo, s0
	s_and_saveexec_b32 s16, s2
	s_cbranch_execnz .LBB18_36
.LBB18_33:                              ;   in Loop: Header=BB18_10 Depth=1
	s_or_b32 exec_lo, exec_lo, s16
	s_add_i32 s7, s7, 1
	s_delay_alu instid0(SALU_CYCLE_1)
	s_cmp_ge_i32 s7, s4
	s_cbranch_scc1 .LBB18_9
	s_branch .LBB18_37
.LBB18_34:                              ;   in Loop: Header=BB18_10 Depth=1
	v_cmp_eq_f32_e64 s0, v30, v33
	s_waitcnt lgkmcnt(0)
	v_cmp_lt_i32_e64 s1, v31, v28
	s_delay_alu instid0(VALU_DEP_1) | instskip(SKIP_2) | instid1(SALU_CYCLE_1)
	s_and_b32 s0, s0, s1
	s_and_not1_b32 s1, s16, exec_lo
	s_and_b32 s0, s0, exec_lo
	s_or_b32 s16, s1, s0
	s_or_b32 exec_lo, exec_lo, s17
	s_and_saveexec_b32 s0, s16
	s_cbranch_execz .LBB18_32
.LBB18_35:                              ;   in Loop: Header=BB18_10 Depth=1
	s_waitcnt lgkmcnt(0)
	v_dual_mov_b32 v29, v32 :: v_dual_mov_b32 v28, v31
	s_or_b32 exec_lo, exec_lo, s0
	s_and_saveexec_b32 s16, s2
	s_cbranch_execz .LBB18_33
.LBB18_36:                              ;   in Loop: Header=BB18_10 Depth=1
	s_delay_alu instid0(VALU_DEP_1)
	v_dual_add_f32 v37, v25, v29 :: v_dual_add_nc_u32 v30, s7, v26
	v_cmp_le_i32_e64 s0, s5, v28
	v_cmp_gt_i32_e64 s1, s6, v28
	s_waitcnt lgkmcnt(1)
	v_subrev_nc_u32_e32 v32, s5, v28
	s_waitcnt lgkmcnt(0)
	v_ashrrev_i32_e32 v31, 31, v30
	v_cndmask_b32_e32 v25, v25, v37, vcc_lo
	s_and_b32 s0, s0, s1
	s_delay_alu instid0(SALU_CYCLE_1) | instskip(NEXT) | instid1(VALU_DEP_2)
	s_and_b32 s0, s15, s0
	v_lshlrev_b64 v[30:31], 2, v[30:31]
	v_cndmask_b32_e64 v36, 0x200, v32, s0
	s_delay_alu instid0(VALU_DEP_2) | instskip(NEXT) | instid1(VALU_DEP_1)
	v_add_co_u32 v32, s0, s12, v30
	v_add_co_ci_u32_e64 v33, s0, s13, v31, s0
	v_add_co_u32 v34, s0, s8, v30
	s_delay_alu instid0(VALU_DEP_1) | instskip(SKIP_1) | instid1(VALU_DEP_1)
	v_add_co_ci_u32_e64 v35, s0, s9, v31, s0
	v_add_co_u32 v30, s0, s10, v30
	v_add_co_ci_u32_e64 v31, s0, s11, v31, s0
	global_store_b32 v[32:33], v29, off
	global_store_b32 v[34:35], v36, off
	;; [unrolled: 1-line block ×3, first 2 shown]
	s_or_b32 exec_lo, exec_lo, s16
	s_add_i32 s7, s7, 1
	s_delay_alu instid0(SALU_CYCLE_1)
	s_cmp_ge_i32 s7, s4
	s_cbranch_scc1 .LBB18_9
.LBB18_37:                              ;   in Loop: Header=BB18_10 Depth=1
	v_ashrrev_i32_e32 v29, 31, v28
	s_mov_b32 s1, exec_lo
	s_delay_alu instid0(VALU_DEP_1) | instskip(NEXT) | instid1(VALU_DEP_1)
	v_lshrrev_b32_e32 v30, 30, v29
	v_add_nc_u32_e32 v30, v28, v30
	s_waitcnt lgkmcnt(0)
	s_delay_alu instid0(VALU_DEP_1) | instskip(SKIP_1) | instid1(VALU_DEP_2)
	v_ashrrev_i32_e32 v31, 31, v30
	v_ashrrev_i32_e32 v30, 2, v30
	v_lshrrev_b32_e32 v31, 26, v31
	s_delay_alu instid0(VALU_DEP_1) | instskip(NEXT) | instid1(VALU_DEP_1)
	v_add_nc_u32_e32 v31, v30, v31
	v_and_b32_e32 v31, 0xffffffc0, v31
	s_delay_alu instid0(VALU_DEP_1) | instskip(NEXT) | instid1(VALU_DEP_1)
	v_sub_nc_u32_e32 v31, v30, v31
	v_cmpx_eq_u32_e64 v17, v31
	s_cbranch_execz .LBB18_8
; %bb.38:                               ;   in Loop: Header=BB18_10 Depth=1
	v_lshrrev_b32_e32 v29, 24, v29
	v_lshlrev_b32_e32 v30, 2, v30
	s_delay_alu instid0(VALU_DEP_2) | instskip(NEXT) | instid1(VALU_DEP_2)
	v_add_nc_u32_e32 v29, v28, v29
	v_sub_nc_u32_e32 v28, v28, v30
	s_delay_alu instid0(VALU_DEP_2) | instskip(NEXT) | instid1(VALU_DEP_1)
	v_ashrrev_i32_e32 v29, 8, v29
	v_lshl_add_u32 v28, v29, 2, v28
	s_delay_alu instid0(VALU_DEP_1) | instskip(NEXT) | instid1(VALU_DEP_1)
	v_cmp_ne_u32_e64 s0, 7, v28
	v_cndmask_b32_e64 v15, 0xc61c4000, v15, s0
	v_cmp_ne_u32_e64 s0, 6, v28
	s_delay_alu instid0(VALU_DEP_1) | instskip(SKIP_1) | instid1(VALU_DEP_1)
	v_cndmask_b32_e64 v14, 0xc61c4000, v14, s0
	v_cmp_ne_u32_e64 s0, 5, v28
	v_cndmask_b32_e64 v13, 0xc61c4000, v13, s0
	v_cmp_ne_u32_e64 s0, 4, v28
	s_delay_alu instid0(VALU_DEP_1) | instskip(SKIP_1) | instid1(VALU_DEP_1)
	v_cndmask_b32_e64 v12, 0xc61c4000, v12, s0
	;; [unrolled: 5-line block ×3, first 2 shown]
	v_cmp_ne_u32_e64 s0, 1, v28
	v_cndmask_b32_e64 v9, 0xc61c4000, v9, s0
	v_cmp_ne_u32_e64 s0, 0, v28
	s_delay_alu instid0(VALU_DEP_1)
	v_cndmask_b32_e64 v8, 0xc61c4000, v8, s0
	s_branch .LBB18_8
.LBB18_39:
                                        ; implicit-def: $vgpr8_vgpr9_vgpr10_vgpr11_vgpr12_vgpr13_vgpr14_vgpr15
	s_and_not1_b32 vcc_lo, exec_lo, s8
	s_cbranch_vccz .LBB18_5
	s_branch .LBB18_6
.LBB18_40:
	v_mov_b32_e32 v25, 0
.LBB18_41:
	v_cmp_eq_u32_e64 s0, 0, v17
	s_delay_alu instid0(VALU_DEP_1) | instskip(NEXT) | instid1(SALU_CYCLE_1)
	s_and_b32 s0, s0, vcc_lo
	s_and_b32 exec_lo, exec_lo, s0
	s_cbranch_execz .LBB18_45
; %bb.42:
	s_and_not1_b32 vcc_lo, exec_lo, s3
	s_cbranch_vccnz .LBB18_45
; %bb.43:
	v_mul_lo_u32 v0, v16, s4
	v_cmp_lt_f32_e32 vcc_lo, 0, v25
	v_cndmask_b32_e32 v2, 1.0, v25, vcc_lo
	s_delay_alu instid0(VALU_DEP_3) | instskip(NEXT) | instid1(VALU_DEP_1)
	v_ashrrev_i32_e32 v1, 31, v0
	v_lshlrev_b64 v[0:1], 2, v[0:1]
	s_delay_alu instid0(VALU_DEP_1) | instskip(NEXT) | instid1(VALU_DEP_2)
	v_add_co_u32 v0, vcc_lo, s12, v0
	v_add_co_ci_u32_e32 v1, vcc_lo, s13, v1, vcc_lo
	.p2align	6
.LBB18_44:                              ; =>This Inner Loop Header: Depth=1
	global_load_b32 v3, v[0:1], off
	s_add_i32 s4, s4, -1
	s_delay_alu instid0(SALU_CYCLE_1) | instskip(SKIP_3) | instid1(VALU_DEP_2)
	s_cmp_lg_u32 s4, 0
	s_waitcnt vmcnt(0)
	v_div_scale_f32 v4, null, v2, v2, v3
	v_div_scale_f32 v7, vcc_lo, v3, v2, v3
	v_rcp_f32_e32 v5, v4
	s_waitcnt_depctr 0xfff
	v_fma_f32 v6, -v4, v5, 1.0
	s_delay_alu instid0(VALU_DEP_1) | instskip(NEXT) | instid1(VALU_DEP_1)
	v_fmac_f32_e32 v5, v6, v5
	v_mul_f32_e32 v6, v7, v5
	s_delay_alu instid0(VALU_DEP_1) | instskip(NEXT) | instid1(VALU_DEP_1)
	v_fma_f32 v8, -v4, v6, v7
	v_fmac_f32_e32 v6, v8, v5
	s_delay_alu instid0(VALU_DEP_1) | instskip(NEXT) | instid1(VALU_DEP_1)
	v_fma_f32 v4, -v4, v6, v7
	v_div_fmas_f32 v4, v4, v5, v6
	s_delay_alu instid0(VALU_DEP_1)
	v_div_fixup_f32 v3, v4, v2, v3
	global_store_b32 v[0:1], v3, off
	v_add_co_u32 v0, vcc_lo, v0, 4
	v_add_co_ci_u32_e32 v1, vcc_lo, 0, v1, vcc_lo
	s_cbranch_scc1 .LBB18_44
.LBB18_45:
	s_nop 0
	s_sendmsg sendmsg(MSG_DEALLOC_VGPRS)
	s_endpgm
	.section	.rodata,"a",@progbits
	.p2align	6, 0x0
	.amdhsa_kernel _ZN4vllm3moe10topkGatingILi8ELi512ELi4ELi16ELi64EifLNS0_11ScoringFuncE0EEEvPKT5_PKbPfiPT4_PiiiibPKf
		.amdhsa_group_segment_fixed_size 0
		.amdhsa_private_segment_fixed_size 0
		.amdhsa_kernarg_size 72
		.amdhsa_user_sgpr_count 15
		.amdhsa_user_sgpr_dispatch_ptr 0
		.amdhsa_user_sgpr_queue_ptr 0
		.amdhsa_user_sgpr_kernarg_segment_ptr 1
		.amdhsa_user_sgpr_dispatch_id 0
		.amdhsa_user_sgpr_private_segment_size 0
		.amdhsa_wavefront_size32 1
		.amdhsa_uses_dynamic_stack 0
		.amdhsa_enable_private_segment 0
		.amdhsa_system_sgpr_workgroup_id_x 1
		.amdhsa_system_sgpr_workgroup_id_y 0
		.amdhsa_system_sgpr_workgroup_id_z 0
		.amdhsa_system_sgpr_workgroup_info 0
		.amdhsa_system_vgpr_workitem_id 1
		.amdhsa_next_free_vgpr 40
		.amdhsa_next_free_sgpr 18
		.amdhsa_reserve_vcc 1
		.amdhsa_float_round_mode_32 0
		.amdhsa_float_round_mode_16_64 0
		.amdhsa_float_denorm_mode_32 3
		.amdhsa_float_denorm_mode_16_64 3
		.amdhsa_dx10_clamp 1
		.amdhsa_ieee_mode 1
		.amdhsa_fp16_overflow 0
		.amdhsa_workgroup_processor_mode 1
		.amdhsa_memory_ordered 1
		.amdhsa_forward_progress 0
		.amdhsa_shared_vgpr_count 0
		.amdhsa_exception_fp_ieee_invalid_op 0
		.amdhsa_exception_fp_denorm_src 0
		.amdhsa_exception_fp_ieee_div_zero 0
		.amdhsa_exception_fp_ieee_overflow 0
		.amdhsa_exception_fp_ieee_underflow 0
		.amdhsa_exception_fp_ieee_inexact 0
		.amdhsa_exception_int_div_zero 0
	.end_amdhsa_kernel
	.section	.text._ZN4vllm3moe10topkGatingILi8ELi512ELi4ELi16ELi64EifLNS0_11ScoringFuncE0EEEvPKT5_PKbPfiPT4_PiiiibPKf,"axG",@progbits,_ZN4vllm3moe10topkGatingILi8ELi512ELi4ELi16ELi64EifLNS0_11ScoringFuncE0EEEvPKT5_PKbPfiPT4_PiiiibPKf,comdat
.Lfunc_end18:
	.size	_ZN4vllm3moe10topkGatingILi8ELi512ELi4ELi16ELi64EifLNS0_11ScoringFuncE0EEEvPKT5_PKbPfiPT4_PiiiibPKf, .Lfunc_end18-_ZN4vllm3moe10topkGatingILi8ELi512ELi4ELi16ELi64EifLNS0_11ScoringFuncE0EEEvPKT5_PKbPfiPT4_PiiiibPKf
                                        ; -- End function
	.section	.AMDGPU.csdata,"",@progbits
; Kernel info:
; codeLenInByte = 3756
; NumSgprs: 20
; NumVgprs: 40
; ScratchSize: 0
; MemoryBound: 0
; FloatMode: 240
; IeeeMode: 1
; LDSByteSize: 0 bytes/workgroup (compile time only)
; SGPRBlocks: 2
; VGPRBlocks: 4
; NumSGPRsForWavesPerEU: 20
; NumVGPRsForWavesPerEU: 40
; Occupancy: 16
; WaveLimiterHint : 1
; COMPUTE_PGM_RSRC2:SCRATCH_EN: 0
; COMPUTE_PGM_RSRC2:USER_SGPR: 15
; COMPUTE_PGM_RSRC2:TRAP_HANDLER: 0
; COMPUTE_PGM_RSRC2:TGID_X_EN: 1
; COMPUTE_PGM_RSRC2:TGID_Y_EN: 0
; COMPUTE_PGM_RSRC2:TGID_Z_EN: 0
; COMPUTE_PGM_RSRC2:TIDIG_COMP_CNT: 1
	.section	.text._ZN4vllm3moe10topkGatingILi16ELi512ELi4ELi16ELi32EifLNS0_11ScoringFuncE0EEEvPKT5_PKbPfiPT4_PiiiibPKf,"axG",@progbits,_ZN4vllm3moe10topkGatingILi16ELi512ELi4ELi16ELi32EifLNS0_11ScoringFuncE0EEEvPKT5_PKbPfiPT4_PiiiibPKf,comdat
	.protected	_ZN4vllm3moe10topkGatingILi16ELi512ELi4ELi16ELi32EifLNS0_11ScoringFuncE0EEEvPKT5_PKbPfiPT4_PiiiibPKf ; -- Begin function _ZN4vllm3moe10topkGatingILi16ELi512ELi4ELi16ELi32EifLNS0_11ScoringFuncE0EEEvPKT5_PKbPfiPT4_PiiiibPKf
	.globl	_ZN4vllm3moe10topkGatingILi16ELi512ELi4ELi16ELi32EifLNS0_11ScoringFuncE0EEEvPKT5_PKbPfiPT4_PiiiibPKf
	.p2align	8
	.type	_ZN4vllm3moe10topkGatingILi16ELi512ELi4ELi16ELi32EifLNS0_11ScoringFuncE0EEEvPKT5_PKbPfiPT4_PiiiibPKf,@function
_ZN4vllm3moe10topkGatingILi16ELi512ELi4ELi16ELi32EifLNS0_11ScoringFuncE0EEEvPKT5_PKbPfiPT4_PiiiibPKf: ; @_ZN4vllm3moe10topkGatingILi16ELi512ELi4ELi16ELi32EifLNS0_11ScoringFuncE0EEEvPKT5_PKbPfiPT4_PiiiibPKf
; %bb.0:
	s_load_b32 s14, s[0:1], 0x18
	v_and_b32_e32 v1, 0x3ff, v0
	v_bfe_u32 v0, v0, 10, 10
	s_lshl_b32 s2, s15, 2
	s_delay_alu instid0(VALU_DEP_2) | instskip(NEXT) | instid1(VALU_DEP_1)
	v_lshrrev_b32_e32 v2, 5, v1
	v_add3_u32 v32, s2, v0, v2
	s_mov_b32 s2, exec_lo
	s_waitcnt lgkmcnt(0)
	s_delay_alu instid0(VALU_DEP_1)
	v_cmpx_gt_i32_e64 s14, v32
	s_cbranch_execz .LBB19_41
; %bb.1:
	s_clause 0x1
	s_load_b128 s[4:7], s[0:1], 0x0
	s_load_b64 s[12:13], s[0:1], 0x10
	s_mov_b32 s8, -1
	s_mov_b32 s15, -1
	s_waitcnt lgkmcnt(0)
	s_cmp_eq_u64 s[6:7], 0
	s_cbranch_scc1 .LBB19_3
; %bb.2:
	v_ashrrev_i32_e32 v0, 31, v32
	v_add_co_u32 v2, vcc_lo, s6, v32
	s_delay_alu instid0(VALU_DEP_2) | instskip(SKIP_3) | instid1(VALU_DEP_1)
	v_add_co_ci_u32_e32 v3, vcc_lo, s7, v0, vcc_lo
	global_load_u8 v0, v[2:3], off
	s_waitcnt vmcnt(0)
	v_and_b32_e32 v0, 1, v0
	v_cmp_eq_u32_e32 vcc_lo, 1, v0
	s_xor_b32 s2, vcc_lo, -1
	s_delay_alu instid0(SALU_CYCLE_1)
	s_or_not1_b32 s15, s2, exec_lo
.LBB19_3:
	v_lshlrev_b32_e32 v2, 9, v32
	v_and_b32_e32 v33, 31, v1
	s_load_b64 s[2:3], s[0:1], 0x40
	s_delay_alu instid0(VALU_DEP_2) | instskip(NEXT) | instid1(VALU_DEP_1)
	v_ashrrev_i32_e32 v3, 31, v2
	v_lshlrev_b64 v[0:1], 2, v[2:3]
	s_delay_alu instid0(VALU_DEP_3) | instskip(NEXT) | instid1(VALU_DEP_2)
	v_lshlrev_b32_e32 v2, 4, v33
	v_add_co_u32 v0, vcc_lo, s4, v0
	s_delay_alu instid0(VALU_DEP_3) | instskip(NEXT) | instid1(VALU_DEP_2)
	v_add_co_ci_u32_e32 v1, vcc_lo, s5, v1, vcc_lo
	v_add_co_u32 v12, vcc_lo, v0, v2
	s_delay_alu instid0(VALU_DEP_2)
	v_add_co_ci_u32_e32 v13, vcc_lo, 0, v1, vcc_lo
	s_waitcnt lgkmcnt(0)
	s_cmp_eq_u64 s[2:3], 0
	s_clause 0x3
	global_load_b128 v[0:3], v[12:13], off
	global_load_b128 v[4:7], v[12:13], off offset:512
	global_load_b128 v[8:11], v[12:13], off offset:1024
	;; [unrolled: 1-line block ×3, first 2 shown]
	s_waitcnt vmcnt(3)
	v_dual_max_f32 v17, v0, v0 :: v_dual_max_f32 v16, v1, v1
	s_delay_alu instid0(VALU_DEP_1) | instskip(SKIP_1) | instid1(VALU_DEP_2)
	v_max_f32_e32 v16, v17, v16
	v_mbcnt_lo_u32_b32 v17, -1, 0
	v_max3_f32 v16, v16, v2, v3
	s_delay_alu instid0(VALU_DEP_2) | instskip(SKIP_2) | instid1(VALU_DEP_3)
	v_xor_b32_e32 v18, 16, v17
	v_xor_b32_e32 v19, 8, v17
	s_waitcnt vmcnt(2)
	v_max3_f32 v16, v16, v4, v5
	s_delay_alu instid0(VALU_DEP_3) | instskip(NEXT) | instid1(VALU_DEP_2)
	v_cmp_gt_i32_e32 vcc_lo, 32, v18
	v_max3_f32 v16, v16, v6, v7
	v_cndmask_b32_e32 v18, v17, v18, vcc_lo
	v_cmp_gt_i32_e32 vcc_lo, 32, v19
	s_waitcnt vmcnt(1)
	s_delay_alu instid0(VALU_DEP_3) | instskip(SKIP_1) | instid1(VALU_DEP_2)
	v_max3_f32 v16, v16, v8, v9
	v_cndmask_b32_e32 v19, v17, v19, vcc_lo
	v_max3_f32 v16, v16, v10, v11
	s_delay_alu instid0(VALU_DEP_2) | instskip(SKIP_2) | instid1(VALU_DEP_3)
	v_lshlrev_b32_e32 v35, 2, v19
	v_xor_b32_e32 v19, 4, v17
	s_waitcnt vmcnt(0)
	v_max3_f32 v16, v16, v12, v13
	s_delay_alu instid0(VALU_DEP_2) | instskip(NEXT) | instid1(VALU_DEP_2)
	v_cmp_gt_i32_e32 vcc_lo, 32, v19
	v_max3_f32 v16, v16, v14, v15
	v_cndmask_b32_e32 v19, v17, v19, vcc_lo
	s_delay_alu instid0(VALU_DEP_1) | instskip(SKIP_1) | instid1(VALU_DEP_1)
	v_lshlrev_b32_e32 v36, 2, v19
	v_xor_b32_e32 v19, 2, v17
	v_cmp_gt_i32_e32 vcc_lo, 32, v19
	v_cndmask_b32_e32 v19, v17, v19, vcc_lo
	s_delay_alu instid0(VALU_DEP_1) | instskip(SKIP_1) | instid1(VALU_DEP_1)
	v_lshlrev_b32_e32 v37, 2, v19
	v_xor_b32_e32 v19, 1, v17
	v_cmp_gt_i32_e32 vcc_lo, 32, v19
	v_dual_cndmask_b32 v17, v17, v19 :: v_dual_lshlrev_b32 v34, 2, v18
	ds_bpermute_b32 v18, v34, v16
	v_lshlrev_b32_e32 v38, 2, v17
	s_waitcnt lgkmcnt(0)
	v_max_f32_e32 v18, v18, v18
	s_delay_alu instid0(VALU_DEP_1) | instskip(SKIP_3) | instid1(VALU_DEP_1)
	v_max_f32_e32 v16, v16, v18
	ds_bpermute_b32 v18, v35, v16
	s_waitcnt lgkmcnt(0)
	v_max_f32_e32 v18, v18, v18
	v_max_f32_e32 v16, v16, v18
	ds_bpermute_b32 v18, v36, v16
	s_waitcnt lgkmcnt(0)
	v_max_f32_e32 v18, v18, v18
	s_delay_alu instid0(VALU_DEP_1) | instskip(SKIP_3) | instid1(VALU_DEP_1)
	v_max_f32_e32 v16, v16, v18
	ds_bpermute_b32 v18, v37, v16
	s_waitcnt lgkmcnt(0)
	v_max_f32_e32 v18, v18, v18
	v_max_f32_e32 v16, v16, v18
	ds_bpermute_b32 v17, v38, v16
	s_waitcnt lgkmcnt(0)
	v_max_f32_e32 v17, v17, v17
	s_delay_alu instid0(VALU_DEP_1) | instskip(NEXT) | instid1(VALU_DEP_1)
	v_max_f32_e32 v16, v16, v17
	v_sub_f32_e32 v11, v11, v16
	s_delay_alu instid0(VALU_DEP_1) | instskip(SKIP_4) | instid1(VALU_DEP_4)
	v_mul_f32_e32 v27, 0x3fb8aa3b, v11
	v_sub_f32_e32 v3, v3, v16
	v_sub_f32_e32 v1, v1, v16
	;; [unrolled: 1-line block ×4, first 2 shown]
	v_dual_sub_f32 v4, v4, v16 :: v_dual_mul_f32 v19, 0x3fb8aa3b, v3
	s_delay_alu instid0(VALU_DEP_4) | instskip(NEXT) | instid1(VALU_DEP_4)
	v_mul_f32_e32 v17, 0x3fb8aa3b, v1
	v_mul_f32_e32 v21, 0x3fb8aa3b, v5
	v_rndne_f32_e32 v62, v27
	s_delay_alu instid0(VALU_DEP_4)
	v_rndne_f32_e32 v46, v19
	v_sub_f32_e32 v14, v14, v16
	v_fma_f32 v41, 0x3fb8aa3b, v1, -v17
	v_sub_f32_e32 v6, v6, v16
	v_fma_f32 v45, 0x3fb8aa3b, v3, -v19
	v_sub_f32_e32 v19, v19, v46
	v_dual_sub_f32 v13, v13, v16 :: v_dual_mul_f32 v30, 0x3fb8aa3b, v14
	v_dual_sub_f32 v2, v2, v16 :: v_dual_fmac_f32 v41, 0x32a5705f, v1
	v_dual_sub_f32 v9, v9, v16 :: v_dual_mul_f32 v22, 0x3fb8aa3b, v6
	s_delay_alu instid0(VALU_DEP_3) | instskip(NEXT) | instid1(VALU_DEP_3)
	v_dual_sub_f32 v0, v0, v16 :: v_dual_mul_f32 v29, 0x3fb8aa3b, v13
	v_dual_sub_f32 v7, v7, v16 :: v_dual_mul_f32 v18, 0x3fb8aa3b, v2
	v_dual_sub_f32 v12, v12, v16 :: v_dual_fmac_f32 v45, 0x32a5705f, v3
	s_delay_alu instid0(VALU_DEP_4)
	v_mul_f32_e32 v25, 0x3fb8aa3b, v9
	v_rndne_f32_e32 v42, v17
	v_sub_f32_e32 v8, v8, v16
	v_fma_f32 v43, 0x3fb8aa3b, v2, -v18
	v_sub_f32_e32 v10, v10, v16
	v_rndne_f32_e32 v50, v21
	v_mul_f32_e32 v16, 0x3fb8aa3b, v0
	v_rndne_f32_e32 v44, v18
	v_fma_f32 v49, 0x3fb8aa3b, v5, -v21
	v_fma_f32 v51, 0x3fb8aa3b, v6, -v22
	v_sub_f32_e32 v21, v21, v50
	v_fma_f32 v39, 0x3fb8aa3b, v0, -v16
	v_rndne_f32_e32 v40, v16
	v_rndne_f32_e32 v58, v25
	v_dual_sub_f32 v17, v17, v42 :: v_dual_mul_f32 v24, 0x3fb8aa3b, v8
	v_fmac_f32_e32 v43, 0x32a5705f, v2
	v_mul_f32_e32 v26, 0x3fb8aa3b, v10
	v_fma_f32 v57, 0x3fb8aa3b, v9, -v25
	v_sub_f32_e32 v25, v25, v58
	v_rndne_f32_e32 v56, v24
	v_dual_sub_f32 v16, v16, v40 :: v_dual_fmac_f32 v49, 0x32a5705f, v5
	v_fma_f32 v59, 0x3fb8aa3b, v10, -v26
	v_rndne_f32_e32 v60, v26
	v_dual_sub_f32 v18, v18, v44 :: v_dual_fmac_f32 v51, 0x32a5705f, v6
	v_fmac_f32_e32 v39, 0x32a5705f, v0
	v_fma_f32 v55, 0x3fb8aa3b, v8, -v24
	v_fma_f32 v61, 0x3fb8aa3b, v11, -v27
	s_delay_alu instid0(VALU_DEP_4)
	v_add_f32_e32 v18, v18, v43
	v_rndne_f32_e32 v66, v29
	v_fma_f32 v67, 0x3fb8aa3b, v14, -v30
	v_rndne_f32_e32 v68, v30
	v_dual_sub_f32 v24, v24, v56 :: v_dual_fmac_f32 v59, 0x32a5705f, v10
	v_dual_sub_f32 v26, v26, v60 :: v_dual_fmac_f32 v61, 0x32a5705f, v11
	v_add_f32_e32 v16, v16, v39
	v_fma_f32 v65, 0x3fb8aa3b, v13, -v29
	v_dual_sub_f32 v29, v29, v66 :: v_dual_sub_f32 v30, v30, v68
	s_delay_alu instid0(VALU_DEP_4) | instskip(SKIP_3) | instid1(VALU_DEP_3)
	v_dual_fmac_f32 v67, 0x32a5705f, v14 :: v_dual_add_f32 v26, v26, v59
	v_add_f32_e32 v17, v17, v41
	v_exp_f32_e32 v16, v16
	v_mul_f32_e32 v31, 0x3fb8aa3b, v15
	v_add_f32_e32 v30, v30, v67
	v_cvt_i32_f32_e32 v40, v40
	v_exp_f32_e32 v17, v17
	v_mul_f32_e32 v23, 0x3fb8aa3b, v7
	v_fma_f32 v69, 0x3fb8aa3b, v15, -v31
	v_cvt_i32_f32_e32 v42, v42
	v_exp_f32_e32 v18, v18
	v_cmp_ngt_f32_e32 vcc_lo, 0xc2ce8ed0, v0
	v_ldexp_f32 v16, v16, v40
	v_rndne_f32_e32 v54, v23
	v_mul_f32_e32 v20, 0x3fb8aa3b, v4
	v_cvt_i32_f32_e32 v44, v44
	s_delay_alu instid0(VALU_DEP_4)
	v_dual_fmac_f32 v69, 0x32a5705f, v15 :: v_dual_cndmask_b32 v16, 0, v16
	v_ldexp_f32 v17, v17, v42
	v_cmp_ngt_f32_e32 vcc_lo, 0xc2ce8ed0, v1
	v_rndne_f32_e32 v52, v22
	v_fma_f32 v53, 0x3fb8aa3b, v7, -v23
	v_sub_f32_e32 v23, v23, v54
	v_fma_f32 v47, 0x3fb8aa3b, v4, -v20
	v_rndne_f32_e32 v48, v20
	v_ldexp_f32 v18, v18, v44
	v_cndmask_b32_e32 v17, 0, v17, vcc_lo
	v_cmp_ngt_f32_e32 vcc_lo, 0xc2ce8ed0, v2
	s_delay_alu instid0(VALU_DEP_4) | instskip(SKIP_3) | instid1(VALU_DEP_4)
	v_dual_add_f32 v19, v19, v45 :: v_dual_sub_f32 v20, v20, v48
	v_dual_fmac_f32 v53, 0x32a5705f, v7 :: v_dual_sub_f32 v22, v22, v52
	v_fmac_f32_e32 v57, 0x32a5705f, v9
	v_dual_fmac_f32 v47, 0x32a5705f, v4 :: v_dual_cndmask_b32 v18, 0, v18
	v_exp_f32_e32 v19, v19
	s_delay_alu instid0(VALU_DEP_3)
	v_add_f32_e32 v22, v22, v51
	v_cmp_nlt_f32_e32 vcc_lo, 0x42b17218, v0
	v_cvt_i32_f32_e32 v46, v46
	v_dual_fmac_f32 v55, 0x32a5705f, v8 :: v_dual_add_f32 v20, v20, v47
	v_dual_add_f32 v21, v21, v49 :: v_dual_cndmask_b32 v0, 0x7f800000, v16
	v_cmp_nlt_f32_e32 vcc_lo, 0x42b17218, v1
	v_dual_mul_f32 v28, 0x3fb8aa3b, v12 :: v_dual_sub_f32 v27, v27, v62
	s_delay_alu instid0(VALU_DEP_4) | instskip(NEXT) | instid1(TRANS32_DEP_2)
	v_exp_f32_e32 v20, v20
	v_ldexp_f32 v19, v19, v46
	v_cndmask_b32_e32 v1, 0x7f800000, v17, vcc_lo
	v_cmp_ngt_f32_e32 vcc_lo, 0xc2ce8ed0, v3
	v_fma_f32 v63, 0x3fb8aa3b, v12, -v28
	v_cvt_i32_f32_e32 v48, v48
	v_dual_add_f32 v23, v23, v53 :: v_dual_add_f32 v24, v24, v55
	v_cndmask_b32_e32 v16, 0, v19, vcc_lo
	v_cmp_nlt_f32_e32 vcc_lo, 0x42b17218, v2
	v_fmac_f32_e32 v63, 0x32a5705f, v12
	v_add_f32_e32 v25, v25, v57
	v_exp_f32_e32 v21, v21
	v_exp_f32_e32 v22, v22
	v_cndmask_b32_e32 v2, 0x7f800000, v18, vcc_lo
	v_ldexp_f32 v20, v20, v48
	v_cmp_ngt_f32_e32 vcc_lo, 0xc2ce8ed0, v4
	v_rndne_f32_e32 v64, v28
	v_rndne_f32_e32 v70, v31
	v_cvt_i32_f32_e32 v50, v50
	v_cvt_i32_f32_e32 v52, v52
	v_dual_add_f32 v27, v27, v61 :: v_dual_cndmask_b32 v18, 0, v20
	v_exp_f32_e32 v24, v24
	v_cmp_nlt_f32_e32 vcc_lo, 0x42b17218, v3
	v_cvt_i32_f32_e32 v56, v56
	v_dual_sub_f32 v28, v28, v64 :: v_dual_fmac_f32 v65, 0x32a5705f, v13
	v_sub_f32_e32 v31, v31, v70
	v_ldexp_f32 v21, v21, v50
	v_ldexp_f32 v22, v22, v52
	s_delay_alu instid0(VALU_DEP_4)
	v_add_f32_e32 v28, v28, v63
	v_add_f32_e32 v17, v0, v1
	v_cndmask_b32_e32 v3, 0x7f800000, v16, vcc_lo
	v_cmp_ngt_f32_e32 vcc_lo, 0xc2ce8ed0, v5
	v_add_f32_e32 v31, v31, v69
	v_ldexp_f32 v24, v24, v56
	v_add_f32_e32 v16, v17, v2
	v_exp_f32_e32 v23, v23
	v_cndmask_b32_e32 v17, 0, v21, vcc_lo
	v_cmp_nlt_f32_e32 vcc_lo, 0x42b17218, v4
	v_add_f32_e32 v29, v29, v65
	v_cvt_i32_f32_e32 v54, v54
	v_exp_f32_e32 v26, v26
	v_cvt_i32_f32_e32 v60, v60
	v_cndmask_b32_e32 v4, 0x7f800000, v18, vcc_lo
	v_cmp_ngt_f32_e32 vcc_lo, 0xc2ce8ed0, v6
	v_exp_f32_e32 v25, v25
	v_ldexp_f32 v23, v23, v54
	v_add_f32_e32 v16, v16, v3
	v_cvt_i32_f32_e32 v58, v58
	v_cndmask_b32_e32 v18, 0, v22, vcc_lo
	v_cmp_nlt_f32_e32 vcc_lo, 0x42b17218, v5
	v_ldexp_f32 v26, v26, v60
	v_dual_add_f32 v16, v16, v4 :: v_dual_lshlrev_b32 v39, 2, v33
	v_exp_f32_e32 v27, v27
	v_cndmask_b32_e32 v5, 0x7f800000, v17, vcc_lo
	v_cmp_ngt_f32_e32 vcc_lo, 0xc2ce8ed0, v7
	v_ldexp_f32 v25, v25, v58
	v_cvt_i32_f32_e32 v62, v62
	v_exp_f32_e32 v28, v28
	v_dual_add_f32 v16, v16, v5 :: v_dual_cndmask_b32 v17, 0, v23
	v_cmp_nlt_f32_e32 vcc_lo, 0x42b17218, v6
	v_cvt_i32_f32_e32 v64, v64
	s_delay_alu instid0(TRANS32_DEP_2) | instskip(SKIP_4) | instid1(TRANS32_DEP_2)
	v_ldexp_f32 v27, v27, v62
	v_exp_f32_e32 v29, v29
	v_cvt_i32_f32_e32 v66, v66
	v_cndmask_b32_e32 v6, 0x7f800000, v18, vcc_lo
	v_cmp_ngt_f32_e32 vcc_lo, 0xc2ce8ed0, v8
	v_ldexp_f32 v28, v28, v64
	v_exp_f32_e32 v30, v30
	v_cvt_i32_f32_e32 v68, v68
	v_add_f32_e32 v16, v16, v6
	v_cndmask_b32_e32 v18, 0, v24, vcc_lo
	v_cmp_nlt_f32_e32 vcc_lo, 0x42b17218, v7
	v_ldexp_f32 v29, v29, v66
	v_exp_f32_e32 v31, v31
	v_cvt_i32_f32_e32 v70, v70
	v_cndmask_b32_e32 v7, 0x7f800000, v17, vcc_lo
	v_cmp_ngt_f32_e32 vcc_lo, 0xc2ce8ed0, v9
	v_ldexp_f32 v30, v30, v68
	s_delay_alu instid0(VALU_DEP_3) | instskip(SKIP_1) | instid1(TRANS32_DEP_1)
	v_dual_add_f32 v16, v16, v7 :: v_dual_cndmask_b32 v17, 0, v25
	v_cmp_nlt_f32_e32 vcc_lo, 0x42b17218, v8
	v_ldexp_f32 v31, v31, v70
	v_cndmask_b32_e32 v8, 0x7f800000, v18, vcc_lo
	v_cmp_ngt_f32_e32 vcc_lo, 0xc2ce8ed0, v10
	s_delay_alu instid0(VALU_DEP_2) | instskip(SKIP_4) | instid1(VALU_DEP_2)
	v_add_f32_e32 v16, v16, v8
	v_cndmask_b32_e32 v18, 0, v26, vcc_lo
	v_cmp_nlt_f32_e32 vcc_lo, 0x42b17218, v9
	v_cndmask_b32_e32 v9, 0x7f800000, v17, vcc_lo
	v_cmp_ngt_f32_e32 vcc_lo, 0xc2ce8ed0, v11
	v_dual_add_f32 v16, v16, v9 :: v_dual_cndmask_b32 v17, 0, v27
	v_cmp_nlt_f32_e32 vcc_lo, 0x42b17218, v10
	v_cndmask_b32_e32 v10, 0x7f800000, v18, vcc_lo
	v_cmp_ngt_f32_e32 vcc_lo, 0xc2ce8ed0, v12
	s_delay_alu instid0(VALU_DEP_2)
	v_add_f32_e32 v16, v16, v10
	v_cndmask_b32_e32 v18, 0, v28, vcc_lo
	v_cmp_nlt_f32_e32 vcc_lo, 0x42b17218, v11
	v_cndmask_b32_e32 v11, 0x7f800000, v17, vcc_lo
	v_cmp_ngt_f32_e32 vcc_lo, 0xc2ce8ed0, v13
	v_cndmask_b32_e32 v17, 0, v29, vcc_lo
	v_cmp_nlt_f32_e32 vcc_lo, 0x42b17218, v12
	v_cndmask_b32_e32 v12, 0x7f800000, v18, vcc_lo
	v_cmp_ngt_f32_e32 vcc_lo, 0xc2ce8ed0, v14
	v_cndmask_b32_e32 v18, 0, v30, vcc_lo
	v_cmp_nlt_f32_e32 vcc_lo, 0x42b17218, v13
	v_dual_add_f32 v16, v16, v11 :: v_dual_cndmask_b32 v13, 0x7f800000, v17
	v_cmp_ngt_f32_e32 vcc_lo, 0xc2ce8ed0, v15
	s_delay_alu instid0(VALU_DEP_2) | instskip(SKIP_1) | instid1(VALU_DEP_2)
	v_dual_add_f32 v16, v16, v12 :: v_dual_cndmask_b32 v17, 0, v31
	v_cmp_nlt_f32_e32 vcc_lo, 0x42b17218, v14
	v_add_f32_e32 v16, v16, v13
	v_cndmask_b32_e32 v14, 0x7f800000, v18, vcc_lo
	v_cmp_nlt_f32_e32 vcc_lo, 0x42b17218, v15
	s_delay_alu instid0(VALU_DEP_2) | instskip(NEXT) | instid1(VALU_DEP_1)
	v_dual_add_f32 v16, v16, v14 :: v_dual_cndmask_b32 v15, 0x7f800000, v17
	v_add_f32_e32 v16, v16, v15
	ds_bpermute_b32 v17, v34, v16
	s_waitcnt lgkmcnt(0)
	v_add_f32_e32 v16, v16, v17
	ds_bpermute_b32 v17, v35, v16
	s_waitcnt lgkmcnt(0)
	;; [unrolled: 3-line block ×5, first 2 shown]
	v_add_f32_e32 v16, v16, v17
	s_delay_alu instid0(VALU_DEP_1) | instskip(SKIP_1) | instid1(VALU_DEP_2)
	v_div_scale_f32 v17, null, v16, v16, 1.0
	v_div_scale_f32 v20, vcc_lo, 1.0, v16, 1.0
	v_rcp_f32_e32 v18, v17
	s_waitcnt_depctr 0xfff
	v_fma_f32 v19, -v17, v18, 1.0
	s_delay_alu instid0(VALU_DEP_1) | instskip(NEXT) | instid1(VALU_DEP_1)
	v_fmac_f32_e32 v18, v19, v18
	v_mul_f32_e32 v19, v20, v18
	s_delay_alu instid0(VALU_DEP_1) | instskip(NEXT) | instid1(VALU_DEP_1)
	v_fma_f32 v21, -v17, v19, v20
	v_fmac_f32_e32 v19, v21, v18
	s_delay_alu instid0(VALU_DEP_1) | instskip(NEXT) | instid1(VALU_DEP_1)
	v_fma_f32 v17, -v17, v19, v20
	v_div_fmas_f32 v17, v17, v18, v19
	s_delay_alu instid0(VALU_DEP_1) | instskip(NEXT) | instid1(VALU_DEP_1)
	v_div_fixup_f32 v16, v17, v16, 1.0
	v_mul_f32_e32 v5, v16, v5
	v_mul_f32_e32 v0, v16, v0
	;; [unrolled: 1-line block ×6, first 2 shown]
	v_cmp_class_f32_e64 vcc_lo, v0, 0x1f8
	v_mul_f32_e32 v13, v16, v13
	v_mul_f32_e32 v4, v16, v4
	;; [unrolled: 1-line block ×3, first 2 shown]
	v_dual_mul_f32 v7, v16, v7 :: v_dual_cndmask_b32 v0, 0, v0
	v_cmp_class_f32_e64 vcc_lo, v1, 0x1f8
	v_mul_f32_e32 v8, v16, v8
	v_mul_f32_e32 v10, v16, v10
	;; [unrolled: 1-line block ×3, first 2 shown]
	v_dual_mul_f32 v14, v16, v14 :: v_dual_cndmask_b32 v1, 0, v1
	v_cmp_class_f32_e64 vcc_lo, v2, 0x1f8
	v_dual_mul_f32 v11, v16, v11 :: v_dual_cndmask_b32 v2, 0, v2
	v_cmp_class_f32_e64 vcc_lo, v3, 0x1f8
	v_cndmask_b32_e32 v3, 0, v3, vcc_lo
	v_cmp_class_f32_e64 vcc_lo, v4, 0x1f8
	v_cndmask_b32_e32 v4, 0, v4, vcc_lo
	;; [unrolled: 2-line block ×3, first 2 shown]
	v_cmp_class_f32_e64 vcc_lo, v6, 0x1f8
	v_dual_mul_f32 v15, v16, v15 :: v_dual_cndmask_b32 v6, 0, v6
	v_cmp_class_f32_e64 vcc_lo, v7, 0x1f8
	v_cndmask_b32_e32 v7, 0, v7, vcc_lo
	v_cmp_class_f32_e64 vcc_lo, v8, 0x1f8
	v_cndmask_b32_e32 v8, 0, v8, vcc_lo
	;; [unrolled: 2-line block ×9, first 2 shown]
	s_cbranch_scc1 .LBB19_35
; %bb.4:
	v_lshlrev_b32_e32 v28, 2, v39
	s_clause 0x3
	global_load_b128 v[16:19], v28, s[2:3]
	global_load_b128 v[20:23], v28, s[2:3] offset:512
	global_load_b128 v[24:27], v28, s[2:3] offset:1024
	;; [unrolled: 1-line block ×3, first 2 shown]
	s_waitcnt vmcnt(3)
	v_dual_add_f32 v17, v17, v1 :: v_dual_add_f32 v16, v16, v0
	v_dual_add_f32 v19, v19, v3 :: v_dual_add_f32 v18, v18, v2
	s_waitcnt vmcnt(2)
	v_dual_add_f32 v21, v21, v5 :: v_dual_add_f32 v20, v20, v4
	v_dual_add_f32 v23, v23, v7 :: v_dual_add_f32 v22, v22, v6
	;; [unrolled: 3-line block ×4, first 2 shown]
	s_cbranch_execnz .LBB19_6
.LBB19_5:
	v_dual_mov_b32 v31, v15 :: v_dual_mov_b32 v30, v14
	v_dual_mov_b32 v29, v13 :: v_dual_mov_b32 v28, v12
	;; [unrolled: 1-line block ×8, first 2 shown]
.LBB19_6:
	s_load_b128 s[4:7], s[0:1], 0x30
	v_cmp_eq_u32_e64 s2, 0, v33
	s_waitcnt lgkmcnt(0)
	s_bitcmp1_b32 s7, 0
	s_mov_b32 s7, 0
	s_cselect_b32 vcc_lo, -1, 0
	s_cmp_gt_i32 s4, 0
	s_cselect_b32 s3, -1, 0
	s_cmp_lt_i32 s4, 1
	s_cbranch_scc1 .LBB19_36
; %bb.7:
	s_load_b128 s[8:11], s[0:1], 0x20
	v_mul_lo_u32 v41, v32, s4
	v_mov_b32_e32 v40, 0
	v_mov_b32_e32 v42, v32
	s_branch .LBB19_10
.LBB19_8:                               ;   in Loop: Header=BB19_10 Depth=1
	s_or_b32 exec_lo, exec_lo, s1
.LBB19_9:                               ;   in Loop: Header=BB19_10 Depth=1
	v_add_nc_u32_e32 v42, s14, v42
	s_cmp_eq_u32 s4, s7
	s_cbranch_scc1 .LBB19_37
.LBB19_10:                              ; =>This Inner Loop Header: Depth=1
	v_cmp_gt_f32_e64 s0, v17, v16
	s_mov_b32 s17, exec_lo
	s_delay_alu instid0(VALU_DEP_1) | instskip(SKIP_2) | instid1(VALU_DEP_3)
	v_cndmask_b32_e64 v43, v16, v17, s0
	v_cndmask_b32_e64 v44, 0, 1, s0
	;; [unrolled: 1-line block ×3, first 2 shown]
	v_cmp_gt_f32_e64 s1, v18, v43
	s_delay_alu instid0(VALU_DEP_1) | instskip(NEXT) | instid1(VALU_DEP_4)
	v_cndmask_b32_e64 v43, v43, v18, s1
	v_cndmask_b32_e64 v44, v44, 2, s1
	s_delay_alu instid0(VALU_DEP_4) | instskip(NEXT) | instid1(VALU_DEP_3)
	v_cndmask_b32_e64 v45, v45, v2, s1
	v_cmp_gt_f32_e64 s0, v19, v43
	s_delay_alu instid0(VALU_DEP_1) | instskip(NEXT) | instid1(VALU_DEP_4)
	v_cndmask_b32_e64 v43, v43, v19, s0
	v_cndmask_b32_e64 v44, v44, 3, s0
	s_delay_alu instid0(VALU_DEP_4) | instskip(NEXT) | instid1(VALU_DEP_3)
	v_cndmask_b32_e64 v45, v45, v3, s0
	;; [unrolled: 6-line block ×12, first 2 shown]
	v_cmp_gt_f32_e64 s1, v30, v43
	s_delay_alu instid0(VALU_DEP_1) | instskip(NEXT) | instid1(VALU_DEP_4)
	v_cndmask_b32_e64 v43, v43, v30, s1
	v_cndmask_b32_e64 v44, v44, 0x182, s1
	s_waitcnt lgkmcnt(0)
	v_cndmask_b32_e64 v46, v45, v14, s1
	s_delay_alu instid0(VALU_DEP_3) | instskip(NEXT) | instid1(VALU_DEP_1)
	v_cmp_gt_f32_e64 s0, v31, v43
	v_cndmask_b32_e64 v45, v43, v31, s0
	v_cndmask_b32_e64 v43, v44, 0x183, s0
	s_delay_alu instid0(VALU_DEP_4)
	v_cndmask_b32_e64 v44, v46, v15, s0
	ds_bpermute_b32 v46, v34, v45
	v_or_b32_e32 v43, v39, v43
	ds_bpermute_b32 v48, v34, v44
	ds_bpermute_b32 v47, v34, v43
	s_waitcnt lgkmcnt(0)
	v_cmp_lt_f32_e64 s16, v45, v46
	v_cmpx_nlt_f32_e32 v45, v46
; %bb.11:                               ;   in Loop: Header=BB19_10 Depth=1
	v_cmp_eq_f32_e64 s0, v45, v46
	v_cmp_lt_i32_e64 s1, v47, v43
	s_delay_alu instid0(VALU_DEP_1) | instskip(SKIP_2) | instid1(SALU_CYCLE_1)
	s_and_b32 s0, s0, s1
	s_and_not1_b32 s1, s16, exec_lo
	s_and_b32 s0, s0, exec_lo
	s_or_b32 s16, s1, s0
; %bb.12:                               ;   in Loop: Header=BB19_10 Depth=1
	s_or_b32 exec_lo, exec_lo, s17
	s_and_saveexec_b32 s0, s16
; %bb.13:                               ;   in Loop: Header=BB19_10 Depth=1
	v_dual_mov_b32 v44, v48 :: v_dual_mov_b32 v45, v46
	v_mov_b32_e32 v43, v47
; %bb.14:                               ;   in Loop: Header=BB19_10 Depth=1
	s_or_b32 exec_lo, exec_lo, s0
	ds_bpermute_b32 v47, v35, v45
	ds_bpermute_b32 v48, v35, v44
	;; [unrolled: 1-line block ×3, first 2 shown]
	s_mov_b32 s17, exec_lo
	s_waitcnt lgkmcnt(2)
	v_cmp_lt_f32_e64 s16, v45, v47
	v_cmpx_nlt_f32_e32 v45, v47
	s_cbranch_execz .LBB19_16
; %bb.15:                               ;   in Loop: Header=BB19_10 Depth=1
	v_cmp_eq_f32_e64 s0, v45, v47
	s_waitcnt lgkmcnt(0)
	v_cmp_lt_i32_e64 s1, v46, v43
	s_delay_alu instid0(VALU_DEP_1) | instskip(SKIP_2) | instid1(SALU_CYCLE_1)
	s_and_b32 s0, s0, s1
	s_and_not1_b32 s1, s16, exec_lo
	s_and_b32 s0, s0, exec_lo
	s_or_b32 s16, s1, s0
.LBB19_16:                              ;   in Loop: Header=BB19_10 Depth=1
	s_or_b32 exec_lo, exec_lo, s17
	s_delay_alu instid0(VALU_DEP_2)
	s_and_saveexec_b32 s0, s16
	s_cbranch_execz .LBB19_18
; %bb.17:                               ;   in Loop: Header=BB19_10 Depth=1
	s_waitcnt lgkmcnt(1)
	v_dual_mov_b32 v44, v48 :: v_dual_mov_b32 v45, v47
	s_waitcnt lgkmcnt(0)
	v_mov_b32_e32 v43, v46
.LBB19_18:                              ;   in Loop: Header=BB19_10 Depth=1
	s_or_b32 exec_lo, exec_lo, s0
	ds_bpermute_b32 v47, v36, v45
	s_waitcnt lgkmcnt(2)
	ds_bpermute_b32 v48, v36, v44
	s_waitcnt lgkmcnt(2)
	ds_bpermute_b32 v46, v36, v43
	s_mov_b32 s17, exec_lo
	s_waitcnt lgkmcnt(2)
	v_cmp_lt_f32_e64 s16, v45, v47
	v_cmpx_nlt_f32_e32 v45, v47
	s_cbranch_execz .LBB19_20
; %bb.19:                               ;   in Loop: Header=BB19_10 Depth=1
	v_cmp_eq_f32_e64 s0, v45, v47
	s_waitcnt lgkmcnt(0)
	v_cmp_lt_i32_e64 s1, v46, v43
	s_delay_alu instid0(VALU_DEP_1) | instskip(SKIP_2) | instid1(SALU_CYCLE_1)
	s_and_b32 s0, s0, s1
	s_and_not1_b32 s1, s16, exec_lo
	s_and_b32 s0, s0, exec_lo
	s_or_b32 s16, s1, s0
.LBB19_20:                              ;   in Loop: Header=BB19_10 Depth=1
	s_or_b32 exec_lo, exec_lo, s17
	s_delay_alu instid0(VALU_DEP_2)
	s_and_saveexec_b32 s0, s16
	s_cbranch_execz .LBB19_22
; %bb.21:                               ;   in Loop: Header=BB19_10 Depth=1
	s_waitcnt lgkmcnt(1)
	v_dual_mov_b32 v44, v48 :: v_dual_mov_b32 v45, v47
	s_waitcnt lgkmcnt(0)
	v_mov_b32_e32 v43, v46
.LBB19_22:                              ;   in Loop: Header=BB19_10 Depth=1
	s_or_b32 exec_lo, exec_lo, s0
	ds_bpermute_b32 v47, v37, v45
	s_waitcnt lgkmcnt(2)
	ds_bpermute_b32 v48, v37, v44
	s_waitcnt lgkmcnt(2)
	ds_bpermute_b32 v46, v37, v43
	s_mov_b32 s17, exec_lo
	s_waitcnt lgkmcnt(2)
	v_cmp_lt_f32_e64 s16, v45, v47
	v_cmpx_nlt_f32_e32 v45, v47
	s_cbranch_execz .LBB19_24
; %bb.23:                               ;   in Loop: Header=BB19_10 Depth=1
	v_cmp_eq_f32_e64 s0, v45, v47
	s_waitcnt lgkmcnt(0)
	v_cmp_lt_i32_e64 s1, v46, v43
	s_delay_alu instid0(VALU_DEP_1) | instskip(SKIP_2) | instid1(SALU_CYCLE_1)
	s_and_b32 s0, s0, s1
	s_and_not1_b32 s1, s16, exec_lo
	s_and_b32 s0, s0, exec_lo
	s_or_b32 s16, s1, s0
.LBB19_24:                              ;   in Loop: Header=BB19_10 Depth=1
	s_or_b32 exec_lo, exec_lo, s17
	s_delay_alu instid0(VALU_DEP_2)
	s_and_saveexec_b32 s0, s16
	s_cbranch_execz .LBB19_26
; %bb.25:                               ;   in Loop: Header=BB19_10 Depth=1
	s_waitcnt lgkmcnt(1)
	v_dual_mov_b32 v44, v48 :: v_dual_mov_b32 v45, v47
	s_waitcnt lgkmcnt(0)
	v_mov_b32_e32 v43, v46
.LBB19_26:                              ;   in Loop: Header=BB19_10 Depth=1
	s_or_b32 exec_lo, exec_lo, s0
	s_waitcnt lgkmcnt(1)
	ds_bpermute_b32 v48, v38, v45
	ds_bpermute_b32 v47, v38, v44
	s_waitcnt lgkmcnt(2)
	ds_bpermute_b32 v46, v38, v43
	s_mov_b32 s17, exec_lo
	s_waitcnt lgkmcnt(2)
	v_cmp_lt_f32_e64 s16, v45, v48
	v_cmpx_nlt_f32_e32 v45, v48
	s_cbranch_execnz .LBB19_30
; %bb.27:                               ;   in Loop: Header=BB19_10 Depth=1
	s_or_b32 exec_lo, exec_lo, s17
	s_delay_alu instid0(VALU_DEP_2)
	s_and_saveexec_b32 s0, s16
	s_cbranch_execnz .LBB19_31
.LBB19_28:                              ;   in Loop: Header=BB19_10 Depth=1
	s_or_b32 exec_lo, exec_lo, s0
	s_and_saveexec_b32 s16, s2
	s_cbranch_execnz .LBB19_32
.LBB19_29:                              ;   in Loop: Header=BB19_10 Depth=1
	s_or_b32 exec_lo, exec_lo, s16
	s_add_i32 s7, s7, 1
	s_delay_alu instid0(SALU_CYCLE_1)
	s_cmp_ge_i32 s7, s4
	s_cbranch_scc1 .LBB19_9
	s_branch .LBB19_33
.LBB19_30:                              ;   in Loop: Header=BB19_10 Depth=1
	v_cmp_eq_f32_e64 s0, v45, v48
	s_waitcnt lgkmcnt(0)
	v_cmp_lt_i32_e64 s1, v46, v43
	s_delay_alu instid0(VALU_DEP_1) | instskip(SKIP_2) | instid1(SALU_CYCLE_1)
	s_and_b32 s0, s0, s1
	s_and_not1_b32 s1, s16, exec_lo
	s_and_b32 s0, s0, exec_lo
	s_or_b32 s16, s1, s0
	s_or_b32 exec_lo, exec_lo, s17
	s_and_saveexec_b32 s0, s16
	s_cbranch_execz .LBB19_28
.LBB19_31:                              ;   in Loop: Header=BB19_10 Depth=1
	s_waitcnt lgkmcnt(0)
	v_dual_mov_b32 v44, v47 :: v_dual_mov_b32 v43, v46
	s_or_b32 exec_lo, exec_lo, s0
	s_and_saveexec_b32 s16, s2
	s_cbranch_execz .LBB19_29
.LBB19_32:                              ;   in Loop: Header=BB19_10 Depth=1
	s_delay_alu instid0(VALU_DEP_1)
	v_dual_add_f32 v52, v40, v44 :: v_dual_add_nc_u32 v45, s7, v41
	v_cmp_le_i32_e64 s0, s5, v43
	v_cmp_gt_i32_e64 s1, s6, v43
	s_waitcnt lgkmcnt(1)
	v_subrev_nc_u32_e32 v47, s5, v43
	s_waitcnt lgkmcnt(0)
	v_ashrrev_i32_e32 v46, 31, v45
	v_cndmask_b32_e32 v40, v40, v52, vcc_lo
	s_and_b32 s0, s0, s1
	s_delay_alu instid0(SALU_CYCLE_1) | instskip(NEXT) | instid1(VALU_DEP_2)
	s_and_b32 s0, s15, s0
	v_lshlrev_b64 v[45:46], 2, v[45:46]
	v_cndmask_b32_e64 v51, 0x200, v47, s0
	s_delay_alu instid0(VALU_DEP_2) | instskip(NEXT) | instid1(VALU_DEP_1)
	v_add_co_u32 v47, s0, s12, v45
	v_add_co_ci_u32_e64 v48, s0, s13, v46, s0
	v_add_co_u32 v49, s0, s8, v45
	s_delay_alu instid0(VALU_DEP_1) | instskip(SKIP_1) | instid1(VALU_DEP_1)
	v_add_co_ci_u32_e64 v50, s0, s9, v46, s0
	v_add_co_u32 v45, s0, s10, v45
	v_add_co_ci_u32_e64 v46, s0, s11, v46, s0
	global_store_b32 v[47:48], v44, off
	global_store_b32 v[49:50], v51, off
	;; [unrolled: 1-line block ×3, first 2 shown]
	s_or_b32 exec_lo, exec_lo, s16
	s_add_i32 s7, s7, 1
	s_delay_alu instid0(SALU_CYCLE_1)
	s_cmp_ge_i32 s7, s4
	s_cbranch_scc1 .LBB19_9
.LBB19_33:                              ;   in Loop: Header=BB19_10 Depth=1
	v_ashrrev_i32_e32 v44, 31, v43
	s_mov_b32 s1, exec_lo
	s_delay_alu instid0(VALU_DEP_1) | instskip(NEXT) | instid1(VALU_DEP_1)
	v_lshrrev_b32_e32 v45, 30, v44
	v_add_nc_u32_e32 v45, v43, v45
	s_waitcnt lgkmcnt(0)
	s_delay_alu instid0(VALU_DEP_1) | instskip(SKIP_1) | instid1(VALU_DEP_2)
	v_ashrrev_i32_e32 v46, 31, v45
	v_ashrrev_i32_e32 v45, 2, v45
	v_lshrrev_b32_e32 v46, 27, v46
	s_delay_alu instid0(VALU_DEP_1) | instskip(NEXT) | instid1(VALU_DEP_1)
	v_add_nc_u32_e32 v46, v45, v46
	v_and_b32_e32 v46, 0xffffffe0, v46
	s_delay_alu instid0(VALU_DEP_1) | instskip(NEXT) | instid1(VALU_DEP_1)
	v_sub_nc_u32_e32 v46, v45, v46
	v_cmpx_eq_u32_e64 v33, v46
	s_cbranch_execz .LBB19_8
; %bb.34:                               ;   in Loop: Header=BB19_10 Depth=1
	v_lshrrev_b32_e32 v44, 25, v44
	v_lshlrev_b32_e32 v45, 2, v45
	s_delay_alu instid0(VALU_DEP_2) | instskip(NEXT) | instid1(VALU_DEP_2)
	v_add_nc_u32_e32 v44, v43, v44
	v_sub_nc_u32_e32 v43, v43, v45
	s_delay_alu instid0(VALU_DEP_2) | instskip(NEXT) | instid1(VALU_DEP_1)
	v_ashrrev_i32_e32 v44, 7, v44
	v_lshl_add_u32 v43, v44, 2, v43
	s_delay_alu instid0(VALU_DEP_1) | instskip(NEXT) | instid1(VALU_DEP_1)
	v_cmp_ne_u32_e64 s0, 15, v43
	v_cndmask_b32_e64 v31, 0xc61c4000, v31, s0
	v_cmp_ne_u32_e64 s0, 14, v43
	s_delay_alu instid0(VALU_DEP_1) | instskip(SKIP_1) | instid1(VALU_DEP_1)
	v_cndmask_b32_e64 v30, 0xc61c4000, v30, s0
	v_cmp_ne_u32_e64 s0, 13, v43
	v_cndmask_b32_e64 v29, 0xc61c4000, v29, s0
	v_cmp_ne_u32_e64 s0, 12, v43
	s_delay_alu instid0(VALU_DEP_1) | instskip(SKIP_1) | instid1(VALU_DEP_1)
	v_cndmask_b32_e64 v28, 0xc61c4000, v28, s0
	;; [unrolled: 5-line block ×7, first 2 shown]
	v_cmp_ne_u32_e64 s0, 1, v43
	v_cndmask_b32_e64 v17, 0xc61c4000, v17, s0
	v_cmp_ne_u32_e64 s0, 0, v43
	s_delay_alu instid0(VALU_DEP_1)
	v_cndmask_b32_e64 v16, 0xc61c4000, v16, s0
	s_branch .LBB19_8
.LBB19_35:
                                        ; implicit-def: $vgpr16_vgpr17_vgpr18_vgpr19_vgpr20_vgpr21_vgpr22_vgpr23_vgpr24_vgpr25_vgpr26_vgpr27_vgpr28_vgpr29_vgpr30_vgpr31
	s_and_not1_b32 vcc_lo, exec_lo, s8
	s_cbranch_vccz .LBB19_5
	s_branch .LBB19_6
.LBB19_36:
	v_mov_b32_e32 v40, 0
.LBB19_37:
	v_cmp_eq_u32_e64 s0, 0, v33
	s_delay_alu instid0(VALU_DEP_1) | instskip(NEXT) | instid1(SALU_CYCLE_1)
	s_and_b32 s0, s0, vcc_lo
	s_and_b32 exec_lo, exec_lo, s0
	s_cbranch_execz .LBB19_41
; %bb.38:
	s_and_not1_b32 vcc_lo, exec_lo, s3
	s_cbranch_vccnz .LBB19_41
; %bb.39:
	v_mul_lo_u32 v0, v32, s4
	v_cmp_lt_f32_e32 vcc_lo, 0, v40
	v_cndmask_b32_e32 v2, 1.0, v40, vcc_lo
	s_delay_alu instid0(VALU_DEP_3) | instskip(NEXT) | instid1(VALU_DEP_1)
	v_ashrrev_i32_e32 v1, 31, v0
	v_lshlrev_b64 v[0:1], 2, v[0:1]
	s_delay_alu instid0(VALU_DEP_1) | instskip(NEXT) | instid1(VALU_DEP_2)
	v_add_co_u32 v0, vcc_lo, s12, v0
	v_add_co_ci_u32_e32 v1, vcc_lo, s13, v1, vcc_lo
	.p2align	6
.LBB19_40:                              ; =>This Inner Loop Header: Depth=1
	global_load_b32 v3, v[0:1], off
	s_add_i32 s4, s4, -1
	s_delay_alu instid0(SALU_CYCLE_1) | instskip(SKIP_3) | instid1(VALU_DEP_2)
	s_cmp_lg_u32 s4, 0
	s_waitcnt vmcnt(0)
	v_div_scale_f32 v4, null, v2, v2, v3
	v_div_scale_f32 v7, vcc_lo, v3, v2, v3
	v_rcp_f32_e32 v5, v4
	s_waitcnt_depctr 0xfff
	v_fma_f32 v6, -v4, v5, 1.0
	s_delay_alu instid0(VALU_DEP_1) | instskip(NEXT) | instid1(VALU_DEP_1)
	v_fmac_f32_e32 v5, v6, v5
	v_mul_f32_e32 v6, v7, v5
	s_delay_alu instid0(VALU_DEP_1) | instskip(NEXT) | instid1(VALU_DEP_1)
	v_fma_f32 v8, -v4, v6, v7
	v_fmac_f32_e32 v6, v8, v5
	s_delay_alu instid0(VALU_DEP_1) | instskip(NEXT) | instid1(VALU_DEP_1)
	v_fma_f32 v4, -v4, v6, v7
	v_div_fmas_f32 v4, v4, v5, v6
	s_delay_alu instid0(VALU_DEP_1)
	v_div_fixup_f32 v3, v4, v2, v3
	global_store_b32 v[0:1], v3, off
	v_add_co_u32 v0, vcc_lo, v0, 4
	v_add_co_ci_u32_e32 v1, vcc_lo, 0, v1, vcc_lo
	s_cbranch_scc1 .LBB19_40
.LBB19_41:
	s_nop 0
	s_sendmsg sendmsg(MSG_DEALLOC_VGPRS)
	s_endpgm
	.section	.rodata,"a",@progbits
	.p2align	6, 0x0
	.amdhsa_kernel _ZN4vllm3moe10topkGatingILi16ELi512ELi4ELi16ELi32EifLNS0_11ScoringFuncE0EEEvPKT5_PKbPfiPT4_PiiiibPKf
		.amdhsa_group_segment_fixed_size 0
		.amdhsa_private_segment_fixed_size 0
		.amdhsa_kernarg_size 72
		.amdhsa_user_sgpr_count 15
		.amdhsa_user_sgpr_dispatch_ptr 0
		.amdhsa_user_sgpr_queue_ptr 0
		.amdhsa_user_sgpr_kernarg_segment_ptr 1
		.amdhsa_user_sgpr_dispatch_id 0
		.amdhsa_user_sgpr_private_segment_size 0
		.amdhsa_wavefront_size32 1
		.amdhsa_uses_dynamic_stack 0
		.amdhsa_enable_private_segment 0
		.amdhsa_system_sgpr_workgroup_id_x 1
		.amdhsa_system_sgpr_workgroup_id_y 0
		.amdhsa_system_sgpr_workgroup_id_z 0
		.amdhsa_system_sgpr_workgroup_info 0
		.amdhsa_system_vgpr_workitem_id 1
		.amdhsa_next_free_vgpr 71
		.amdhsa_next_free_sgpr 18
		.amdhsa_reserve_vcc 1
		.amdhsa_float_round_mode_32 0
		.amdhsa_float_round_mode_16_64 0
		.amdhsa_float_denorm_mode_32 3
		.amdhsa_float_denorm_mode_16_64 3
		.amdhsa_dx10_clamp 1
		.amdhsa_ieee_mode 1
		.amdhsa_fp16_overflow 0
		.amdhsa_workgroup_processor_mode 1
		.amdhsa_memory_ordered 1
		.amdhsa_forward_progress 0
		.amdhsa_shared_vgpr_count 0
		.amdhsa_exception_fp_ieee_invalid_op 0
		.amdhsa_exception_fp_denorm_src 0
		.amdhsa_exception_fp_ieee_div_zero 0
		.amdhsa_exception_fp_ieee_overflow 0
		.amdhsa_exception_fp_ieee_underflow 0
		.amdhsa_exception_fp_ieee_inexact 0
		.amdhsa_exception_int_div_zero 0
	.end_amdhsa_kernel
	.section	.text._ZN4vllm3moe10topkGatingILi16ELi512ELi4ELi16ELi32EifLNS0_11ScoringFuncE0EEEvPKT5_PKbPfiPT4_PiiiibPKf,"axG",@progbits,_ZN4vllm3moe10topkGatingILi16ELi512ELi4ELi16ELi32EifLNS0_11ScoringFuncE0EEEvPKT5_PKbPfiPT4_PiiiibPKf,comdat
.Lfunc_end19:
	.size	_ZN4vllm3moe10topkGatingILi16ELi512ELi4ELi16ELi32EifLNS0_11ScoringFuncE0EEEvPKT5_PKbPfiPT4_PiiiibPKf, .Lfunc_end19-_ZN4vllm3moe10topkGatingILi16ELi512ELi4ELi16ELi32EifLNS0_11ScoringFuncE0EEEvPKT5_PKbPfiPT4_PiiiibPKf
                                        ; -- End function
	.section	.AMDGPU.csdata,"",@progbits
; Kernel info:
; codeLenInByte = 5152
; NumSgprs: 20
; NumVgprs: 71
; ScratchSize: 0
; MemoryBound: 0
; FloatMode: 240
; IeeeMode: 1
; LDSByteSize: 0 bytes/workgroup (compile time only)
; SGPRBlocks: 2
; VGPRBlocks: 8
; NumSGPRsForWavesPerEU: 20
; NumVGPRsForWavesPerEU: 71
; Occupancy: 16
; WaveLimiterHint : 1
; COMPUTE_PGM_RSRC2:SCRATCH_EN: 0
; COMPUTE_PGM_RSRC2:USER_SGPR: 15
; COMPUTE_PGM_RSRC2:TRAP_HANDLER: 0
; COMPUTE_PGM_RSRC2:TGID_X_EN: 1
; COMPUTE_PGM_RSRC2:TGID_Y_EN: 0
; COMPUTE_PGM_RSRC2:TGID_Z_EN: 0
; COMPUTE_PGM_RSRC2:TIDIG_COMP_CNT: 1
	.section	.text._ZN4vllm3moe10moeSoftmaxILi256EfEEvPKT0_PKbPfi,"axG",@progbits,_ZN4vllm3moe10moeSoftmaxILi256EfEEvPKT0_PKbPfi,comdat
	.protected	_ZN4vllm3moe10moeSoftmaxILi256EfEEvPKT0_PKbPfi ; -- Begin function _ZN4vllm3moe10moeSoftmaxILi256EfEEvPKT0_PKbPfi
	.globl	_ZN4vllm3moe10moeSoftmaxILi256EfEEvPKT0_PKbPfi
	.p2align	8
	.type	_ZN4vllm3moe10moeSoftmaxILi256EfEEvPKT0_PKbPfi,@function
_ZN4vllm3moe10moeSoftmaxILi256EfEEvPKT0_PKbPfi: ; @_ZN4vllm3moe10moeSoftmaxILi256EfEEvPKT0_PKbPfi
; %bb.0:
	s_load_b128 s[8:11], s[0:1], 0x0
	s_waitcnt lgkmcnt(0)
	s_cmp_eq_u64 s[10:11], 0
	s_cselect_b32 s2, -1, 0
	s_delay_alu instid0(SALU_CYCLE_1)
	s_and_b32 vcc_lo, exec_lo, s2
	s_cbranch_vccnz .LBB20_2
; %bb.1:
	v_mov_b32_e32 v1, s15
	global_load_u8 v1, v1, s[10:11]
	s_waitcnt vmcnt(0)
	v_and_b32_e32 v1, 1, v1
	s_delay_alu instid0(VALU_DEP_1)
	v_cmp_eq_u32_e32 vcc_lo, 1, v1
	s_xor_b32 s2, vcc_lo, -1
.LBB20_2:
	s_delay_alu instid0(SALU_CYCLE_1)
	s_and_not1_b32 vcc_lo, exec_lo, s2
	s_cbranch_vccnz .LBB20_26
; %bb.3:
	s_clause 0x1
	s_load_b32 s5, s[0:1], 0x18
	s_load_b64 s[6:7], s[0:1], 0x10
	v_mov_b32_e32 v5, 0xff7fffff
	s_waitcnt lgkmcnt(0)
	s_mul_i32 s15, s15, s5
	v_cmp_gt_i32_e64 s0, s5, v0
	v_add_nc_u32_e32 v1, s15, v0
	s_delay_alu instid0(VALU_DEP_1) | instskip(NEXT) | instid1(VALU_DEP_3)
	v_ashrrev_i32_e32 v2, 31, v1
	s_and_saveexec_b32 s2, s0
	s_cbranch_execz .LBB20_7
; %bb.4:
	s_delay_alu instid0(VALU_DEP_1) | instskip(SKIP_2) | instid1(VALU_DEP_2)
	v_lshlrev_b64 v[3:4], 2, v[1:2]
	v_dual_mov_b32 v5, 0xff7fffff :: v_dual_mov_b32 v6, v0
	s_mov_b32 s3, 0
	v_add_co_u32 v3, vcc_lo, s8, v3
	s_delay_alu instid0(VALU_DEP_3)
	v_add_co_ci_u32_e32 v4, vcc_lo, s9, v4, vcc_lo
.LBB20_5:                               ; =>This Inner Loop Header: Depth=1
	global_load_b32 v7, v[3:4], off
	v_dual_max_f32 v5, v5, v5 :: v_dual_add_nc_u32 v6, 0x100, v6
	v_add_co_u32 v3, vcc_lo, 0x400, v3
	v_add_co_ci_u32_e32 v4, vcc_lo, 0, v4, vcc_lo
	s_delay_alu instid0(VALU_DEP_3) | instskip(NEXT) | instid1(VALU_DEP_1)
	v_cmp_le_i32_e64 s1, s5, v6
	s_or_b32 s3, s1, s3
	s_waitcnt vmcnt(0)
	v_max_f32_e32 v7, v7, v7
	s_delay_alu instid0(VALU_DEP_1)
	v_max_f32_e32 v5, v7, v5
	s_and_not1_b32 exec_lo, exec_lo, s3
	s_cbranch_execnz .LBB20_5
; %bb.6:
	s_or_b32 exec_lo, exec_lo, s3
.LBB20_7:
	s_delay_alu instid0(SALU_CYCLE_1) | instskip(SKIP_2) | instid1(VALU_DEP_2)
	s_or_b32 exec_lo, exec_lo, s2
	v_mov_b32_dpp v3, v5 quad_perm:[1,0,3,2] row_mask:0xf bank_mask:0xf
	v_lshrrev_b32_e32 v7, 3, v0
	v_cmp_gt_f32_e32 vcc_lo, v5, v3
	v_cndmask_b32_e32 v3, v3, v5, vcc_lo
	v_mbcnt_lo_u32_b32 v5, -1, 0
	s_delay_alu instid0(VALU_DEP_2) | instskip(NEXT) | instid1(VALU_DEP_1)
	v_mov_b32_dpp v4, v3 quad_perm:[2,3,0,1] row_mask:0xf bank_mask:0xf
	v_cmp_gt_f32_e32 vcc_lo, v3, v4
	v_cndmask_b32_e32 v3, v4, v3, vcc_lo
	s_delay_alu instid0(VALU_DEP_1) | instskip(NEXT) | instid1(VALU_DEP_1)
	v_mov_b32_dpp v4, v3 row_ror:4 row_mask:0xf bank_mask:0xf
	v_cmp_gt_f32_e32 vcc_lo, v3, v4
	v_cndmask_b32_e32 v3, v4, v3, vcc_lo
	s_delay_alu instid0(VALU_DEP_1) | instskip(NEXT) | instid1(VALU_DEP_1)
	v_mov_b32_dpp v4, v3 row_ror:8 row_mask:0xf bank_mask:0xf
	v_cmp_gt_f32_e32 vcc_lo, v3, v4
	v_cndmask_b32_e32 v3, v4, v3, vcc_lo
	ds_swizzle_b32 v4, v3 offset:swizzle(BROADCAST,32,15)
	s_waitcnt lgkmcnt(0)
	v_cmp_gt_f32_e32 vcc_lo, v3, v4
	v_dual_cndmask_b32 v3, v4, v3 :: v_dual_mov_b32 v4, 0
	v_cmp_eq_u32_e32 vcc_lo, 0, v5
	ds_bpermute_b32 v3, v4, v3 offset:124
	s_and_saveexec_b32 s1, vcc_lo
	s_cbranch_execz .LBB20_9
; %bb.8:
	v_and_b32_e32 v4, 28, v7
	s_waitcnt lgkmcnt(0)
	ds_store_b32 v4, v3
.LBB20_9:
	s_or_b32 exec_lo, exec_lo, s1
	v_cmp_gt_u32_e64 s1, 32, v0
	v_and_b32_e32 v6, 7, v5
	s_waitcnt lgkmcnt(0)
	s_barrier
	buffer_gl0_inv
	s_and_saveexec_b32 s3, s1
	s_cbranch_execz .LBB20_11
; %bb.10:
	v_lshlrev_b32_e32 v3, 2, v6
	v_cmp_ne_u32_e64 s2, 7, v6
	ds_load_b32 v3, v3
	v_add_co_ci_u32_e64 v4, s2, 0, v5, s2
	v_cmp_gt_u32_e64 s2, 6, v6
	s_delay_alu instid0(VALU_DEP_2) | instskip(NEXT) | instid1(VALU_DEP_2)
	v_lshlrev_b32_e32 v4, 2, v4
	v_cndmask_b32_e64 v8, 0, 1, s2
	s_delay_alu instid0(VALU_DEP_1) | instskip(NEXT) | instid1(VALU_DEP_1)
	v_lshlrev_b32_e32 v8, 1, v8
	v_add_lshl_u32 v8, v8, v5, 2
	s_waitcnt lgkmcnt(0)
	ds_bpermute_b32 v4, v4, v3
	s_waitcnt lgkmcnt(0)
	v_cmp_lt_f32_e64 s2, v3, v4
	s_delay_alu instid0(VALU_DEP_1) | instskip(SKIP_3) | instid1(VALU_DEP_1)
	v_cndmask_b32_e64 v3, v3, v4, s2
	v_cmp_gt_u32_e64 s2, 4, v6
	ds_bpermute_b32 v4, v8, v3
	v_cndmask_b32_e64 v8, 0, 1, s2
	v_lshlrev_b32_e32 v8, 2, v8
	s_delay_alu instid0(VALU_DEP_1) | instskip(SKIP_2) | instid1(VALU_DEP_1)
	v_add_lshl_u32 v8, v8, v5, 2
	s_waitcnt lgkmcnt(0)
	v_cmp_lt_f32_e64 s2, v3, v4
	v_cndmask_b32_e64 v3, v3, v4, s2
	ds_bpermute_b32 v4, v8, v3
	s_waitcnt lgkmcnt(0)
	v_cmp_lt_f32_e64 s2, v3, v4
	s_delay_alu instid0(VALU_DEP_1)
	v_cndmask_b32_e64 v3, v3, v4, s2
.LBB20_11:
	s_or_b32 exec_lo, exec_lo, s3
	v_cmp_eq_u32_e64 s2, 0, v0
	s_delay_alu instid0(VALU_DEP_1)
	s_and_saveexec_b32 s3, s2
	s_cbranch_execz .LBB20_13
; %bb.12:
	v_mov_b32_e32 v4, 0
	ds_store_b32 v4, v3 offset:36
.LBB20_13:
	s_or_b32 exec_lo, exec_lo, s3
	v_mov_b32_e32 v8, 0
	s_waitcnt lgkmcnt(0)
	s_barrier
	buffer_gl0_inv
	s_and_saveexec_b32 s10, s0
	s_cbranch_execz .LBB20_17
; %bb.14:
	v_mov_b32_e32 v8, 0
	v_lshlrev_b64 v[3:4], 2, v[1:2]
	v_mov_b32_e32 v10, v0
	s_mov_b32 s11, 0
	ds_load_b32 v9, v8 offset:36
	v_add_co_u32 v3, s3, s8, v3
	s_delay_alu instid0(VALU_DEP_1)
	v_add_co_ci_u32_e64 v4, s3, s9, v4, s3
	s_set_inst_prefetch_distance 0x1
	.p2align	6
.LBB20_15:                              ; =>This Inner Loop Header: Depth=1
	global_load_b32 v11, v[3:4], off
	v_add_nc_u32_e32 v10, 0x100, v10
	s_delay_alu instid0(VALU_DEP_1) | instskip(NEXT) | instid1(VALU_DEP_1)
	v_cmp_le_i32_e64 s4, s5, v10
	s_or_b32 s11, s4, s11
	s_waitcnt vmcnt(0) lgkmcnt(0)
	v_sub_f32_e32 v11, v11, v9
	s_delay_alu instid0(VALU_DEP_1) | instskip(NEXT) | instid1(VALU_DEP_1)
	v_mul_f32_e32 v12, 0x3fb8aa3b, v11
	v_fma_f32 v13, 0x3fb8aa3b, v11, -v12
	v_rndne_f32_e32 v14, v12
	s_delay_alu instid0(VALU_DEP_1) | instskip(SKIP_1) | instid1(VALU_DEP_2)
	v_dual_sub_f32 v12, v12, v14 :: v_dual_fmac_f32 v13, 0x32a5705f, v11
	v_cmp_ngt_f32_e64 s3, 0xc2ce8ed0, v11
	v_add_f32_e32 v12, v12, v13
	v_cvt_i32_f32_e32 v13, v14
	s_delay_alu instid0(VALU_DEP_2) | instskip(SKIP_2) | instid1(VALU_DEP_1)
	v_exp_f32_e32 v12, v12
	s_waitcnt_depctr 0xfff
	v_ldexp_f32 v12, v12, v13
	v_cndmask_b32_e64 v12, 0, v12, s3
	v_cmp_nlt_f32_e64 s3, 0x42b17218, v11
	s_delay_alu instid0(VALU_DEP_1) | instskip(SKIP_1) | instid1(VALU_DEP_1)
	v_cndmask_b32_e64 v11, 0x7f800000, v12, s3
	v_add_co_u32 v3, s3, 0x400, v3
	v_add_co_ci_u32_e64 v4, s3, 0, v4, s3
	s_delay_alu instid0(VALU_DEP_3)
	v_add_f32_e32 v8, v8, v11
	s_and_not1_b32 exec_lo, exec_lo, s11
	s_cbranch_execnz .LBB20_15
; %bb.16:
	s_set_inst_prefetch_distance 0x2
	s_or_b32 exec_lo, exec_lo, s11
.LBB20_17:
	s_delay_alu instid0(SALU_CYCLE_1) | instskip(SKIP_1) | instid1(VALU_DEP_1)
	s_or_b32 exec_lo, exec_lo, s10
	v_mov_b32_dpp v4, v8 quad_perm:[1,0,3,2] row_mask:0xf bank_mask:0xf
	v_dual_mov_b32 v3, 0x7c :: v_dual_add_f32 v4, v8, v4
	s_delay_alu instid0(VALU_DEP_1) | instskip(NEXT) | instid1(VALU_DEP_1)
	v_mov_b32_dpp v8, v4 quad_perm:[2,3,0,1] row_mask:0xf bank_mask:0xf
	v_add_f32_e32 v4, v4, v8
	s_delay_alu instid0(VALU_DEP_1) | instskip(NEXT) | instid1(VALU_DEP_1)
	v_mov_b32_dpp v8, v4 row_ror:4 row_mask:0xf bank_mask:0xf
	v_add_f32_e32 v4, v4, v8
	s_delay_alu instid0(VALU_DEP_1) | instskip(NEXT) | instid1(VALU_DEP_1)
	v_mov_b32_dpp v8, v4 row_ror:8 row_mask:0xf bank_mask:0xf
	v_add_f32_e32 v4, v4, v8
	ds_swizzle_b32 v8, v4 offset:swizzle(BROADCAST,32,15)
	s_waitcnt lgkmcnt(0)
	v_add_f32_e32 v4, v4, v8
	ds_bpermute_b32 v3, v3, v4
	s_and_saveexec_b32 s3, vcc_lo
	s_cbranch_execz .LBB20_19
; %bb.18:
	v_and_b32_e32 v4, 28, v7
	s_waitcnt lgkmcnt(0)
	ds_store_b32 v4, v3
.LBB20_19:
	s_or_b32 exec_lo, exec_lo, s3
	s_waitcnt lgkmcnt(0)
	s_barrier
	buffer_gl0_inv
	s_and_saveexec_b32 s3, s1
	s_cbranch_execz .LBB20_21
; %bb.20:
	v_lshlrev_b32_e32 v3, 2, v6
	v_cmp_ne_u32_e32 vcc_lo, 7, v6
	ds_load_b32 v3, v3
	v_add_co_ci_u32_e32 v4, vcc_lo, 0, v5, vcc_lo
	v_cmp_gt_u32_e32 vcc_lo, 6, v6
	s_delay_alu instid0(VALU_DEP_2) | instskip(SKIP_2) | instid1(VALU_DEP_2)
	v_lshlrev_b32_e32 v4, 2, v4
	v_cndmask_b32_e64 v7, 0, 1, vcc_lo
	v_cmp_gt_u32_e32 vcc_lo, 4, v6
	v_lshlrev_b32_e32 v7, 1, v7
	v_cndmask_b32_e64 v6, 0, 1, vcc_lo
	s_delay_alu instid0(VALU_DEP_2) | instskip(NEXT) | instid1(VALU_DEP_2)
	v_add_lshl_u32 v7, v7, v5, 2
	v_lshlrev_b32_e32 v6, 2, v6
	s_waitcnt lgkmcnt(0)
	ds_bpermute_b32 v4, v4, v3
	s_waitcnt lgkmcnt(0)
	v_add_f32_e32 v3, v3, v4
	ds_bpermute_b32 v4, v7, v3
	s_waitcnt lgkmcnt(0)
	v_add_f32_e32 v3, v3, v4
	v_add_lshl_u32 v4, v6, v5, 2
	ds_bpermute_b32 v4, v4, v3
	s_waitcnt lgkmcnt(0)
	v_add_f32_e32 v3, v3, v4
.LBB20_21:
	s_or_b32 exec_lo, exec_lo, s3
	s_and_saveexec_b32 s1, s2
	s_cbranch_execz .LBB20_23
; %bb.22:
	s_delay_alu instid0(VALU_DEP_1) | instskip(SKIP_1) | instid1(VALU_DEP_2)
	v_div_scale_f32 v4, null, v3, v3, 1.0
	v_div_scale_f32 v7, vcc_lo, 1.0, v3, 1.0
	v_rcp_f32_e32 v5, v4
	s_waitcnt_depctr 0xfff
	v_fma_f32 v6, -v4, v5, 1.0
	s_delay_alu instid0(VALU_DEP_1) | instskip(NEXT) | instid1(VALU_DEP_1)
	v_fmac_f32_e32 v5, v6, v5
	v_mul_f32_e32 v6, v7, v5
	s_delay_alu instid0(VALU_DEP_1) | instskip(NEXT) | instid1(VALU_DEP_1)
	v_fma_f32 v8, -v4, v6, v7
	v_fmac_f32_e32 v6, v8, v5
	s_delay_alu instid0(VALU_DEP_1) | instskip(NEXT) | instid1(VALU_DEP_1)
	v_fma_f32 v4, -v4, v6, v7
	v_div_fmas_f32 v4, v4, v5, v6
	s_delay_alu instid0(VALU_DEP_1)
	v_div_fixup_f32 v3, v4, v3, 1.0
	v_mov_b32_e32 v4, 0
	ds_store_b32 v4, v3 offset:32
.LBB20_23:
	s_or_b32 exec_lo, exec_lo, s1
	s_waitcnt lgkmcnt(0)
	s_barrier
	buffer_gl0_inv
	s_and_saveexec_b32 s1, s0
	s_cbranch_execz .LBB20_26
; %bb.24:
	v_mov_b32_e32 v3, 0
	v_lshlrev_b64 v[5:6], 2, v[1:2]
	s_mov_b32 s1, 0
	ds_load_b64 v[3:4], v3 offset:32
	v_add_co_u32 v1, vcc_lo, s8, v5
	v_add_co_ci_u32_e32 v2, vcc_lo, s9, v6, vcc_lo
	v_add_co_u32 v5, vcc_lo, s6, v5
	v_add_co_ci_u32_e32 v6, vcc_lo, s7, v6, vcc_lo
.LBB20_25:                              ; =>This Inner Loop Header: Depth=1
	global_load_b32 v7, v[1:2], off
	v_add_co_u32 v1, vcc_lo, 0x400, v1
	v_add_co_ci_u32_e32 v2, vcc_lo, 0, v2, vcc_lo
	s_waitcnt vmcnt(0) lgkmcnt(0)
	v_sub_f32_e32 v7, v7, v4
	s_delay_alu instid0(VALU_DEP_1) | instskip(NEXT) | instid1(VALU_DEP_1)
	v_mul_f32_e32 v8, 0x3fb8aa3b, v7
	v_fma_f32 v9, 0x3fb8aa3b, v7, -v8
	v_rndne_f32_e32 v10, v8
	s_delay_alu instid0(VALU_DEP_1) | instskip(SKIP_1) | instid1(VALU_DEP_2)
	v_dual_sub_f32 v8, v8, v10 :: v_dual_fmac_f32 v9, 0x32a5705f, v7
	v_cmp_ngt_f32_e64 s0, 0xc2ce8ed0, v7
	v_add_f32_e32 v8, v8, v9
	v_cvt_i32_f32_e32 v9, v10
	s_delay_alu instid0(VALU_DEP_2) | instskip(SKIP_2) | instid1(VALU_DEP_1)
	v_exp_f32_e32 v8, v8
	s_waitcnt_depctr 0xfff
	v_ldexp_f32 v8, v8, v9
	v_cndmask_b32_e64 v8, 0, v8, s0
	v_cmp_nlt_f32_e64 s0, 0x42b17218, v7
	s_delay_alu instid0(VALU_DEP_1) | instskip(NEXT) | instid1(VALU_DEP_1)
	v_cndmask_b32_e64 v7, 0x7f800000, v8, s0
	v_dual_mul_f32 v7, v3, v7 :: v_dual_add_nc_u32 v0, 0x100, v0
	s_delay_alu instid0(VALU_DEP_1) | instskip(NEXT) | instid1(VALU_DEP_2)
	v_cmp_le_i32_e32 vcc_lo, s5, v0
	v_cmp_class_f32_e64 s0, v7, 0x1f8
	s_or_b32 s1, vcc_lo, s1
	s_delay_alu instid0(VALU_DEP_1) | instskip(SKIP_2) | instid1(VALU_DEP_1)
	v_cndmask_b32_e64 v7, 0, v7, s0
	global_store_b32 v[5:6], v7, off
	v_add_co_u32 v5, s0, 0x400, v5
	v_add_co_ci_u32_e64 v6, s0, 0, v6, s0
	s_and_not1_b32 exec_lo, exec_lo, s1
	s_cbranch_execnz .LBB20_25
.LBB20_26:
	s_nop 0
	s_sendmsg sendmsg(MSG_DEALLOC_VGPRS)
	s_endpgm
	.section	.rodata,"a",@progbits
	.p2align	6, 0x0
	.amdhsa_kernel _ZN4vllm3moe10moeSoftmaxILi256EfEEvPKT0_PKbPfi
		.amdhsa_group_segment_fixed_size 40
		.amdhsa_private_segment_fixed_size 0
		.amdhsa_kernarg_size 28
		.amdhsa_user_sgpr_count 15
		.amdhsa_user_sgpr_dispatch_ptr 0
		.amdhsa_user_sgpr_queue_ptr 0
		.amdhsa_user_sgpr_kernarg_segment_ptr 1
		.amdhsa_user_sgpr_dispatch_id 0
		.amdhsa_user_sgpr_private_segment_size 0
		.amdhsa_wavefront_size32 1
		.amdhsa_uses_dynamic_stack 0
		.amdhsa_enable_private_segment 0
		.amdhsa_system_sgpr_workgroup_id_x 1
		.amdhsa_system_sgpr_workgroup_id_y 0
		.amdhsa_system_sgpr_workgroup_id_z 0
		.amdhsa_system_sgpr_workgroup_info 0
		.amdhsa_system_vgpr_workitem_id 0
		.amdhsa_next_free_vgpr 15
		.amdhsa_next_free_sgpr 16
		.amdhsa_reserve_vcc 1
		.amdhsa_float_round_mode_32 0
		.amdhsa_float_round_mode_16_64 0
		.amdhsa_float_denorm_mode_32 3
		.amdhsa_float_denorm_mode_16_64 3
		.amdhsa_dx10_clamp 1
		.amdhsa_ieee_mode 1
		.amdhsa_fp16_overflow 0
		.amdhsa_workgroup_processor_mode 1
		.amdhsa_memory_ordered 1
		.amdhsa_forward_progress 0
		.amdhsa_shared_vgpr_count 0
		.amdhsa_exception_fp_ieee_invalid_op 0
		.amdhsa_exception_fp_denorm_src 0
		.amdhsa_exception_fp_ieee_div_zero 0
		.amdhsa_exception_fp_ieee_overflow 0
		.amdhsa_exception_fp_ieee_underflow 0
		.amdhsa_exception_fp_ieee_inexact 0
		.amdhsa_exception_int_div_zero 0
	.end_amdhsa_kernel
	.section	.text._ZN4vllm3moe10moeSoftmaxILi256EfEEvPKT0_PKbPfi,"axG",@progbits,_ZN4vllm3moe10moeSoftmaxILi256EfEEvPKT0_PKbPfi,comdat
.Lfunc_end20:
	.size	_ZN4vllm3moe10moeSoftmaxILi256EfEEvPKT0_PKbPfi, .Lfunc_end20-_ZN4vllm3moe10moeSoftmaxILi256EfEEvPKT0_PKbPfi
                                        ; -- End function
	.section	.AMDGPU.csdata,"",@progbits
; Kernel info:
; codeLenInByte = 1708
; NumSgprs: 18
; NumVgprs: 15
; ScratchSize: 0
; MemoryBound: 0
; FloatMode: 240
; IeeeMode: 1
; LDSByteSize: 40 bytes/workgroup (compile time only)
; SGPRBlocks: 2
; VGPRBlocks: 1
; NumSGPRsForWavesPerEU: 18
; NumVGPRsForWavesPerEU: 15
; Occupancy: 16
; WaveLimiterHint : 0
; COMPUTE_PGM_RSRC2:SCRATCH_EN: 0
; COMPUTE_PGM_RSRC2:USER_SGPR: 15
; COMPUTE_PGM_RSRC2:TRAP_HANDLER: 0
; COMPUTE_PGM_RSRC2:TGID_X_EN: 1
; COMPUTE_PGM_RSRC2:TGID_Y_EN: 0
; COMPUTE_PGM_RSRC2:TGID_Z_EN: 0
; COMPUTE_PGM_RSRC2:TIDIG_COMP_CNT: 0
	.text
	.p2align	2                               ; -- Begin function __ockl_fprintf_append_string_n
	.type	__ockl_fprintf_append_string_n,@function
__ockl_fprintf_append_string_n:         ; @__ockl_fprintf_append_string_n
; %bb.0:
	s_waitcnt vmcnt(0) expcnt(0) lgkmcnt(0)
	v_dual_mov_b32 v8, v3 :: v_dual_mov_b32 v7, v2
	v_or_b32_e32 v2, 2, v0
	v_cmp_eq_u32_e32 vcc_lo, 0, v6
	v_mbcnt_lo_u32_b32 v33, -1, 0
	s_mov_b32 s11, 0
	s_mov_b32 s0, exec_lo
	v_cndmask_b32_e32 v0, v2, v0, vcc_lo
	v_cmpx_ne_u64_e32 0, v[7:8]
	s_xor_b32 s10, exec_lo, s0
	s_cbranch_execz .LBB21_86
; %bb.1:
	s_load_b64 s[2:3], s[8:9], 0x50
	v_dual_mov_b32 v11, 2 :: v_dual_and_b32 v6, 2, v0
	v_mov_b32_e32 v10, 0
	v_and_b32_e32 v0, -3, v0
	v_mov_b32_e32 v12, 1
	s_mov_b32 s12, 0
	s_branch .LBB21_3
.LBB21_2:                               ;   in Loop: Header=BB21_3 Depth=1
	s_or_b32 exec_lo, exec_lo, s1
	v_sub_co_u32 v4, vcc_lo, v4, v29
	v_sub_co_ci_u32_e32 v5, vcc_lo, v5, v30, vcc_lo
	v_add_co_u32 v7, s0, v7, v29
	s_delay_alu instid0(VALU_DEP_1) | instskip(NEXT) | instid1(VALU_DEP_3)
	v_add_co_ci_u32_e64 v8, s0, v8, v30, s0
	v_cmp_eq_u64_e32 vcc_lo, 0, v[4:5]
	s_or_b32 s12, vcc_lo, s12
	s_delay_alu instid0(SALU_CYCLE_1)
	s_and_not1_b32 exec_lo, exec_lo, s12
	s_cbranch_execz .LBB21_85
.LBB21_3:                               ; =>This Loop Header: Depth=1
                                        ;     Child Loop BB21_6 Depth 2
                                        ;     Child Loop BB21_14 Depth 2
	;; [unrolled: 1-line block ×11, first 2 shown]
	v_cmp_gt_u64_e32 vcc_lo, 56, v[4:5]
	s_mov_b32 s1, exec_lo
                                        ; implicit-def: $vgpr2_vgpr3
                                        ; implicit-def: $sgpr4
	v_dual_cndmask_b32 v30, 0, v5 :: v_dual_cndmask_b32 v29, 56, v4
	v_cmpx_gt_u64_e32 8, v[4:5]
	s_xor_b32 s1, exec_lo, s1
	s_cbranch_execz .LBB21_9
; %bb.4:                                ;   in Loop: Header=BB21_3 Depth=1
	s_waitcnt vmcnt(0)
	v_mov_b32_e32 v2, 0
	v_mov_b32_e32 v3, 0
	s_mov_b64 s[4:5], 0
	s_mov_b32 s6, exec_lo
	v_cmpx_ne_u64_e32 0, v[4:5]
	s_cbranch_execz .LBB21_8
; %bb.5:                                ;   in Loop: Header=BB21_3 Depth=1
	v_lshlrev_b64 v[13:14], 3, v[29:30]
	v_dual_mov_b32 v2, 0 :: v_dual_mov_b32 v15, v8
	v_dual_mov_b32 v3, 0 :: v_dual_mov_b32 v14, v7
	s_mov_b32 s7, 0
	.p2align	6
.LBB21_6:                               ;   Parent Loop BB21_3 Depth=1
                                        ; =>  This Inner Loop Header: Depth=2
	flat_load_u8 v9, v[14:15]
	v_mov_b32_e32 v17, s11
	v_add_co_u32 v14, vcc_lo, v14, 1
	v_add_co_ci_u32_e32 v15, vcc_lo, 0, v15, vcc_lo
	s_waitcnt vmcnt(0) lgkmcnt(0)
	v_and_b32_e32 v16, 0xffff, v9
	s_delay_alu instid0(VALU_DEP_1) | instskip(SKIP_3) | instid1(VALU_DEP_2)
	v_lshlrev_b64 v[16:17], s4, v[16:17]
	s_add_u32 s4, s4, 8
	s_addc_u32 s5, s5, 0
	v_cmp_eq_u32_e64 s0, s4, v13
	v_or_b32_e32 v3, v17, v3
	s_delay_alu instid0(VALU_DEP_3) | instskip(NEXT) | instid1(VALU_DEP_3)
	v_or_b32_e32 v2, v16, v2
	s_or_b32 s7, s0, s7
	s_delay_alu instid0(SALU_CYCLE_1)
	s_and_not1_b32 exec_lo, exec_lo, s7
	s_cbranch_execnz .LBB21_6
; %bb.7:                                ;   in Loop: Header=BB21_3 Depth=1
	s_or_b32 exec_lo, exec_lo, s7
.LBB21_8:                               ;   in Loop: Header=BB21_3 Depth=1
	s_delay_alu instid0(SALU_CYCLE_1)
	s_or_b32 exec_lo, exec_lo, s6
	s_mov_b32 s4, 0
.LBB21_9:                               ;   in Loop: Header=BB21_3 Depth=1
	s_or_saveexec_b32 s0, s1
	v_dual_mov_b32 v9, s4 :: v_dual_mov_b32 v26, v8
	v_mov_b32_e32 v25, v7
	s_xor_b32 exec_lo, exec_lo, s0
	s_cbranch_execz .LBB21_11
; %bb.10:                               ;   in Loop: Header=BB21_3 Depth=1
	s_waitcnt vmcnt(0)
	flat_load_b64 v[2:3], v[7:8]
	v_add_co_u32 v25, vcc_lo, v7, 8
	v_add_co_ci_u32_e32 v26, vcc_lo, 0, v8, vcc_lo
	s_waitcnt vmcnt(0) lgkmcnt(0)
	v_and_b32_e32 v9, 0xff, v3
	v_and_b32_e32 v13, 0xff00, v3
	v_and_b32_e32 v14, 0xff0000, v3
	v_and_b32_e32 v3, 0xff000000, v3
	v_or3_b32 v2, v2, 0, 0
	s_delay_alu instid0(VALU_DEP_4) | instskip(SKIP_1) | instid1(VALU_DEP_2)
	v_or_b32_e32 v13, v9, v13
	v_add_nc_u32_e32 v9, -8, v29
	v_or3_b32 v3, v13, v14, v3
.LBB21_11:                              ;   in Loop: Header=BB21_3 Depth=1
	s_or_b32 exec_lo, exec_lo, s0
                                        ; implicit-def: $vgpr13_vgpr14
                                        ; implicit-def: $sgpr1
	s_delay_alu instid0(SALU_CYCLE_1) | instskip(NEXT) | instid1(VALU_DEP_2)
	s_mov_b32 s0, exec_lo
	v_cmpx_gt_u32_e32 8, v9
	s_xor_b32 s6, exec_lo, s0
	s_cbranch_execz .LBB21_17
; %bb.12:                               ;   in Loop: Header=BB21_3 Depth=1
	v_mov_b32_e32 v13, 0
	v_mov_b32_e32 v14, 0
	s_mov_b32 s7, exec_lo
	v_cmpx_ne_u32_e32 0, v9
	s_cbranch_execz .LBB21_16
; %bb.13:                               ;   in Loop: Header=BB21_3 Depth=1
	v_mov_b32_e32 v13, 0
	v_mov_b32_e32 v14, 0
	s_mov_b64 s[0:1], 0
	s_mov_b32 s13, 0
	s_mov_b64 s[4:5], 0
	.p2align	6
.LBB21_14:                              ;   Parent Loop BB21_3 Depth=1
                                        ; =>  This Inner Loop Header: Depth=2
	s_delay_alu instid0(SALU_CYCLE_1)
	v_add_co_u32 v15, vcc_lo, v25, s4
	v_add_co_ci_u32_e32 v16, vcc_lo, s5, v26, vcc_lo
	s_add_u32 s4, s4, 1
	s_addc_u32 s5, s5, 0
	v_cmp_eq_u32_e32 vcc_lo, s4, v9
	flat_load_u8 v15, v[15:16]
	s_waitcnt vmcnt(0) lgkmcnt(0)
	v_dual_mov_b32 v16, s11 :: v_dual_and_b32 v15, 0xffff, v15
	s_delay_alu instid0(VALU_DEP_1) | instskip(SKIP_3) | instid1(VALU_DEP_1)
	v_lshlrev_b64 v[15:16], s0, v[15:16]
	s_add_u32 s0, s0, 8
	s_addc_u32 s1, s1, 0
	s_or_b32 s13, vcc_lo, s13
	v_or_b32_e32 v14, v16, v14
	s_delay_alu instid0(VALU_DEP_2)
	v_or_b32_e32 v13, v15, v13
	s_and_not1_b32 exec_lo, exec_lo, s13
	s_cbranch_execnz .LBB21_14
; %bb.15:                               ;   in Loop: Header=BB21_3 Depth=1
	s_or_b32 exec_lo, exec_lo, s13
.LBB21_16:                              ;   in Loop: Header=BB21_3 Depth=1
	s_delay_alu instid0(SALU_CYCLE_1)
	s_or_b32 exec_lo, exec_lo, s7
	s_mov_b32 s1, 0
                                        ; implicit-def: $vgpr9
.LBB21_17:                              ;   in Loop: Header=BB21_3 Depth=1
	s_or_saveexec_b32 s0, s6
	v_mov_b32_e32 v17, s1
	s_xor_b32 exec_lo, exec_lo, s0
	s_cbranch_execz .LBB21_19
; %bb.18:                               ;   in Loop: Header=BB21_3 Depth=1
	flat_load_b64 v[13:14], v[25:26]
	v_add_co_u32 v25, vcc_lo, v25, 8
	v_add_nc_u32_e32 v17, -8, v9
	v_add_co_ci_u32_e32 v26, vcc_lo, 0, v26, vcc_lo
	s_waitcnt vmcnt(0) lgkmcnt(0)
	v_and_b32_e32 v15, 0xff, v14
	v_and_b32_e32 v16, 0xff00, v14
	;; [unrolled: 1-line block ×4, first 2 shown]
	v_or3_b32 v13, v13, 0, 0
	s_delay_alu instid0(VALU_DEP_4) | instskip(NEXT) | instid1(VALU_DEP_1)
	v_or_b32_e32 v15, v15, v16
	v_or3_b32 v14, v15, v18, v14
.LBB21_19:                              ;   in Loop: Header=BB21_3 Depth=1
	s_or_b32 exec_lo, exec_lo, s0
                                        ; implicit-def: $sgpr1
	s_delay_alu instid0(SALU_CYCLE_1)
	s_mov_b32 s0, exec_lo
	v_cmpx_gt_u32_e32 8, v17
	s_xor_b32 s6, exec_lo, s0
	s_cbranch_execz .LBB21_25
; %bb.20:                               ;   in Loop: Header=BB21_3 Depth=1
	v_mov_b32_e32 v15, 0
	v_mov_b32_e32 v16, 0
	s_mov_b32 s7, exec_lo
	v_cmpx_ne_u32_e32 0, v17
	s_cbranch_execz .LBB21_24
; %bb.21:                               ;   in Loop: Header=BB21_3 Depth=1
	v_mov_b32_e32 v15, 0
	v_mov_b32_e32 v16, 0
	s_mov_b64 s[0:1], 0
	s_mov_b32 s13, 0
	s_mov_b64 s[4:5], 0
	.p2align	6
.LBB21_22:                              ;   Parent Loop BB21_3 Depth=1
                                        ; =>  This Inner Loop Header: Depth=2
	s_delay_alu instid0(SALU_CYCLE_1)
	v_add_co_u32 v18, vcc_lo, v25, s4
	v_add_co_ci_u32_e32 v19, vcc_lo, s5, v26, vcc_lo
	s_add_u32 s4, s4, 1
	s_addc_u32 s5, s5, 0
	v_cmp_eq_u32_e32 vcc_lo, s4, v17
	flat_load_u8 v9, v[18:19]
	s_waitcnt vmcnt(0) lgkmcnt(0)
	v_dual_mov_b32 v19, s11 :: v_dual_and_b32 v18, 0xffff, v9
	s_delay_alu instid0(VALU_DEP_1) | instskip(SKIP_3) | instid1(VALU_DEP_1)
	v_lshlrev_b64 v[18:19], s0, v[18:19]
	s_add_u32 s0, s0, 8
	s_addc_u32 s1, s1, 0
	s_or_b32 s13, vcc_lo, s13
	v_or_b32_e32 v16, v19, v16
	s_delay_alu instid0(VALU_DEP_2)
	v_or_b32_e32 v15, v18, v15
	s_and_not1_b32 exec_lo, exec_lo, s13
	s_cbranch_execnz .LBB21_22
; %bb.23:                               ;   in Loop: Header=BB21_3 Depth=1
	s_or_b32 exec_lo, exec_lo, s13
.LBB21_24:                              ;   in Loop: Header=BB21_3 Depth=1
	s_delay_alu instid0(SALU_CYCLE_1)
	s_or_b32 exec_lo, exec_lo, s7
	s_mov_b32 s1, 0
                                        ; implicit-def: $vgpr17
.LBB21_25:                              ;   in Loop: Header=BB21_3 Depth=1
	s_or_saveexec_b32 s0, s6
	v_mov_b32_e32 v9, s1
	s_xor_b32 exec_lo, exec_lo, s0
	s_cbranch_execz .LBB21_27
; %bb.26:                               ;   in Loop: Header=BB21_3 Depth=1
	flat_load_b64 v[15:16], v[25:26]
	v_add_co_u32 v25, vcc_lo, v25, 8
	v_add_co_ci_u32_e32 v26, vcc_lo, 0, v26, vcc_lo
	s_waitcnt vmcnt(0) lgkmcnt(0)
	v_and_b32_e32 v9, 0xff, v16
	v_and_b32_e32 v18, 0xff00, v16
	;; [unrolled: 1-line block ×4, first 2 shown]
	v_or3_b32 v15, v15, 0, 0
	s_delay_alu instid0(VALU_DEP_4) | instskip(SKIP_1) | instid1(VALU_DEP_2)
	v_or_b32_e32 v18, v9, v18
	v_add_nc_u32_e32 v9, -8, v17
	v_or3_b32 v16, v18, v19, v16
.LBB21_27:                              ;   in Loop: Header=BB21_3 Depth=1
	s_or_b32 exec_lo, exec_lo, s0
                                        ; implicit-def: $vgpr17_vgpr18
                                        ; implicit-def: $sgpr1
	s_delay_alu instid0(SALU_CYCLE_1) | instskip(NEXT) | instid1(VALU_DEP_1)
	s_mov_b32 s0, exec_lo
	v_cmpx_gt_u32_e32 8, v9
	s_xor_b32 s6, exec_lo, s0
	s_cbranch_execz .LBB21_33
; %bb.28:                               ;   in Loop: Header=BB21_3 Depth=1
	v_mov_b32_e32 v17, 0
	v_mov_b32_e32 v18, 0
	s_mov_b32 s7, exec_lo
	v_cmpx_ne_u32_e32 0, v9
	s_cbranch_execz .LBB21_32
; %bb.29:                               ;   in Loop: Header=BB21_3 Depth=1
	v_mov_b32_e32 v17, 0
	v_mov_b32_e32 v18, 0
	s_mov_b64 s[0:1], 0
	s_mov_b32 s13, 0
	s_mov_b64 s[4:5], 0
	.p2align	6
.LBB21_30:                              ;   Parent Loop BB21_3 Depth=1
                                        ; =>  This Inner Loop Header: Depth=2
	s_delay_alu instid0(SALU_CYCLE_1)
	v_add_co_u32 v19, vcc_lo, v25, s4
	v_add_co_ci_u32_e32 v20, vcc_lo, s5, v26, vcc_lo
	s_add_u32 s4, s4, 1
	s_addc_u32 s5, s5, 0
	v_cmp_eq_u32_e32 vcc_lo, s4, v9
	flat_load_u8 v19, v[19:20]
	s_waitcnt vmcnt(0) lgkmcnt(0)
	v_dual_mov_b32 v20, s11 :: v_dual_and_b32 v19, 0xffff, v19
	s_delay_alu instid0(VALU_DEP_1) | instskip(SKIP_3) | instid1(VALU_DEP_1)
	v_lshlrev_b64 v[19:20], s0, v[19:20]
	s_add_u32 s0, s0, 8
	s_addc_u32 s1, s1, 0
	s_or_b32 s13, vcc_lo, s13
	v_or_b32_e32 v18, v20, v18
	s_delay_alu instid0(VALU_DEP_2)
	v_or_b32_e32 v17, v19, v17
	s_and_not1_b32 exec_lo, exec_lo, s13
	s_cbranch_execnz .LBB21_30
; %bb.31:                               ;   in Loop: Header=BB21_3 Depth=1
	s_or_b32 exec_lo, exec_lo, s13
.LBB21_32:                              ;   in Loop: Header=BB21_3 Depth=1
	s_delay_alu instid0(SALU_CYCLE_1)
	s_or_b32 exec_lo, exec_lo, s7
	s_mov_b32 s1, 0
                                        ; implicit-def: $vgpr9
.LBB21_33:                              ;   in Loop: Header=BB21_3 Depth=1
	s_or_saveexec_b32 s0, s6
	v_mov_b32_e32 v21, s1
	s_xor_b32 exec_lo, exec_lo, s0
	s_cbranch_execz .LBB21_35
; %bb.34:                               ;   in Loop: Header=BB21_3 Depth=1
	flat_load_b64 v[17:18], v[25:26]
	v_add_co_u32 v25, vcc_lo, v25, 8
	v_add_nc_u32_e32 v21, -8, v9
	v_add_co_ci_u32_e32 v26, vcc_lo, 0, v26, vcc_lo
	s_waitcnt vmcnt(0) lgkmcnt(0)
	v_and_b32_e32 v19, 0xff, v18
	v_and_b32_e32 v20, 0xff00, v18
	;; [unrolled: 1-line block ×4, first 2 shown]
	v_or3_b32 v17, v17, 0, 0
	s_delay_alu instid0(VALU_DEP_4) | instskip(NEXT) | instid1(VALU_DEP_1)
	v_or_b32_e32 v19, v19, v20
	v_or3_b32 v18, v19, v22, v18
.LBB21_35:                              ;   in Loop: Header=BB21_3 Depth=1
	s_or_b32 exec_lo, exec_lo, s0
                                        ; implicit-def: $sgpr1
	s_delay_alu instid0(SALU_CYCLE_1)
	s_mov_b32 s0, exec_lo
	v_cmpx_gt_u32_e32 8, v21
	s_xor_b32 s6, exec_lo, s0
	s_cbranch_execz .LBB21_41
; %bb.36:                               ;   in Loop: Header=BB21_3 Depth=1
	v_mov_b32_e32 v19, 0
	v_mov_b32_e32 v20, 0
	s_mov_b32 s7, exec_lo
	v_cmpx_ne_u32_e32 0, v21
	s_cbranch_execz .LBB21_40
; %bb.37:                               ;   in Loop: Header=BB21_3 Depth=1
	v_mov_b32_e32 v19, 0
	v_mov_b32_e32 v20, 0
	s_mov_b64 s[0:1], 0
	s_mov_b32 s13, 0
	s_mov_b64 s[4:5], 0
	.p2align	6
.LBB21_38:                              ;   Parent Loop BB21_3 Depth=1
                                        ; =>  This Inner Loop Header: Depth=2
	s_delay_alu instid0(SALU_CYCLE_1)
	v_add_co_u32 v22, vcc_lo, v25, s4
	v_add_co_ci_u32_e32 v23, vcc_lo, s5, v26, vcc_lo
	s_add_u32 s4, s4, 1
	s_addc_u32 s5, s5, 0
	v_cmp_eq_u32_e32 vcc_lo, s4, v21
	flat_load_u8 v9, v[22:23]
	s_waitcnt vmcnt(0) lgkmcnt(0)
	v_dual_mov_b32 v23, s11 :: v_dual_and_b32 v22, 0xffff, v9
	s_delay_alu instid0(VALU_DEP_1) | instskip(SKIP_3) | instid1(VALU_DEP_1)
	v_lshlrev_b64 v[22:23], s0, v[22:23]
	s_add_u32 s0, s0, 8
	s_addc_u32 s1, s1, 0
	s_or_b32 s13, vcc_lo, s13
	v_or_b32_e32 v20, v23, v20
	s_delay_alu instid0(VALU_DEP_2)
	v_or_b32_e32 v19, v22, v19
	s_and_not1_b32 exec_lo, exec_lo, s13
	s_cbranch_execnz .LBB21_38
; %bb.39:                               ;   in Loop: Header=BB21_3 Depth=1
	s_or_b32 exec_lo, exec_lo, s13
.LBB21_40:                              ;   in Loop: Header=BB21_3 Depth=1
	s_delay_alu instid0(SALU_CYCLE_1)
	s_or_b32 exec_lo, exec_lo, s7
	s_mov_b32 s1, 0
                                        ; implicit-def: $vgpr21
.LBB21_41:                              ;   in Loop: Header=BB21_3 Depth=1
	s_or_saveexec_b32 s0, s6
	v_mov_b32_e32 v9, s1
	s_xor_b32 exec_lo, exec_lo, s0
	s_cbranch_execz .LBB21_43
; %bb.42:                               ;   in Loop: Header=BB21_3 Depth=1
	flat_load_b64 v[19:20], v[25:26]
	v_add_co_u32 v25, vcc_lo, v25, 8
	v_add_co_ci_u32_e32 v26, vcc_lo, 0, v26, vcc_lo
	s_waitcnt vmcnt(0) lgkmcnt(0)
	v_and_b32_e32 v9, 0xff, v20
	v_and_b32_e32 v22, 0xff00, v20
	v_and_b32_e32 v23, 0xff0000, v20
	v_and_b32_e32 v20, 0xff000000, v20
	v_or3_b32 v19, v19, 0, 0
	s_delay_alu instid0(VALU_DEP_4) | instskip(SKIP_1) | instid1(VALU_DEP_2)
	v_or_b32_e32 v22, v9, v22
	v_add_nc_u32_e32 v9, -8, v21
	v_or3_b32 v20, v22, v23, v20
.LBB21_43:                              ;   in Loop: Header=BB21_3 Depth=1
	s_or_b32 exec_lo, exec_lo, s0
                                        ; implicit-def: $vgpr21_vgpr22
                                        ; implicit-def: $sgpr1
	s_delay_alu instid0(SALU_CYCLE_1) | instskip(NEXT) | instid1(VALU_DEP_1)
	s_mov_b32 s0, exec_lo
	v_cmpx_gt_u32_e32 8, v9
	s_xor_b32 s6, exec_lo, s0
	s_cbranch_execz .LBB21_49
; %bb.44:                               ;   in Loop: Header=BB21_3 Depth=1
	v_mov_b32_e32 v21, 0
	v_mov_b32_e32 v22, 0
	s_mov_b32 s7, exec_lo
	v_cmpx_ne_u32_e32 0, v9
	s_cbranch_execz .LBB21_48
; %bb.45:                               ;   in Loop: Header=BB21_3 Depth=1
	v_mov_b32_e32 v21, 0
	v_mov_b32_e32 v22, 0
	s_mov_b64 s[0:1], 0
	s_mov_b32 s13, 0
	s_mov_b64 s[4:5], 0
	.p2align	6
.LBB21_46:                              ;   Parent Loop BB21_3 Depth=1
                                        ; =>  This Inner Loop Header: Depth=2
	s_delay_alu instid0(SALU_CYCLE_1)
	v_add_co_u32 v23, vcc_lo, v25, s4
	v_add_co_ci_u32_e32 v24, vcc_lo, s5, v26, vcc_lo
	s_add_u32 s4, s4, 1
	s_addc_u32 s5, s5, 0
	v_cmp_eq_u32_e32 vcc_lo, s4, v9
	flat_load_u8 v23, v[23:24]
	s_waitcnt vmcnt(0) lgkmcnt(0)
	v_dual_mov_b32 v24, s11 :: v_dual_and_b32 v23, 0xffff, v23
	s_delay_alu instid0(VALU_DEP_1) | instskip(SKIP_3) | instid1(VALU_DEP_1)
	v_lshlrev_b64 v[23:24], s0, v[23:24]
	s_add_u32 s0, s0, 8
	s_addc_u32 s1, s1, 0
	s_or_b32 s13, vcc_lo, s13
	v_or_b32_e32 v22, v24, v22
	s_delay_alu instid0(VALU_DEP_2)
	v_or_b32_e32 v21, v23, v21
	s_and_not1_b32 exec_lo, exec_lo, s13
	s_cbranch_execnz .LBB21_46
; %bb.47:                               ;   in Loop: Header=BB21_3 Depth=1
	s_or_b32 exec_lo, exec_lo, s13
.LBB21_48:                              ;   in Loop: Header=BB21_3 Depth=1
	s_delay_alu instid0(SALU_CYCLE_1)
	s_or_b32 exec_lo, exec_lo, s7
	s_mov_b32 s1, 0
                                        ; implicit-def: $vgpr9
.LBB21_49:                              ;   in Loop: Header=BB21_3 Depth=1
	s_or_saveexec_b32 s0, s6
	v_mov_b32_e32 v27, s1
	s_xor_b32 exec_lo, exec_lo, s0
	s_cbranch_execz .LBB21_51
; %bb.50:                               ;   in Loop: Header=BB21_3 Depth=1
	flat_load_b64 v[21:22], v[25:26]
	v_add_co_u32 v25, vcc_lo, v25, 8
	v_add_nc_u32_e32 v27, -8, v9
	v_add_co_ci_u32_e32 v26, vcc_lo, 0, v26, vcc_lo
	s_waitcnt vmcnt(0) lgkmcnt(0)
	v_and_b32_e32 v23, 0xff, v22
	v_and_b32_e32 v24, 0xff00, v22
	;; [unrolled: 1-line block ×4, first 2 shown]
	v_or3_b32 v21, v21, 0, 0
	s_delay_alu instid0(VALU_DEP_4) | instskip(NEXT) | instid1(VALU_DEP_1)
	v_or_b32_e32 v23, v23, v24
	v_or3_b32 v22, v23, v28, v22
.LBB21_51:                              ;   in Loop: Header=BB21_3 Depth=1
	s_or_b32 exec_lo, exec_lo, s0
	s_delay_alu instid0(SALU_CYCLE_1)
	s_mov_b32 s0, exec_lo
	v_cmpx_gt_u32_e32 8, v27
	s_xor_b32 s4, exec_lo, s0
	s_cbranch_execz .LBB21_57
; %bb.52:                               ;   in Loop: Header=BB21_3 Depth=1
	v_mov_b32_e32 v23, 0
	v_mov_b32_e32 v24, 0
	s_mov_b32 s5, exec_lo
	v_cmpx_ne_u32_e32 0, v27
	s_cbranch_execz .LBB21_56
; %bb.53:                               ;   in Loop: Header=BB21_3 Depth=1
	v_mov_b32_e32 v23, 0
	v_mov_b32_e32 v24, 0
	s_mov_b64 s[0:1], 0
	s_mov_b32 s6, 0
	.p2align	6
.LBB21_54:                              ;   Parent Loop BB21_3 Depth=1
                                        ; =>  This Inner Loop Header: Depth=2
	flat_load_u8 v9, v[25:26]
	v_dual_mov_b32 v32, s11 :: v_dual_add_nc_u32 v27, -1, v27
	v_add_co_u32 v25, vcc_lo, v25, 1
	v_add_co_ci_u32_e32 v26, vcc_lo, 0, v26, vcc_lo
	s_delay_alu instid0(VALU_DEP_3) | instskip(SKIP_2) | instid1(VALU_DEP_1)
	v_cmp_eq_u32_e32 vcc_lo, 0, v27
	s_waitcnt vmcnt(0) lgkmcnt(0)
	v_and_b32_e32 v31, 0xffff, v9
	v_lshlrev_b64 v[31:32], s0, v[31:32]
	s_add_u32 s0, s0, 8
	s_addc_u32 s1, s1, 0
	s_or_b32 s6, vcc_lo, s6
	s_delay_alu instid0(VALU_DEP_1) | instskip(NEXT) | instid1(VALU_DEP_2)
	v_or_b32_e32 v24, v32, v24
	v_or_b32_e32 v23, v31, v23
	s_and_not1_b32 exec_lo, exec_lo, s6
	s_cbranch_execnz .LBB21_54
; %bb.55:                               ;   in Loop: Header=BB21_3 Depth=1
	s_or_b32 exec_lo, exec_lo, s6
.LBB21_56:                              ;   in Loop: Header=BB21_3 Depth=1
	s_delay_alu instid0(SALU_CYCLE_1)
	s_or_b32 exec_lo, exec_lo, s5
                                        ; implicit-def: $vgpr25_vgpr26
.LBB21_57:                              ;   in Loop: Header=BB21_3 Depth=1
	s_and_not1_saveexec_b32 s0, s4
	s_cbranch_execz .LBB21_59
; %bb.58:                               ;   in Loop: Header=BB21_3 Depth=1
	flat_load_b64 v[23:24], v[25:26]
	s_waitcnt vmcnt(0) lgkmcnt(0)
	v_and_b32_e32 v9, 0xff, v24
	v_and_b32_e32 v25, 0xff00, v24
	;; [unrolled: 1-line block ×4, first 2 shown]
	v_or3_b32 v23, v23, 0, 0
	s_delay_alu instid0(VALU_DEP_4) | instskip(NEXT) | instid1(VALU_DEP_1)
	v_or_b32_e32 v9, v9, v25
	v_or3_b32 v24, v9, v26, v24
.LBB21_59:                              ;   in Loop: Header=BB21_3 Depth=1
	s_or_b32 exec_lo, exec_lo, s0
	v_readfirstlane_b32 s0, v33
	v_mov_b32_e32 v31, 0
	v_mov_b32_e32 v32, 0
	s_delay_alu instid0(VALU_DEP_3) | instskip(NEXT) | instid1(VALU_DEP_1)
	v_cmp_eq_u32_e64 s0, s0, v33
	s_and_saveexec_b32 s1, s0
	s_cbranch_execz .LBB21_65
; %bb.60:                               ;   in Loop: Header=BB21_3 Depth=1
	s_waitcnt lgkmcnt(0)
	global_load_b64 v[27:28], v10, s[2:3] offset:24 glc
	s_waitcnt vmcnt(0)
	buffer_gl1_inv
	buffer_gl0_inv
	s_clause 0x1
	global_load_b64 v[25:26], v10, s[2:3] offset:40
	global_load_b64 v[31:32], v10, s[2:3]
	s_mov_b32 s4, exec_lo
	s_waitcnt vmcnt(1)
	v_and_b32_e32 v9, v26, v28
	v_and_b32_e32 v25, v25, v27
	s_delay_alu instid0(VALU_DEP_2) | instskip(NEXT) | instid1(VALU_DEP_2)
	v_mul_lo_u32 v9, v9, 24
	v_mul_hi_u32 v26, v25, 24
	v_mul_lo_u32 v25, v25, 24
	s_delay_alu instid0(VALU_DEP_2) | instskip(SKIP_1) | instid1(VALU_DEP_2)
	v_add_nc_u32_e32 v9, v26, v9
	s_waitcnt vmcnt(0)
	v_add_co_u32 v25, vcc_lo, v31, v25
	s_delay_alu instid0(VALU_DEP_2)
	v_add_co_ci_u32_e32 v26, vcc_lo, v32, v9, vcc_lo
	global_load_b64 v[25:26], v[25:26], off glc
	s_waitcnt vmcnt(0)
	global_atomic_cmpswap_b64 v[31:32], v10, v[25:28], s[2:3] offset:24 glc
	s_waitcnt vmcnt(0)
	buffer_gl1_inv
	buffer_gl0_inv
	v_cmpx_ne_u64_e64 v[31:32], v[27:28]
	s_cbranch_execz .LBB21_64
; %bb.61:                               ;   in Loop: Header=BB21_3 Depth=1
	s_mov_b32 s5, 0
	.p2align	6
.LBB21_62:                              ;   Parent Loop BB21_3 Depth=1
                                        ; =>  This Inner Loop Header: Depth=2
	s_sleep 1
	s_clause 0x1
	global_load_b64 v[25:26], v10, s[2:3] offset:40
	global_load_b64 v[34:35], v10, s[2:3]
	v_dual_mov_b32 v27, v31 :: v_dual_mov_b32 v28, v32
	s_waitcnt vmcnt(1)
	s_delay_alu instid0(VALU_DEP_1) | instskip(SKIP_1) | instid1(VALU_DEP_1)
	v_and_b32_e32 v9, v25, v27
	s_waitcnt vmcnt(0)
	v_mad_u64_u32 v[31:32], null, v9, 24, v[34:35]
	s_delay_alu instid0(VALU_DEP_1) | instskip(NEXT) | instid1(VALU_DEP_1)
	v_dual_mov_b32 v9, v32 :: v_dual_and_b32 v34, v26, v28
	v_mad_u64_u32 v[25:26], null, v34, 24, v[9:10]
	s_delay_alu instid0(VALU_DEP_1)
	v_mov_b32_e32 v32, v25
	global_load_b64 v[25:26], v[31:32], off glc
	s_waitcnt vmcnt(0)
	global_atomic_cmpswap_b64 v[31:32], v10, v[25:28], s[2:3] offset:24 glc
	s_waitcnt vmcnt(0)
	buffer_gl1_inv
	buffer_gl0_inv
	v_cmp_eq_u64_e32 vcc_lo, v[31:32], v[27:28]
	s_or_b32 s5, vcc_lo, s5
	s_delay_alu instid0(SALU_CYCLE_1)
	s_and_not1_b32 exec_lo, exec_lo, s5
	s_cbranch_execnz .LBB21_62
; %bb.63:                               ;   in Loop: Header=BB21_3 Depth=1
	s_or_b32 exec_lo, exec_lo, s5
.LBB21_64:                              ;   in Loop: Header=BB21_3 Depth=1
	s_delay_alu instid0(SALU_CYCLE_1)
	s_or_b32 exec_lo, exec_lo, s4
.LBB21_65:                              ;   in Loop: Header=BB21_3 Depth=1
	s_delay_alu instid0(SALU_CYCLE_1)
	s_or_b32 exec_lo, exec_lo, s1
	s_waitcnt lgkmcnt(0)
	s_clause 0x1
	global_load_b64 v[34:35], v10, s[2:3] offset:40
	global_load_b128 v[25:28], v10, s[2:3]
	v_readfirstlane_b32 s4, v31
	v_readfirstlane_b32 s5, v32
	s_mov_b32 s1, exec_lo
	s_waitcnt vmcnt(1)
	v_readfirstlane_b32 s6, v34
	v_readfirstlane_b32 s7, v35
	s_delay_alu instid0(VALU_DEP_1) | instskip(NEXT) | instid1(SALU_CYCLE_1)
	s_and_b64 s[6:7], s[4:5], s[6:7]
	s_mul_i32 s13, s7, 24
	s_mul_hi_u32 s14, s6, 24
	s_mul_i32 s15, s6, 24
	s_add_i32 s14, s14, s13
	s_waitcnt vmcnt(0)
	v_add_co_u32 v31, vcc_lo, v25, s15
	v_add_co_ci_u32_e32 v32, vcc_lo, s14, v26, vcc_lo
	s_and_saveexec_b32 s13, s0
	s_cbranch_execz .LBB21_67
; %bb.66:                               ;   in Loop: Header=BB21_3 Depth=1
	v_mov_b32_e32 v9, s1
	global_store_b128 v[31:32], v[9:12], off offset:8
.LBB21_67:                              ;   in Loop: Header=BB21_3 Depth=1
	s_or_b32 exec_lo, exec_lo, s13
	v_cmp_lt_u64_e32 vcc_lo, 56, v[4:5]
	v_or_b32_e32 v9, 0, v1
	v_or_b32_e32 v34, v0, v6
	v_lshl_add_u32 v35, v29, 2, 28
	s_lshl_b64 s[6:7], s[6:7], 12
	s_delay_alu instid0(SALU_CYCLE_1) | instskip(NEXT) | instid1(VALU_DEP_1)
	v_add_co_u32 v27, s1, v27, s6
	v_add_co_ci_u32_e64 v28, s1, s7, v28, s1
	v_dual_cndmask_b32 v1, v9, v1 :: v_dual_cndmask_b32 v0, v34, v0
	v_and_b32_e32 v9, 0x1e0, v35
	v_lshlrev_b32_e32 v34, 6, v33
	v_readfirstlane_b32 s6, v27
	v_readfirstlane_b32 s7, v28
	s_delay_alu instid0(VALU_DEP_4)
	v_and_or_b32 v0, 0xffffff1f, v0, v9
	s_clause 0x3
	global_store_b128 v34, v[0:3], s[6:7]
	global_store_b128 v34, v[13:16], s[6:7] offset:16
	global_store_b128 v34, v[17:20], s[6:7] offset:32
	;; [unrolled: 1-line block ×3, first 2 shown]
	s_and_saveexec_b32 s1, s0
	s_cbranch_execz .LBB21_75
; %bb.68:                               ;   in Loop: Header=BB21_3 Depth=1
	s_clause 0x1
	global_load_b64 v[17:18], v10, s[2:3] offset:32 glc
	global_load_b64 v[0:1], v10, s[2:3] offset:40
	v_dual_mov_b32 v15, s4 :: v_dual_mov_b32 v16, s5
	s_waitcnt vmcnt(0)
	v_readfirstlane_b32 s6, v0
	v_readfirstlane_b32 s7, v1
	s_delay_alu instid0(VALU_DEP_1) | instskip(NEXT) | instid1(SALU_CYCLE_1)
	s_and_b64 s[6:7], s[6:7], s[4:5]
	s_mul_i32 s7, s7, 24
	s_mul_hi_u32 s13, s6, 24
	s_mul_i32 s6, s6, 24
	s_add_i32 s13, s13, s7
	v_add_co_u32 v13, vcc_lo, v25, s6
	v_add_co_ci_u32_e32 v14, vcc_lo, s13, v26, vcc_lo
	s_mov_b32 s6, exec_lo
	global_store_b64 v[13:14], v[17:18], off
	s_waitcnt_vscnt null, 0x0
	global_atomic_cmpswap_b64 v[2:3], v10, v[15:18], s[2:3] offset:32 glc
	s_waitcnt vmcnt(0)
	v_cmpx_ne_u64_e64 v[2:3], v[17:18]
	s_cbranch_execz .LBB21_71
; %bb.69:                               ;   in Loop: Header=BB21_3 Depth=1
	s_mov_b32 s7, 0
.LBB21_70:                              ;   Parent Loop BB21_3 Depth=1
                                        ; =>  This Inner Loop Header: Depth=2
	v_dual_mov_b32 v0, s4 :: v_dual_mov_b32 v1, s5
	s_sleep 1
	global_store_b64 v[13:14], v[2:3], off
	s_waitcnt_vscnt null, 0x0
	global_atomic_cmpswap_b64 v[0:1], v10, v[0:3], s[2:3] offset:32 glc
	s_waitcnt vmcnt(0)
	v_cmp_eq_u64_e32 vcc_lo, v[0:1], v[2:3]
	v_dual_mov_b32 v3, v1 :: v_dual_mov_b32 v2, v0
	s_or_b32 s7, vcc_lo, s7
	s_delay_alu instid0(SALU_CYCLE_1)
	s_and_not1_b32 exec_lo, exec_lo, s7
	s_cbranch_execnz .LBB21_70
.LBB21_71:                              ;   in Loop: Header=BB21_3 Depth=1
	s_or_b32 exec_lo, exec_lo, s6
	global_load_b64 v[0:1], v10, s[2:3] offset:16
	s_mov_b32 s7, exec_lo
	s_mov_b32 s6, exec_lo
	v_mbcnt_lo_u32_b32 v2, s7, 0
	s_delay_alu instid0(VALU_DEP_1)
	v_cmpx_eq_u32_e32 0, v2
	s_cbranch_execz .LBB21_73
; %bb.72:                               ;   in Loop: Header=BB21_3 Depth=1
	s_bcnt1_i32_b32 s7, s7
	s_delay_alu instid0(SALU_CYCLE_1)
	v_mov_b32_e32 v9, s7
	s_waitcnt vmcnt(0)
	global_atomic_add_u64 v[0:1], v[9:10], off offset:8
.LBB21_73:                              ;   in Loop: Header=BB21_3 Depth=1
	s_or_b32 exec_lo, exec_lo, s6
	s_waitcnt vmcnt(0)
	global_load_b64 v[2:3], v[0:1], off offset:16
	s_waitcnt vmcnt(0)
	v_cmp_eq_u64_e32 vcc_lo, 0, v[2:3]
	s_cbranch_vccnz .LBB21_75
; %bb.74:                               ;   in Loop: Header=BB21_3 Depth=1
	global_load_b32 v9, v[0:1], off offset:24
	s_waitcnt vmcnt(0)
	v_and_b32_e32 v0, 0xffffff, v9
	s_waitcnt_vscnt null, 0x0
	global_store_b64 v[2:3], v[9:10], off
	v_readfirstlane_b32 m0, v0
	s_sendmsg sendmsg(MSG_INTERRUPT)
.LBB21_75:                              ;   in Loop: Header=BB21_3 Depth=1
	s_or_b32 exec_lo, exec_lo, s1
	v_add_co_u32 v0, vcc_lo, v27, v34
	v_add_co_ci_u32_e32 v1, vcc_lo, 0, v28, vcc_lo
	s_branch .LBB21_79
	.p2align	6
.LBB21_76:                              ;   in Loop: Header=BB21_79 Depth=2
	s_or_b32 exec_lo, exec_lo, s1
	s_delay_alu instid0(VALU_DEP_1) | instskip(NEXT) | instid1(VALU_DEP_1)
	v_readfirstlane_b32 s1, v2
	s_cmp_eq_u32 s1, 0
	s_cbranch_scc1 .LBB21_78
; %bb.77:                               ;   in Loop: Header=BB21_79 Depth=2
	s_sleep 1
	s_cbranch_execnz .LBB21_79
	s_branch .LBB21_81
	.p2align	6
.LBB21_78:                              ;   in Loop: Header=BB21_3 Depth=1
	s_branch .LBB21_81
.LBB21_79:                              ;   Parent Loop BB21_3 Depth=1
                                        ; =>  This Inner Loop Header: Depth=2
	v_mov_b32_e32 v2, 1
	s_and_saveexec_b32 s1, s0
	s_cbranch_execz .LBB21_76
; %bb.80:                               ;   in Loop: Header=BB21_79 Depth=2
	global_load_b32 v2, v[31:32], off offset:20 glc
	s_waitcnt vmcnt(0)
	buffer_gl1_inv
	buffer_gl0_inv
	v_and_b32_e32 v2, 1, v2
	s_branch .LBB21_76
.LBB21_81:                              ;   in Loop: Header=BB21_3 Depth=1
	global_load_b128 v[0:3], v[0:1], off
	s_and_saveexec_b32 s1, s0
	s_cbranch_execz .LBB21_2
; %bb.82:                               ;   in Loop: Header=BB21_3 Depth=1
	s_clause 0x2
	global_load_b64 v[2:3], v10, s[2:3] offset:40
	global_load_b64 v[17:18], v10, s[2:3] offset:24 glc
	global_load_b64 v[15:16], v10, s[2:3]
	s_waitcnt vmcnt(2)
	v_add_co_u32 v9, vcc_lo, v2, 1
	v_add_co_ci_u32_e32 v19, vcc_lo, 0, v3, vcc_lo
	s_delay_alu instid0(VALU_DEP_2) | instskip(NEXT) | instid1(VALU_DEP_2)
	v_add_co_u32 v13, vcc_lo, v9, s4
	v_add_co_ci_u32_e32 v14, vcc_lo, s5, v19, vcc_lo
	s_delay_alu instid0(VALU_DEP_1) | instskip(SKIP_1) | instid1(VALU_DEP_1)
	v_cmp_eq_u64_e32 vcc_lo, 0, v[13:14]
	v_dual_cndmask_b32 v14, v14, v19 :: v_dual_cndmask_b32 v13, v13, v9
	v_and_b32_e32 v3, v14, v3
	s_delay_alu instid0(VALU_DEP_2) | instskip(NEXT) | instid1(VALU_DEP_2)
	v_and_b32_e32 v2, v13, v2
	v_mul_lo_u32 v3, v3, 24
	s_delay_alu instid0(VALU_DEP_2) | instskip(SKIP_1) | instid1(VALU_DEP_2)
	v_mul_hi_u32 v9, v2, 24
	v_mul_lo_u32 v2, v2, 24
	v_add_nc_u32_e32 v3, v9, v3
	s_waitcnt vmcnt(0)
	s_delay_alu instid0(VALU_DEP_2) | instskip(SKIP_1) | instid1(VALU_DEP_3)
	v_add_co_u32 v2, vcc_lo, v15, v2
	v_mov_b32_e32 v15, v17
	v_add_co_ci_u32_e32 v3, vcc_lo, v16, v3, vcc_lo
	v_mov_b32_e32 v16, v18
	global_store_b64 v[2:3], v[17:18], off
	s_waitcnt_vscnt null, 0x0
	global_atomic_cmpswap_b64 v[15:16], v10, v[13:16], s[2:3] offset:24 glc
	s_waitcnt vmcnt(0)
	v_cmp_ne_u64_e32 vcc_lo, v[15:16], v[17:18]
	s_and_b32 exec_lo, exec_lo, vcc_lo
	s_cbranch_execz .LBB21_2
; %bb.83:                               ;   in Loop: Header=BB21_3 Depth=1
	s_mov_b32 s0, 0
.LBB21_84:                              ;   Parent Loop BB21_3 Depth=1
                                        ; =>  This Inner Loop Header: Depth=2
	s_sleep 1
	global_store_b64 v[2:3], v[15:16], off
	s_waitcnt_vscnt null, 0x0
	global_atomic_cmpswap_b64 v[17:18], v10, v[13:16], s[2:3] offset:24 glc
	s_waitcnt vmcnt(0)
	v_cmp_eq_u64_e32 vcc_lo, v[17:18], v[15:16]
	v_dual_mov_b32 v15, v17 :: v_dual_mov_b32 v16, v18
	s_or_b32 s0, vcc_lo, s0
	s_delay_alu instid0(SALU_CYCLE_1)
	s_and_not1_b32 exec_lo, exec_lo, s0
	s_cbranch_execnz .LBB21_84
	s_branch .LBB21_2
.LBB21_85:
	s_or_b32 exec_lo, exec_lo, s12
                                        ; implicit-def: $vgpr0
                                        ; implicit-def: $vgpr33
                                        ; implicit-def: $vgpr1
.LBB21_86:
	s_and_not1_saveexec_b32 s1, s10
	s_cbranch_execz .LBB21_108
; %bb.87:
	s_load_b64 s[2:3], s[8:9], 0x50
	v_readfirstlane_b32 s0, v33
	v_mov_b32_e32 v8, 0
	v_mov_b32_e32 v9, 0
	s_delay_alu instid0(VALU_DEP_3) | instskip(NEXT) | instid1(VALU_DEP_1)
	v_cmp_eq_u32_e64 s0, s0, v33
	s_and_saveexec_b32 s4, s0
	s_cbranch_execz .LBB21_93
; %bb.88:
	s_waitcnt vmcnt(0)
	v_mov_b32_e32 v2, 0
	s_mov_b32 s5, exec_lo
	s_waitcnt lgkmcnt(0)
	global_load_b64 v[5:6], v2, s[2:3] offset:24 glc
	s_waitcnt vmcnt(0)
	buffer_gl1_inv
	buffer_gl0_inv
	s_clause 0x1
	global_load_b64 v[3:4], v2, s[2:3] offset:40
	global_load_b64 v[7:8], v2, s[2:3]
	s_waitcnt vmcnt(1)
	v_and_b32_e32 v3, v3, v5
	v_and_b32_e32 v4, v4, v6
	s_delay_alu instid0(VALU_DEP_2) | instskip(NEXT) | instid1(VALU_DEP_2)
	v_mul_hi_u32 v9, v3, 24
	v_mul_lo_u32 v4, v4, 24
	v_mul_lo_u32 v3, v3, 24
	s_delay_alu instid0(VALU_DEP_2) | instskip(SKIP_1) | instid1(VALU_DEP_2)
	v_add_nc_u32_e32 v4, v9, v4
	s_waitcnt vmcnt(0)
	v_add_co_u32 v3, vcc_lo, v7, v3
	s_delay_alu instid0(VALU_DEP_2)
	v_add_co_ci_u32_e32 v4, vcc_lo, v8, v4, vcc_lo
	global_load_b64 v[3:4], v[3:4], off glc
	s_waitcnt vmcnt(0)
	global_atomic_cmpswap_b64 v[8:9], v2, v[3:6], s[2:3] offset:24 glc
	s_waitcnt vmcnt(0)
	buffer_gl1_inv
	buffer_gl0_inv
	v_cmpx_ne_u64_e64 v[8:9], v[5:6]
	s_cbranch_execz .LBB21_92
; %bb.89:
	s_mov_b32 s6, 0
	.p2align	6
.LBB21_90:                              ; =>This Inner Loop Header: Depth=1
	s_sleep 1
	s_clause 0x1
	global_load_b64 v[3:4], v2, s[2:3] offset:40
	global_load_b64 v[10:11], v2, s[2:3]
	v_dual_mov_b32 v5, v8 :: v_dual_mov_b32 v6, v9
	s_waitcnt vmcnt(1)
	s_delay_alu instid0(VALU_DEP_1) | instskip(NEXT) | instid1(VALU_DEP_2)
	v_and_b32_e32 v3, v3, v5
	v_and_b32_e32 v4, v4, v6
	s_waitcnt vmcnt(0)
	s_delay_alu instid0(VALU_DEP_2) | instskip(NEXT) | instid1(VALU_DEP_1)
	v_mad_u64_u32 v[7:8], null, v3, 24, v[10:11]
	v_mov_b32_e32 v3, v8
	s_delay_alu instid0(VALU_DEP_1)
	v_mad_u64_u32 v[8:9], null, v4, 24, v[3:4]
	global_load_b64 v[3:4], v[7:8], off glc
	s_waitcnt vmcnt(0)
	global_atomic_cmpswap_b64 v[8:9], v2, v[3:6], s[2:3] offset:24 glc
	s_waitcnt vmcnt(0)
	buffer_gl1_inv
	buffer_gl0_inv
	v_cmp_eq_u64_e32 vcc_lo, v[8:9], v[5:6]
	s_or_b32 s6, vcc_lo, s6
	s_delay_alu instid0(SALU_CYCLE_1)
	s_and_not1_b32 exec_lo, exec_lo, s6
	s_cbranch_execnz .LBB21_90
; %bb.91:
	s_or_b32 exec_lo, exec_lo, s6
.LBB21_92:
	s_delay_alu instid0(SALU_CYCLE_1)
	s_or_b32 exec_lo, exec_lo, s5
.LBB21_93:
	s_delay_alu instid0(SALU_CYCLE_1)
	s_or_b32 exec_lo, exec_lo, s4
	s_waitcnt vmcnt(0)
	v_mov_b32_e32 v2, 0
	v_readfirstlane_b32 s4, v8
	v_readfirstlane_b32 s5, v9
	s_mov_b32 s8, exec_lo
	s_waitcnt lgkmcnt(0)
	s_clause 0x1
	global_load_b64 v[10:11], v2, s[2:3] offset:40
	global_load_b128 v[4:7], v2, s[2:3]
	s_waitcnt vmcnt(1)
	v_readfirstlane_b32 s6, v10
	v_readfirstlane_b32 s7, v11
	s_delay_alu instid0(VALU_DEP_1) | instskip(NEXT) | instid1(SALU_CYCLE_1)
	s_and_b64 s[6:7], s[4:5], s[6:7]
	s_mul_i32 s9, s7, 24
	s_mul_hi_u32 s10, s6, 24
	s_mul_i32 s11, s6, 24
	s_add_i32 s10, s10, s9
	s_waitcnt vmcnt(0)
	v_add_co_u32 v8, vcc_lo, v4, s11
	v_add_co_ci_u32_e32 v9, vcc_lo, s10, v5, vcc_lo
	s_and_saveexec_b32 s9, s0
	s_cbranch_execz .LBB21_95
; %bb.94:
	v_dual_mov_b32 v10, s8 :: v_dual_mov_b32 v11, v2
	v_dual_mov_b32 v12, 2 :: v_dual_mov_b32 v13, 1
	global_store_b128 v[8:9], v[10:13], off offset:8
.LBB21_95:
	s_or_b32 exec_lo, exec_lo, s9
	s_lshl_b64 s[6:7], s[6:7], 12
	s_mov_b32 s8, 0
	v_add_co_u32 v6, vcc_lo, v6, s6
	v_add_co_ci_u32_e32 v7, vcc_lo, s7, v7, vcc_lo
	s_mov_b32 s11, s8
	s_mov_b32 s9, s8
	;; [unrolled: 1-line block ×3, first 2 shown]
	v_and_or_b32 v0, 0xffffff1f, v0, 32
	v_dual_mov_b32 v3, v2 :: v_dual_lshlrev_b32 v14, 6, v33
	v_readfirstlane_b32 s6, v6
	v_readfirstlane_b32 s7, v7
	v_dual_mov_b32 v13, s11 :: v_dual_mov_b32 v12, s10
	v_dual_mov_b32 v11, s9 :: v_dual_mov_b32 v10, s8
	s_clause 0x3
	global_store_b128 v14, v[0:3], s[6:7]
	global_store_b128 v14, v[10:13], s[6:7] offset:16
	global_store_b128 v14, v[10:13], s[6:7] offset:32
	;; [unrolled: 1-line block ×3, first 2 shown]
	s_and_saveexec_b32 s6, s0
	s_cbranch_execz .LBB21_102
; %bb.96:
	v_mov_b32_e32 v6, 0
	s_mov_b32 s7, exec_lo
	s_clause 0x1
	global_load_b64 v[12:13], v6, s[2:3] offset:32 glc
	global_load_b64 v[0:1], v6, s[2:3] offset:40
	v_dual_mov_b32 v11, s5 :: v_dual_mov_b32 v10, s4
	s_waitcnt vmcnt(0)
	v_and_b32_e32 v1, s5, v1
	v_and_b32_e32 v0, s4, v0
	s_delay_alu instid0(VALU_DEP_2) | instskip(NEXT) | instid1(VALU_DEP_2)
	v_mul_lo_u32 v1, v1, 24
	v_mul_hi_u32 v2, v0, 24
	v_mul_lo_u32 v0, v0, 24
	s_delay_alu instid0(VALU_DEP_2) | instskip(NEXT) | instid1(VALU_DEP_2)
	v_add_nc_u32_e32 v1, v2, v1
	v_add_co_u32 v4, vcc_lo, v4, v0
	s_delay_alu instid0(VALU_DEP_2)
	v_add_co_ci_u32_e32 v5, vcc_lo, v5, v1, vcc_lo
	global_store_b64 v[4:5], v[12:13], off
	s_waitcnt_vscnt null, 0x0
	global_atomic_cmpswap_b64 v[2:3], v6, v[10:13], s[2:3] offset:32 glc
	s_waitcnt vmcnt(0)
	v_cmpx_ne_u64_e64 v[2:3], v[12:13]
	s_cbranch_execz .LBB21_98
.LBB21_97:                              ; =>This Inner Loop Header: Depth=1
	v_dual_mov_b32 v0, s4 :: v_dual_mov_b32 v1, s5
	s_sleep 1
	global_store_b64 v[4:5], v[2:3], off
	s_waitcnt_vscnt null, 0x0
	global_atomic_cmpswap_b64 v[0:1], v6, v[0:3], s[2:3] offset:32 glc
	s_waitcnt vmcnt(0)
	v_cmp_eq_u64_e32 vcc_lo, v[0:1], v[2:3]
	v_dual_mov_b32 v3, v1 :: v_dual_mov_b32 v2, v0
	s_or_b32 s8, vcc_lo, s8
	s_delay_alu instid0(SALU_CYCLE_1)
	s_and_not1_b32 exec_lo, exec_lo, s8
	s_cbranch_execnz .LBB21_97
.LBB21_98:
	s_or_b32 exec_lo, exec_lo, s7
	v_mov_b32_e32 v3, 0
	s_mov_b32 s8, exec_lo
	s_mov_b32 s7, exec_lo
	v_mbcnt_lo_u32_b32 v2, s8, 0
	global_load_b64 v[0:1], v3, s[2:3] offset:16
	v_cmpx_eq_u32_e32 0, v2
	s_cbranch_execz .LBB21_100
; %bb.99:
	s_bcnt1_i32_b32 s8, s8
	s_delay_alu instid0(SALU_CYCLE_1)
	v_mov_b32_e32 v2, s8
	s_waitcnt vmcnt(0)
	global_atomic_add_u64 v[0:1], v[2:3], off offset:8
.LBB21_100:
	s_or_b32 exec_lo, exec_lo, s7
	s_waitcnt vmcnt(0)
	global_load_b64 v[2:3], v[0:1], off offset:16
	s_waitcnt vmcnt(0)
	v_cmp_eq_u64_e32 vcc_lo, 0, v[2:3]
	s_cbranch_vccnz .LBB21_102
; %bb.101:
	global_load_b32 v0, v[0:1], off offset:24
	s_waitcnt vmcnt(0)
	v_dual_mov_b32 v1, 0 :: v_dual_and_b32 v4, 0xffffff, v0
	s_waitcnt_vscnt null, 0x0
	global_store_b64 v[2:3], v[0:1], off
	v_readfirstlane_b32 m0, v4
	s_sendmsg sendmsg(MSG_INTERRUPT)
.LBB21_102:
	s_or_b32 exec_lo, exec_lo, s6
	s_branch .LBB21_106
	.p2align	6
.LBB21_103:                             ;   in Loop: Header=BB21_106 Depth=1
	s_or_b32 exec_lo, exec_lo, s6
	s_delay_alu instid0(VALU_DEP_1) | instskip(NEXT) | instid1(VALU_DEP_1)
	v_readfirstlane_b32 s6, v0
	s_cmp_eq_u32 s6, 0
	s_cbranch_scc1 .LBB21_105
; %bb.104:                              ;   in Loop: Header=BB21_106 Depth=1
	s_sleep 1
	s_cbranch_execnz .LBB21_106
	s_branch .LBB21_109
	.p2align	6
.LBB21_105:
	s_branch .LBB21_109
.LBB21_106:                             ; =>This Inner Loop Header: Depth=1
	v_mov_b32_e32 v0, 1
	s_and_saveexec_b32 s6, s0
	s_cbranch_execz .LBB21_103
; %bb.107:                              ;   in Loop: Header=BB21_106 Depth=1
	global_load_b32 v0, v[8:9], off offset:20 glc
	s_waitcnt vmcnt(0)
	buffer_gl1_inv
	buffer_gl0_inv
	v_and_b32_e32 v0, 1, v0
	s_branch .LBB21_103
.LBB21_108:
	s_or_b32 exec_lo, exec_lo, s1
	s_waitcnt vmcnt(0) lgkmcnt(0)
	s_setpc_b64 s[30:31]
.LBB21_109:
	s_and_saveexec_b32 s6, s0
	s_cbranch_execz .LBB21_113
; %bb.110:
	v_mov_b32_e32 v6, 0
	s_clause 0x2
	global_load_b64 v[2:3], v6, s[2:3] offset:40
	global_load_b64 v[7:8], v6, s[2:3] offset:24 glc
	global_load_b64 v[4:5], v6, s[2:3]
	s_waitcnt vmcnt(2)
	v_add_co_u32 v9, vcc_lo, v2, 1
	v_add_co_ci_u32_e32 v10, vcc_lo, 0, v3, vcc_lo
	s_delay_alu instid0(VALU_DEP_2) | instskip(NEXT) | instid1(VALU_DEP_2)
	v_add_co_u32 v0, vcc_lo, v9, s4
	v_add_co_ci_u32_e32 v1, vcc_lo, s5, v10, vcc_lo
	s_delay_alu instid0(VALU_DEP_1) | instskip(SKIP_1) | instid1(VALU_DEP_1)
	v_cmp_eq_u64_e32 vcc_lo, 0, v[0:1]
	v_dual_cndmask_b32 v1, v1, v10 :: v_dual_cndmask_b32 v0, v0, v9
	v_and_b32_e32 v3, v1, v3
	s_delay_alu instid0(VALU_DEP_2) | instskip(NEXT) | instid1(VALU_DEP_2)
	v_and_b32_e32 v2, v0, v2
	v_mul_lo_u32 v3, v3, 24
	s_delay_alu instid0(VALU_DEP_2) | instskip(SKIP_1) | instid1(VALU_DEP_2)
	v_mul_hi_u32 v9, v2, 24
	v_mul_lo_u32 v2, v2, 24
	v_add_nc_u32_e32 v3, v9, v3
	s_waitcnt vmcnt(0)
	s_delay_alu instid0(VALU_DEP_2) | instskip(SKIP_1) | instid1(VALU_DEP_3)
	v_add_co_u32 v4, vcc_lo, v4, v2
	v_mov_b32_e32 v2, v7
	v_add_co_ci_u32_e32 v5, vcc_lo, v5, v3, vcc_lo
	v_mov_b32_e32 v3, v8
	global_store_b64 v[4:5], v[7:8], off
	s_waitcnt_vscnt null, 0x0
	global_atomic_cmpswap_b64 v[2:3], v6, v[0:3], s[2:3] offset:24 glc
	s_waitcnt vmcnt(0)
	v_cmp_ne_u64_e32 vcc_lo, v[2:3], v[7:8]
	s_and_b32 exec_lo, exec_lo, vcc_lo
	s_cbranch_execz .LBB21_113
; %bb.111:
	s_mov_b32 s0, 0
.LBB21_112:                             ; =>This Inner Loop Header: Depth=1
	s_sleep 1
	global_store_b64 v[4:5], v[2:3], off
	s_waitcnt_vscnt null, 0x0
	global_atomic_cmpswap_b64 v[7:8], v6, v[0:3], s[2:3] offset:24 glc
	s_waitcnt vmcnt(0)
	v_cmp_eq_u64_e32 vcc_lo, v[7:8], v[2:3]
	v_dual_mov_b32 v2, v7 :: v_dual_mov_b32 v3, v8
	s_or_b32 s0, vcc_lo, s0
	s_delay_alu instid0(SALU_CYCLE_1)
	s_and_not1_b32 exec_lo, exec_lo, s0
	s_cbranch_execnz .LBB21_112
.LBB21_113:
	s_or_b32 exec_lo, exec_lo, s6
	s_delay_alu instid0(SALU_CYCLE_1)
	s_or_b32 exec_lo, exec_lo, s1
	s_waitcnt lgkmcnt(0)
	s_setpc_b64 s[30:31]
.Lfunc_end21:
	.size	__ockl_fprintf_append_string_n, .Lfunc_end21-__ockl_fprintf_append_string_n
                                        ; -- End function
	.section	.AMDGPU.csdata,"",@progbits
; Function info:
; codeLenInByte = 4740
; NumSgprs: 34
; NumVgprs: 36
; ScratchSize: 0
; MemoryBound: 0
	.text
	.p2align	2                               ; -- Begin function __assert_fail
	.type	__assert_fail,@function
__assert_fail:                          ; @__assert_fail
; %bb.0:
	s_waitcnt vmcnt(0) expcnt(0) lgkmcnt(0)
	s_mov_b32 s20, s33
	s_mov_b32 s33, s32
	s_or_saveexec_b32 s0, -1
	scratch_store_b32 off, v40, s33 offset:48 ; 4-byte Folded Spill
	s_mov_b32 exec_lo, s0
	v_writelane_b32 v40, s30, 0
	s_add_i32 s32, s32, 64
	v_writelane_b32 v40, s31, 1
	s_getpc_b64 s[0:1]
	s_add_u32 s0, s0, __const.__assert_fail.fmt@rel32@lo+4
	s_addc_u32 s1, s1, __const.__assert_fail.fmt@rel32@hi+12
	s_getpc_b64 s[2:3]
	s_add_u32 s2, s2, __const.__assert_fail.fmt@rel32@lo+20
	s_addc_u32 s3, s3, __const.__assert_fail.fmt@rel32@hi+28
	v_mbcnt_lo_u32_b32 v35, -1, 0
	s_clause 0x1
	s_load_b128 s[4:7], s[0:1], 0x0
	s_load_b128 s[12:15], s[2:3], 0x0
	s_load_b64 s[2:3], s[8:9], 0x50
	v_dual_mov_b32 v5, v1 :: v_dual_mov_b32 v4, v0
	v_mov_b32_e32 v14, 0x73256020
	v_readfirstlane_b32 s0, v35
	v_mov_b32_e32 v0, 0
	v_dual_mov_b32 v2, 0 :: v_dual_mov_b32 v3, 0xa2e
	v_mov_b32_e32 v15, 0x61662027
	v_dual_mov_b32 v16, 0x64656c69 :: v_dual_mov_b32 v1, 0
	v_cmp_eq_u32_e64 s0, s0, v35
	s_waitcnt lgkmcnt(0)
	v_dual_mov_b32 v9, s7 :: v_dual_mov_b32 v8, s6
	v_dual_mov_b32 v7, s5 :: v_dual_mov_b32 v6, s4
	;; [unrolled: 1-line block ×4, first 2 shown]
	s_clause 0x4
	scratch_store_b128 off, v[6:9], s33
	scratch_store_b128 off, v[10:13], s33 offset:16
	scratch_store_b8 off, v2, s33 offset:46
	scratch_store_b16 off, v3, s33 offset:44
	scratch_store_b96 off, v[14:16], s33 offset:32
	s_and_saveexec_b32 s1, s0
	s_cbranch_execz .LBB22_6
; %bb.1:
	global_load_b64 v[8:9], v2, s[2:3] offset:24 glc
	s_waitcnt vmcnt(0)
	buffer_gl1_inv
	buffer_gl0_inv
	s_clause 0x1
	global_load_b64 v[0:1], v2, s[2:3] offset:40
	global_load_b64 v[6:7], v2, s[2:3]
	s_mov_b32 s4, exec_lo
	s_waitcnt vmcnt(1)
	v_and_b32_e32 v1, v1, v9
	v_and_b32_e32 v0, v0, v8
	s_delay_alu instid0(VALU_DEP_2) | instskip(NEXT) | instid1(VALU_DEP_2)
	v_mul_lo_u32 v1, v1, 24
	v_mul_hi_u32 v3, v0, 24
	v_mul_lo_u32 v0, v0, 24
	s_delay_alu instid0(VALU_DEP_2) | instskip(SKIP_1) | instid1(VALU_DEP_2)
	v_add_nc_u32_e32 v1, v3, v1
	s_waitcnt vmcnt(0)
	v_add_co_u32 v0, vcc_lo, v6, v0
	s_delay_alu instid0(VALU_DEP_2)
	v_add_co_ci_u32_e32 v1, vcc_lo, v7, v1, vcc_lo
	global_load_b64 v[6:7], v[0:1], off glc
	s_waitcnt vmcnt(0)
	global_atomic_cmpswap_b64 v[0:1], v2, v[6:9], s[2:3] offset:24 glc
	s_waitcnt vmcnt(0)
	buffer_gl1_inv
	buffer_gl0_inv
	v_cmpx_ne_u64_e64 v[0:1], v[8:9]
	s_cbranch_execz .LBB22_5
; %bb.2:
	s_mov_b32 s5, 0
	.p2align	6
.LBB22_3:                               ; =>This Inner Loop Header: Depth=1
	s_sleep 1
	s_clause 0x1
	global_load_b64 v[6:7], v2, s[2:3] offset:40
	global_load_b64 v[10:11], v2, s[2:3]
	v_dual_mov_b32 v9, v1 :: v_dual_mov_b32 v8, v0
	s_waitcnt vmcnt(1)
	s_delay_alu instid0(VALU_DEP_1) | instskip(SKIP_1) | instid1(VALU_DEP_1)
	v_and_b32_e32 v3, v6, v8
	s_waitcnt vmcnt(0)
	v_mad_u64_u32 v[0:1], null, v3, 24, v[10:11]
	v_and_b32_e32 v3, v7, v9
	s_delay_alu instid0(VALU_DEP_1) | instskip(NEXT) | instid1(VALU_DEP_1)
	v_mad_u64_u32 v[6:7], null, v3, 24, v[1:2]
	v_mov_b32_e32 v1, v6
	global_load_b64 v[6:7], v[0:1], off glc
	s_waitcnt vmcnt(0)
	global_atomic_cmpswap_b64 v[0:1], v2, v[6:9], s[2:3] offset:24 glc
	s_waitcnt vmcnt(0)
	buffer_gl1_inv
	buffer_gl0_inv
	v_cmp_eq_u64_e32 vcc_lo, v[0:1], v[8:9]
	s_or_b32 s5, vcc_lo, s5
	s_delay_alu instid0(SALU_CYCLE_1)
	s_and_not1_b32 exec_lo, exec_lo, s5
	s_cbranch_execnz .LBB22_3
; %bb.4:
	s_or_b32 exec_lo, exec_lo, s5
.LBB22_5:
	s_delay_alu instid0(SALU_CYCLE_1)
	s_or_b32 exec_lo, exec_lo, s4
.LBB22_6:
	s_delay_alu instid0(SALU_CYCLE_1)
	s_or_b32 exec_lo, exec_lo, s1
	s_clause 0x1
	global_load_b64 v[10:11], v2, s[2:3] offset:40
	global_load_b128 v[6:9], v2, s[2:3]
	v_readfirstlane_b32 s4, v0
	v_readfirstlane_b32 s5, v1
	s_mov_b32 s1, exec_lo
	s_waitcnt vmcnt(1)
	v_readfirstlane_b32 s6, v10
	v_readfirstlane_b32 s7, v11
	s_delay_alu instid0(VALU_DEP_1) | instskip(NEXT) | instid1(SALU_CYCLE_1)
	s_and_b64 s[6:7], s[4:5], s[6:7]
	s_mul_i32 s10, s7, 24
	s_mul_hi_u32 s11, s6, 24
	s_mul_i32 s12, s6, 24
	s_add_i32 s11, s11, s10
	s_waitcnt vmcnt(0)
	v_add_co_u32 v10, vcc_lo, v6, s12
	v_add_co_ci_u32_e32 v11, vcc_lo, s11, v7, vcc_lo
	s_and_saveexec_b32 s10, s0
	s_cbranch_execz .LBB22_8
; %bb.7:
	v_dual_mov_b32 v0, s1 :: v_dual_mov_b32 v1, 0
	v_dual_mov_b32 v2, 2 :: v_dual_mov_b32 v3, 1
	global_store_b128 v[10:11], v[0:3], off offset:8
.LBB22_8:
	s_or_b32 exec_lo, exec_lo, s10
	s_lshl_b64 s[6:7], s[6:7], 12
	v_dual_mov_b32 v1, 0 :: v_dual_lshlrev_b32 v34, 6, v35
	v_add_co_u32 v8, vcc_lo, v8, s6
	v_add_co_ci_u32_e32 v9, vcc_lo, s7, v9, vcc_lo
	s_mov_b32 s12, 0
	s_delay_alu instid0(VALU_DEP_2)
	v_add_co_u32 v12, vcc_lo, v8, v34
	s_mov_b32 s15, s12
	s_mov_b32 s13, s12
	;; [unrolled: 1-line block ×3, first 2 shown]
	v_dual_mov_b32 v0, 33 :: v_dual_mov_b32 v3, v1
	v_dual_mov_b32 v2, 1 :: v_dual_mov_b32 v17, s15
	v_readfirstlane_b32 s6, v8
	v_readfirstlane_b32 s7, v9
	v_add_co_ci_u32_e32 v13, vcc_lo, 0, v9, vcc_lo
	v_dual_mov_b32 v16, s14 :: v_dual_mov_b32 v15, s13
	v_mov_b32_e32 v14, s12
	s_clause 0x3
	global_store_b128 v34, v[0:3], s[6:7]
	global_store_b128 v34, v[14:17], s[6:7] offset:16
	global_store_b128 v34, v[14:17], s[6:7] offset:32
	;; [unrolled: 1-line block ×3, first 2 shown]
	s_and_saveexec_b32 s1, s0
	s_cbranch_execz .LBB22_16
; %bb.9:
	s_clause 0x1
	global_load_b64 v[16:17], v1, s[2:3] offset:32 glc
	global_load_b64 v[2:3], v1, s[2:3] offset:40
	v_mov_b32_e32 v14, s4
	s_mov_b32 s6, exec_lo
	s_waitcnt vmcnt(0)
	v_dual_mov_b32 v15, s5 :: v_dual_and_b32 v0, s5, v3
	v_and_b32_e32 v2, s4, v2
	s_delay_alu instid0(VALU_DEP_2) | instskip(NEXT) | instid1(VALU_DEP_2)
	v_mul_lo_u32 v0, v0, 24
	v_mul_hi_u32 v3, v2, 24
	v_mul_lo_u32 v2, v2, 24
	s_delay_alu instid0(VALU_DEP_2) | instskip(NEXT) | instid1(VALU_DEP_2)
	v_add_nc_u32_e32 v0, v3, v0
	v_add_co_u32 v2, vcc_lo, v6, v2
	s_delay_alu instid0(VALU_DEP_2)
	v_add_co_ci_u32_e32 v3, vcc_lo, v7, v0, vcc_lo
	global_store_b64 v[2:3], v[16:17], off
	s_waitcnt_vscnt null, 0x0
	global_atomic_cmpswap_b64 v[8:9], v1, v[14:17], s[2:3] offset:32 glc
	s_waitcnt vmcnt(0)
	v_cmpx_ne_u64_e64 v[8:9], v[16:17]
	s_cbranch_execz .LBB22_12
; %bb.10:
	s_mov_b32 s7, 0
.LBB22_11:                              ; =>This Inner Loop Header: Depth=1
	v_dual_mov_b32 v6, s4 :: v_dual_mov_b32 v7, s5
	s_sleep 1
	global_store_b64 v[2:3], v[8:9], off
	s_waitcnt_vscnt null, 0x0
	global_atomic_cmpswap_b64 v[6:7], v1, v[6:9], s[2:3] offset:32 glc
	s_waitcnt vmcnt(0)
	v_cmp_eq_u64_e32 vcc_lo, v[6:7], v[8:9]
	v_dual_mov_b32 v9, v7 :: v_dual_mov_b32 v8, v6
	s_or_b32 s7, vcc_lo, s7
	s_delay_alu instid0(SALU_CYCLE_1)
	s_and_not1_b32 exec_lo, exec_lo, s7
	s_cbranch_execnz .LBB22_11
.LBB22_12:
	s_or_b32 exec_lo, exec_lo, s6
	v_mov_b32_e32 v3, 0
	s_mov_b32 s7, exec_lo
	s_mov_b32 s6, exec_lo
	v_mbcnt_lo_u32_b32 v2, s7, 0
	global_load_b64 v[0:1], v3, s[2:3] offset:16
	v_cmpx_eq_u32_e32 0, v2
	s_cbranch_execz .LBB22_14
; %bb.13:
	s_bcnt1_i32_b32 s7, s7
	s_delay_alu instid0(SALU_CYCLE_1)
	v_mov_b32_e32 v2, s7
	s_waitcnt vmcnt(0)
	global_atomic_add_u64 v[0:1], v[2:3], off offset:8
.LBB22_14:
	s_or_b32 exec_lo, exec_lo, s6
	s_waitcnt vmcnt(0)
	global_load_b64 v[2:3], v[0:1], off offset:16
	s_waitcnt vmcnt(0)
	v_cmp_eq_u64_e32 vcc_lo, 0, v[2:3]
	s_cbranch_vccnz .LBB22_16
; %bb.15:
	global_load_b32 v0, v[0:1], off offset:24
	s_waitcnt vmcnt(0)
	v_dual_mov_b32 v1, 0 :: v_dual_and_b32 v6, 0xffffff, v0
	s_waitcnt_vscnt null, 0x0
	global_store_b64 v[2:3], v[0:1], off
	v_readfirstlane_b32 m0, v6
	s_sendmsg sendmsg(MSG_INTERRUPT)
.LBB22_16:
	s_or_b32 exec_lo, exec_lo, s1
	s_branch .LBB22_20
	.p2align	6
.LBB22_17:                              ;   in Loop: Header=BB22_20 Depth=1
	s_or_b32 exec_lo, exec_lo, s1
	s_delay_alu instid0(VALU_DEP_1) | instskip(NEXT) | instid1(VALU_DEP_1)
	v_readfirstlane_b32 s1, v0
	s_cmp_eq_u32 s1, 0
	s_cbranch_scc1 .LBB22_19
; %bb.18:                               ;   in Loop: Header=BB22_20 Depth=1
	s_sleep 1
	s_cbranch_execnz .LBB22_20
	s_branch .LBB22_22
	.p2align	6
.LBB22_19:
	s_branch .LBB22_22
.LBB22_20:                              ; =>This Inner Loop Header: Depth=1
	v_mov_b32_e32 v0, 1
	s_and_saveexec_b32 s1, s0
	s_cbranch_execz .LBB22_17
; %bb.21:                               ;   in Loop: Header=BB22_20 Depth=1
	global_load_b32 v0, v[10:11], off offset:20 glc
	s_waitcnt vmcnt(0)
	buffer_gl1_inv
	buffer_gl0_inv
	v_and_b32_e32 v0, 1, v0
	s_branch .LBB22_17
.LBB22_22:
	global_load_b64 v[6:7], v[12:13], off
	s_and_saveexec_b32 s1, s0
	s_cbranch_execz .LBB22_26
; %bb.23:
	v_mov_b32_e32 v10, 0
	s_clause 0x2
	global_load_b64 v[2:3], v10, s[2:3] offset:40
	global_load_b64 v[11:12], v10, s[2:3] offset:24 glc
	global_load_b64 v[8:9], v10, s[2:3]
	s_waitcnt vmcnt(2)
	v_add_co_u32 v13, vcc_lo, v2, 1
	v_add_co_ci_u32_e32 v14, vcc_lo, 0, v3, vcc_lo
	s_delay_alu instid0(VALU_DEP_2) | instskip(NEXT) | instid1(VALU_DEP_2)
	v_add_co_u32 v0, vcc_lo, v13, s4
	v_add_co_ci_u32_e32 v1, vcc_lo, s5, v14, vcc_lo
	s_delay_alu instid0(VALU_DEP_1) | instskip(SKIP_1) | instid1(VALU_DEP_1)
	v_cmp_eq_u64_e32 vcc_lo, 0, v[0:1]
	v_dual_cndmask_b32 v1, v1, v14 :: v_dual_cndmask_b32 v0, v0, v13
	v_and_b32_e32 v3, v1, v3
	s_delay_alu instid0(VALU_DEP_2) | instskip(NEXT) | instid1(VALU_DEP_2)
	v_and_b32_e32 v2, v0, v2
	v_mul_lo_u32 v3, v3, 24
	s_delay_alu instid0(VALU_DEP_2) | instskip(SKIP_1) | instid1(VALU_DEP_2)
	v_mul_hi_u32 v13, v2, 24
	v_mul_lo_u32 v2, v2, 24
	v_add_nc_u32_e32 v3, v13, v3
	s_waitcnt vmcnt(0)
	s_delay_alu instid0(VALU_DEP_2) | instskip(SKIP_1) | instid1(VALU_DEP_3)
	v_add_co_u32 v8, vcc_lo, v8, v2
	v_mov_b32_e32 v2, v11
	v_add_co_ci_u32_e32 v9, vcc_lo, v9, v3, vcc_lo
	v_mov_b32_e32 v3, v12
	global_store_b64 v[8:9], v[11:12], off
	s_waitcnt_vscnt null, 0x0
	global_atomic_cmpswap_b64 v[2:3], v10, v[0:3], s[2:3] offset:24 glc
	s_waitcnt vmcnt(0)
	v_cmp_ne_u64_e32 vcc_lo, v[2:3], v[11:12]
	s_and_b32 exec_lo, exec_lo, vcc_lo
	s_cbranch_execz .LBB22_26
; %bb.24:
	s_mov_b32 s0, 0
.LBB22_25:                              ; =>This Inner Loop Header: Depth=1
	s_sleep 1
	global_store_b64 v[8:9], v[2:3], off
	s_waitcnt_vscnt null, 0x0
	global_atomic_cmpswap_b64 v[11:12], v10, v[0:3], s[2:3] offset:24 glc
	s_waitcnt vmcnt(0)
	v_cmp_eq_u64_e32 vcc_lo, v[11:12], v[2:3]
	v_dual_mov_b32 v2, v11 :: v_dual_mov_b32 v3, v12
	s_or_b32 s0, vcc_lo, s0
	s_delay_alu instid0(SALU_CYCLE_1)
	s_and_not1_b32 exec_lo, exec_lo, s0
	s_cbranch_execnz .LBB22_25
.LBB22_26:
	s_or_b32 exec_lo, exec_lo, s1
	v_mov_b32_e32 v1, s33
	s_mov_b32 s0, 0
.LBB22_27:                              ; =>This Inner Loop Header: Depth=1
	scratch_load_u8 v2, v1, off
	v_add_nc_u32_e32 v0, 1, v1
	s_delay_alu instid0(VALU_DEP_1) | instskip(SKIP_3) | instid1(SALU_CYCLE_1)
	v_mov_b32_e32 v1, v0
	s_waitcnt vmcnt(0)
	v_cmp_eq_u16_e32 vcc_lo, 0, v2
	s_or_b32 s0, vcc_lo, s0
	s_and_not1_b32 exec_lo, exec_lo, s0
	s_cbranch_execnz .LBB22_27
; %bb.28:
	s_or_b32 exec_lo, exec_lo, s0
	v_cmp_ne_u32_e64 s0, -1, s33
	s_delay_alu instid0(VALU_DEP_1)
	s_and_b32 vcc_lo, exec_lo, s0
	s_cbranch_vccz .LBB22_113
; %bb.29:
	v_subrev_nc_u32_e32 v28, s33, v0
	v_dual_mov_b32 v9, 0 :: v_dual_and_b32 v36, 2, v6
	v_dual_mov_b32 v1, v7 :: v_dual_and_b32 v0, -3, v6
	s_delay_alu instid0(VALU_DEP_3)
	v_ashrrev_i32_e32 v29, 31, v28
	v_dual_mov_b32 v37, s33 :: v_dual_mov_b32 v10, 2
	v_mov_b32_e32 v11, 1
	s_mov_b32 s11, 0
	s_mov_b32 s10, 0
	s_branch .LBB22_31
.LBB22_30:                              ;   in Loop: Header=BB22_31 Depth=1
	s_or_b32 exec_lo, exec_lo, s1
	v_sub_co_u32 v28, vcc_lo, v28, v30
	v_sub_co_ci_u32_e32 v29, vcc_lo, v29, v31, vcc_lo
	v_add_nc_u32_e32 v37, v37, v30
	s_delay_alu instid0(VALU_DEP_2) | instskip(SKIP_1) | instid1(SALU_CYCLE_1)
	v_cmp_eq_u64_e32 vcc_lo, 0, v[28:29]
	s_or_b32 s10, vcc_lo, s10
	s_and_not1_b32 exec_lo, exec_lo, s10
	s_cbranch_execz .LBB22_114
.LBB22_31:                              ; =>This Loop Header: Depth=1
                                        ;     Child Loop BB22_34 Depth 2
                                        ;     Child Loop BB22_42 Depth 2
	;; [unrolled: 1-line block ×11, first 2 shown]
	v_cmp_gt_u64_e32 vcc_lo, 56, v[28:29]
	s_mov_b32 s4, exec_lo
                                        ; implicit-def: $vgpr2_vgpr3
                                        ; implicit-def: $sgpr1
	v_dual_cndmask_b32 v31, 0, v29 :: v_dual_cndmask_b32 v30, 56, v28
	v_cmpx_gt_u64_e32 8, v[28:29]
	s_xor_b32 s4, exec_lo, s4
	s_cbranch_execz .LBB22_37
; %bb.32:                               ;   in Loop: Header=BB22_31 Depth=1
	s_waitcnt vmcnt(0)
	v_mov_b32_e32 v2, 0
	v_mov_b32_e32 v3, 0
	s_mov_b64 s[0:1], 0
	s_mov_b32 s5, exec_lo
	v_cmpx_ne_u64_e32 0, v[28:29]
	s_cbranch_execz .LBB22_36
; %bb.33:                               ;   in Loop: Header=BB22_31 Depth=1
	v_lshlrev_b64 v[12:13], 3, v[30:31]
	v_mov_b32_e32 v2, 0
	v_dual_mov_b32 v3, 0 :: v_dual_mov_b32 v8, v37
	s_mov_b32 s6, 0
.LBB22_34:                              ;   Parent Loop BB22_31 Depth=1
                                        ; =>  This Inner Loop Header: Depth=2
	scratch_load_u8 v13, v8, off
	v_mov_b32_e32 v14, s11
	v_add_nc_u32_e32 v8, 1, v8
	s_waitcnt vmcnt(0)
	v_and_b32_e32 v13, 0xffff, v13
	s_delay_alu instid0(VALU_DEP_1) | instskip(SKIP_3) | instid1(VALU_DEP_2)
	v_lshlrev_b64 v[13:14], s0, v[13:14]
	s_add_u32 s0, s0, 8
	s_addc_u32 s1, s1, 0
	v_cmp_eq_u32_e32 vcc_lo, s0, v12
	v_or_b32_e32 v3, v14, v3
	s_delay_alu instid0(VALU_DEP_3) | instskip(SKIP_1) | instid1(SALU_CYCLE_1)
	v_or_b32_e32 v2, v13, v2
	s_or_b32 s6, vcc_lo, s6
	s_and_not1_b32 exec_lo, exec_lo, s6
	s_cbranch_execnz .LBB22_34
; %bb.35:                               ;   in Loop: Header=BB22_31 Depth=1
	s_or_b32 exec_lo, exec_lo, s6
.LBB22_36:                              ;   in Loop: Header=BB22_31 Depth=1
	s_delay_alu instid0(SALU_CYCLE_1)
	s_or_b32 exec_lo, exec_lo, s5
	s_mov_b32 s1, 0
.LBB22_37:                              ;   in Loop: Header=BB22_31 Depth=1
	s_or_saveexec_b32 s0, s4
	v_mov_b32_e32 v14, s1
	v_mov_b32_e32 v8, v37
	s_xor_b32 exec_lo, exec_lo, s0
	s_cbranch_execz .LBB22_39
; %bb.38:                               ;   in Loop: Header=BB22_31 Depth=1
	scratch_load_b64 v[2:3], v37, off
	v_add_nc_u32_e32 v14, -8, v30
	s_waitcnt vmcnt(0)
	v_and_b32_e32 v8, 0xff, v3
	v_and_b32_e32 v12, 0xff00, v3
	v_and_b32_e32 v13, 0xff0000, v3
	v_and_b32_e32 v3, 0xff000000, v3
	v_or3_b32 v2, v2, 0, 0
	s_delay_alu instid0(VALU_DEP_4) | instskip(NEXT) | instid1(VALU_DEP_1)
	v_or_b32_e32 v8, v8, v12
	v_or3_b32 v3, v8, v13, v3
	v_add_nc_u32_e32 v8, 8, v37
.LBB22_39:                              ;   in Loop: Header=BB22_31 Depth=1
	s_or_b32 exec_lo, exec_lo, s0
                                        ; implicit-def: $vgpr12_vgpr13
                                        ; implicit-def: $sgpr1
	s_delay_alu instid0(SALU_CYCLE_1)
	s_mov_b32 s0, exec_lo
	v_cmpx_gt_u32_e32 8, v14
	s_xor_b32 s4, exec_lo, s0
	s_cbranch_execz .LBB22_45
; %bb.40:                               ;   in Loop: Header=BB22_31 Depth=1
	v_mov_b32_e32 v12, 0
	v_mov_b32_e32 v13, 0
	s_mov_b32 s5, exec_lo
	v_cmpx_ne_u32_e32 0, v14
	s_cbranch_execz .LBB22_44
; %bb.41:                               ;   in Loop: Header=BB22_31 Depth=1
	v_mov_b32_e32 v12, 0
	v_mov_b32_e32 v13, 0
	s_mov_b64 s[0:1], 0
	s_mov_b32 s6, 0
	s_mov_b32 s7, 0
	.p2align	6
.LBB22_42:                              ;   Parent Loop BB22_31 Depth=1
                                        ; =>  This Inner Loop Header: Depth=2
	s_delay_alu instid0(SALU_CYCLE_1) | instskip(SKIP_1) | instid1(SALU_CYCLE_1)
	v_dual_mov_b32 v16, s11 :: v_dual_add_nc_u32 v15, s7, v8
	s_add_i32 s7, s7, 1
	v_cmp_eq_u32_e32 vcc_lo, s7, v14
	scratch_load_u8 v15, v15, off
	s_waitcnt vmcnt(0)
	v_and_b32_e32 v15, 0xffff, v15
	s_delay_alu instid0(VALU_DEP_1) | instskip(SKIP_3) | instid1(VALU_DEP_1)
	v_lshlrev_b64 v[15:16], s0, v[15:16]
	s_add_u32 s0, s0, 8
	s_addc_u32 s1, s1, 0
	s_or_b32 s6, vcc_lo, s6
	v_or_b32_e32 v13, v16, v13
	s_delay_alu instid0(VALU_DEP_2)
	v_or_b32_e32 v12, v15, v12
	s_and_not1_b32 exec_lo, exec_lo, s6
	s_cbranch_execnz .LBB22_42
; %bb.43:                               ;   in Loop: Header=BB22_31 Depth=1
	s_or_b32 exec_lo, exec_lo, s6
.LBB22_44:                              ;   in Loop: Header=BB22_31 Depth=1
	s_delay_alu instid0(SALU_CYCLE_1)
	s_or_b32 exec_lo, exec_lo, s5
	s_mov_b32 s1, 0
                                        ; implicit-def: $vgpr14
.LBB22_45:                              ;   in Loop: Header=BB22_31 Depth=1
	s_or_saveexec_b32 s0, s4
	v_mov_b32_e32 v16, s1
	s_xor_b32 exec_lo, exec_lo, s0
	s_cbranch_execz .LBB22_47
; %bb.46:                               ;   in Loop: Header=BB22_31 Depth=1
	scratch_load_b64 v[12:13], v8, off
	v_add_nc_u32_e32 v8, 8, v8
	s_waitcnt vmcnt(0)
	v_and_b32_e32 v15, 0xff, v13
	v_and_b32_e32 v16, 0xff00, v13
	;; [unrolled: 1-line block ×4, first 2 shown]
	v_or3_b32 v12, v12, 0, 0
	s_delay_alu instid0(VALU_DEP_4) | instskip(SKIP_1) | instid1(VALU_DEP_2)
	v_or_b32_e32 v15, v15, v16
	v_add_nc_u32_e32 v16, -8, v14
	v_or3_b32 v13, v15, v17, v13
.LBB22_47:                              ;   in Loop: Header=BB22_31 Depth=1
	s_or_b32 exec_lo, exec_lo, s0
                                        ; implicit-def: $sgpr1
	s_delay_alu instid0(SALU_CYCLE_1) | instskip(NEXT) | instid1(VALU_DEP_1)
	s_mov_b32 s0, exec_lo
	v_cmpx_gt_u32_e32 8, v16
	s_xor_b32 s4, exec_lo, s0
	s_cbranch_execz .LBB22_53
; %bb.48:                               ;   in Loop: Header=BB22_31 Depth=1
	v_mov_b32_e32 v14, 0
	v_mov_b32_e32 v15, 0
	s_mov_b32 s5, exec_lo
	v_cmpx_ne_u32_e32 0, v16
	s_cbranch_execz .LBB22_52
; %bb.49:                               ;   in Loop: Header=BB22_31 Depth=1
	v_mov_b32_e32 v14, 0
	v_mov_b32_e32 v15, 0
	s_mov_b64 s[0:1], 0
	s_mov_b32 s6, 0
	s_mov_b32 s7, 0
	.p2align	6
.LBB22_50:                              ;   Parent Loop BB22_31 Depth=1
                                        ; =>  This Inner Loop Header: Depth=2
	s_delay_alu instid0(SALU_CYCLE_1) | instskip(SKIP_1) | instid1(SALU_CYCLE_1)
	v_dual_mov_b32 v18, s11 :: v_dual_add_nc_u32 v17, s7, v8
	s_add_i32 s7, s7, 1
	v_cmp_eq_u32_e32 vcc_lo, s7, v16
	scratch_load_u8 v17, v17, off
	s_waitcnt vmcnt(0)
	v_and_b32_e32 v17, 0xffff, v17
	s_delay_alu instid0(VALU_DEP_1) | instskip(SKIP_3) | instid1(VALU_DEP_1)
	v_lshlrev_b64 v[17:18], s0, v[17:18]
	s_add_u32 s0, s0, 8
	s_addc_u32 s1, s1, 0
	s_or_b32 s6, vcc_lo, s6
	v_or_b32_e32 v15, v18, v15
	s_delay_alu instid0(VALU_DEP_2)
	v_or_b32_e32 v14, v17, v14
	s_and_not1_b32 exec_lo, exec_lo, s6
	s_cbranch_execnz .LBB22_50
; %bb.51:                               ;   in Loop: Header=BB22_31 Depth=1
	s_or_b32 exec_lo, exec_lo, s6
.LBB22_52:                              ;   in Loop: Header=BB22_31 Depth=1
	s_delay_alu instid0(SALU_CYCLE_1)
	s_or_b32 exec_lo, exec_lo, s5
	s_mov_b32 s1, 0
                                        ; implicit-def: $vgpr16
.LBB22_53:                              ;   in Loop: Header=BB22_31 Depth=1
	s_or_saveexec_b32 s0, s4
	v_mov_b32_e32 v18, s1
	s_xor_b32 exec_lo, exec_lo, s0
	s_cbranch_execz .LBB22_55
; %bb.54:                               ;   in Loop: Header=BB22_31 Depth=1
	scratch_load_b64 v[14:15], v8, off
	v_add_nc_u32_e32 v8, 8, v8
	s_waitcnt vmcnt(0)
	v_and_b32_e32 v17, 0xff, v15
	v_and_b32_e32 v18, 0xff00, v15
	v_and_b32_e32 v19, 0xff0000, v15
	v_and_b32_e32 v15, 0xff000000, v15
	v_or3_b32 v14, v14, 0, 0
	s_delay_alu instid0(VALU_DEP_4) | instskip(SKIP_1) | instid1(VALU_DEP_2)
	v_or_b32_e32 v17, v17, v18
	v_add_nc_u32_e32 v18, -8, v16
	v_or3_b32 v15, v17, v19, v15
.LBB22_55:                              ;   in Loop: Header=BB22_31 Depth=1
	s_or_b32 exec_lo, exec_lo, s0
                                        ; implicit-def: $vgpr16_vgpr17
                                        ; implicit-def: $sgpr1
	s_delay_alu instid0(SALU_CYCLE_1) | instskip(NEXT) | instid1(VALU_DEP_1)
	s_mov_b32 s0, exec_lo
	v_cmpx_gt_u32_e32 8, v18
	s_xor_b32 s4, exec_lo, s0
	s_cbranch_execz .LBB22_61
; %bb.56:                               ;   in Loop: Header=BB22_31 Depth=1
	v_mov_b32_e32 v16, 0
	v_mov_b32_e32 v17, 0
	s_mov_b32 s5, exec_lo
	v_cmpx_ne_u32_e32 0, v18
	s_cbranch_execz .LBB22_60
; %bb.57:                               ;   in Loop: Header=BB22_31 Depth=1
	v_mov_b32_e32 v16, 0
	v_mov_b32_e32 v17, 0
	s_mov_b64 s[0:1], 0
	s_mov_b32 s6, 0
	s_mov_b32 s7, 0
	.p2align	6
.LBB22_58:                              ;   Parent Loop BB22_31 Depth=1
                                        ; =>  This Inner Loop Header: Depth=2
	s_delay_alu instid0(SALU_CYCLE_1) | instskip(SKIP_1) | instid1(SALU_CYCLE_1)
	v_dual_mov_b32 v20, s11 :: v_dual_add_nc_u32 v19, s7, v8
	s_add_i32 s7, s7, 1
	v_cmp_eq_u32_e32 vcc_lo, s7, v18
	scratch_load_u8 v19, v19, off
	s_waitcnt vmcnt(0)
	v_and_b32_e32 v19, 0xffff, v19
	s_delay_alu instid0(VALU_DEP_1) | instskip(SKIP_3) | instid1(VALU_DEP_1)
	v_lshlrev_b64 v[19:20], s0, v[19:20]
	s_add_u32 s0, s0, 8
	s_addc_u32 s1, s1, 0
	s_or_b32 s6, vcc_lo, s6
	v_or_b32_e32 v17, v20, v17
	s_delay_alu instid0(VALU_DEP_2)
	v_or_b32_e32 v16, v19, v16
	s_and_not1_b32 exec_lo, exec_lo, s6
	s_cbranch_execnz .LBB22_58
; %bb.59:                               ;   in Loop: Header=BB22_31 Depth=1
	s_or_b32 exec_lo, exec_lo, s6
.LBB22_60:                              ;   in Loop: Header=BB22_31 Depth=1
	s_delay_alu instid0(SALU_CYCLE_1)
	s_or_b32 exec_lo, exec_lo, s5
	s_mov_b32 s1, 0
                                        ; implicit-def: $vgpr18
.LBB22_61:                              ;   in Loop: Header=BB22_31 Depth=1
	s_or_saveexec_b32 s0, s4
	v_mov_b32_e32 v20, s1
	s_xor_b32 exec_lo, exec_lo, s0
	s_cbranch_execz .LBB22_63
; %bb.62:                               ;   in Loop: Header=BB22_31 Depth=1
	scratch_load_b64 v[16:17], v8, off
	v_add_nc_u32_e32 v8, 8, v8
	s_waitcnt vmcnt(0)
	v_and_b32_e32 v19, 0xff, v17
	v_and_b32_e32 v20, 0xff00, v17
	;; [unrolled: 1-line block ×4, first 2 shown]
	v_or3_b32 v16, v16, 0, 0
	s_delay_alu instid0(VALU_DEP_4) | instskip(SKIP_1) | instid1(VALU_DEP_2)
	v_or_b32_e32 v19, v19, v20
	v_add_nc_u32_e32 v20, -8, v18
	v_or3_b32 v17, v19, v21, v17
.LBB22_63:                              ;   in Loop: Header=BB22_31 Depth=1
	s_or_b32 exec_lo, exec_lo, s0
                                        ; implicit-def: $sgpr1
	s_delay_alu instid0(SALU_CYCLE_1) | instskip(NEXT) | instid1(VALU_DEP_1)
	s_mov_b32 s0, exec_lo
	v_cmpx_gt_u32_e32 8, v20
	s_xor_b32 s4, exec_lo, s0
	s_cbranch_execz .LBB22_69
; %bb.64:                               ;   in Loop: Header=BB22_31 Depth=1
	v_mov_b32_e32 v18, 0
	v_mov_b32_e32 v19, 0
	s_mov_b32 s5, exec_lo
	v_cmpx_ne_u32_e32 0, v20
	s_cbranch_execz .LBB22_68
; %bb.65:                               ;   in Loop: Header=BB22_31 Depth=1
	v_mov_b32_e32 v18, 0
	v_mov_b32_e32 v19, 0
	s_mov_b64 s[0:1], 0
	s_mov_b32 s6, 0
	s_mov_b32 s7, 0
	.p2align	6
.LBB22_66:                              ;   Parent Loop BB22_31 Depth=1
                                        ; =>  This Inner Loop Header: Depth=2
	s_delay_alu instid0(SALU_CYCLE_1) | instskip(SKIP_1) | instid1(SALU_CYCLE_1)
	v_dual_mov_b32 v22, s11 :: v_dual_add_nc_u32 v21, s7, v8
	s_add_i32 s7, s7, 1
	v_cmp_eq_u32_e32 vcc_lo, s7, v20
	scratch_load_u8 v21, v21, off
	s_waitcnt vmcnt(0)
	v_and_b32_e32 v21, 0xffff, v21
	s_delay_alu instid0(VALU_DEP_1) | instskip(SKIP_3) | instid1(VALU_DEP_1)
	v_lshlrev_b64 v[21:22], s0, v[21:22]
	s_add_u32 s0, s0, 8
	s_addc_u32 s1, s1, 0
	s_or_b32 s6, vcc_lo, s6
	v_or_b32_e32 v19, v22, v19
	s_delay_alu instid0(VALU_DEP_2)
	v_or_b32_e32 v18, v21, v18
	s_and_not1_b32 exec_lo, exec_lo, s6
	s_cbranch_execnz .LBB22_66
; %bb.67:                               ;   in Loop: Header=BB22_31 Depth=1
	s_or_b32 exec_lo, exec_lo, s6
.LBB22_68:                              ;   in Loop: Header=BB22_31 Depth=1
	s_delay_alu instid0(SALU_CYCLE_1)
	s_or_b32 exec_lo, exec_lo, s5
	s_mov_b32 s1, 0
                                        ; implicit-def: $vgpr20
.LBB22_69:                              ;   in Loop: Header=BB22_31 Depth=1
	s_or_saveexec_b32 s0, s4
	v_mov_b32_e32 v22, s1
	s_xor_b32 exec_lo, exec_lo, s0
	s_cbranch_execz .LBB22_71
; %bb.70:                               ;   in Loop: Header=BB22_31 Depth=1
	scratch_load_b64 v[18:19], v8, off
	v_add_nc_u32_e32 v8, 8, v8
	s_waitcnt vmcnt(0)
	v_and_b32_e32 v21, 0xff, v19
	v_and_b32_e32 v22, 0xff00, v19
	;; [unrolled: 1-line block ×4, first 2 shown]
	v_or3_b32 v18, v18, 0, 0
	s_delay_alu instid0(VALU_DEP_4) | instskip(SKIP_1) | instid1(VALU_DEP_2)
	v_or_b32_e32 v21, v21, v22
	v_add_nc_u32_e32 v22, -8, v20
	v_or3_b32 v19, v21, v23, v19
.LBB22_71:                              ;   in Loop: Header=BB22_31 Depth=1
	s_or_b32 exec_lo, exec_lo, s0
                                        ; implicit-def: $vgpr20_vgpr21
                                        ; implicit-def: $sgpr1
	s_delay_alu instid0(SALU_CYCLE_1) | instskip(NEXT) | instid1(VALU_DEP_1)
	s_mov_b32 s0, exec_lo
	v_cmpx_gt_u32_e32 8, v22
	s_xor_b32 s4, exec_lo, s0
	s_cbranch_execz .LBB22_77
; %bb.72:                               ;   in Loop: Header=BB22_31 Depth=1
	v_mov_b32_e32 v20, 0
	v_mov_b32_e32 v21, 0
	s_mov_b32 s5, exec_lo
	v_cmpx_ne_u32_e32 0, v22
	s_cbranch_execz .LBB22_76
; %bb.73:                               ;   in Loop: Header=BB22_31 Depth=1
	v_mov_b32_e32 v20, 0
	v_mov_b32_e32 v21, 0
	s_mov_b64 s[0:1], 0
	s_mov_b32 s6, 0
	s_mov_b32 s7, 0
	.p2align	6
.LBB22_74:                              ;   Parent Loop BB22_31 Depth=1
                                        ; =>  This Inner Loop Header: Depth=2
	s_delay_alu instid0(SALU_CYCLE_1) | instskip(SKIP_1) | instid1(SALU_CYCLE_1)
	v_dual_mov_b32 v24, s11 :: v_dual_add_nc_u32 v23, s7, v8
	s_add_i32 s7, s7, 1
	v_cmp_eq_u32_e32 vcc_lo, s7, v22
	scratch_load_u8 v23, v23, off
	s_waitcnt vmcnt(0)
	v_and_b32_e32 v23, 0xffff, v23
	s_delay_alu instid0(VALU_DEP_1) | instskip(SKIP_3) | instid1(VALU_DEP_1)
	v_lshlrev_b64 v[23:24], s0, v[23:24]
	s_add_u32 s0, s0, 8
	s_addc_u32 s1, s1, 0
	s_or_b32 s6, vcc_lo, s6
	v_or_b32_e32 v21, v24, v21
	s_delay_alu instid0(VALU_DEP_2)
	v_or_b32_e32 v20, v23, v20
	s_and_not1_b32 exec_lo, exec_lo, s6
	s_cbranch_execnz .LBB22_74
; %bb.75:                               ;   in Loop: Header=BB22_31 Depth=1
	s_or_b32 exec_lo, exec_lo, s6
.LBB22_76:                              ;   in Loop: Header=BB22_31 Depth=1
	s_delay_alu instid0(SALU_CYCLE_1)
	s_or_b32 exec_lo, exec_lo, s5
	s_mov_b32 s1, 0
                                        ; implicit-def: $vgpr22
.LBB22_77:                              ;   in Loop: Header=BB22_31 Depth=1
	s_or_saveexec_b32 s0, s4
	v_mov_b32_e32 v24, s1
	s_xor_b32 exec_lo, exec_lo, s0
	s_cbranch_execz .LBB22_79
; %bb.78:                               ;   in Loop: Header=BB22_31 Depth=1
	scratch_load_b64 v[20:21], v8, off
	v_add_nc_u32_e32 v8, 8, v8
	s_waitcnt vmcnt(0)
	v_and_b32_e32 v23, 0xff, v21
	v_and_b32_e32 v24, 0xff00, v21
	;; [unrolled: 1-line block ×4, first 2 shown]
	v_or3_b32 v20, v20, 0, 0
	s_delay_alu instid0(VALU_DEP_4) | instskip(SKIP_1) | instid1(VALU_DEP_2)
	v_or_b32_e32 v23, v23, v24
	v_add_nc_u32_e32 v24, -8, v22
	v_or3_b32 v21, v23, v25, v21
.LBB22_79:                              ;   in Loop: Header=BB22_31 Depth=1
	s_or_b32 exec_lo, exec_lo, s0
	s_delay_alu instid0(SALU_CYCLE_1) | instskip(NEXT) | instid1(VALU_DEP_1)
	s_mov_b32 s0, exec_lo
	v_cmpx_gt_u32_e32 8, v24
	s_xor_b32 s4, exec_lo, s0
	s_cbranch_execz .LBB22_85
; %bb.80:                               ;   in Loop: Header=BB22_31 Depth=1
	v_mov_b32_e32 v22, 0
	v_mov_b32_e32 v23, 0
	s_mov_b32 s5, exec_lo
	v_cmpx_ne_u32_e32 0, v24
	s_cbranch_execz .LBB22_84
; %bb.81:                               ;   in Loop: Header=BB22_31 Depth=1
	v_mov_b32_e32 v22, 0
	v_mov_b32_e32 v23, 0
	s_mov_b64 s[0:1], 0
	s_mov_b32 s6, 0
	.p2align	6
.LBB22_82:                              ;   Parent Loop BB22_31 Depth=1
                                        ; =>  This Inner Loop Header: Depth=2
	scratch_load_u8 v25, v8, off
	v_mov_b32_e32 v26, s11
	v_add_nc_u32_e32 v24, -1, v24
	v_add_nc_u32_e32 v8, 1, v8
	s_delay_alu instid0(VALU_DEP_2) | instskip(SKIP_2) | instid1(VALU_DEP_1)
	v_cmp_eq_u32_e32 vcc_lo, 0, v24
	s_waitcnt vmcnt(0)
	v_and_b32_e32 v25, 0xffff, v25
	v_lshlrev_b64 v[25:26], s0, v[25:26]
	s_add_u32 s0, s0, 8
	s_addc_u32 s1, s1, 0
	s_or_b32 s6, vcc_lo, s6
	s_delay_alu instid0(VALU_DEP_1) | instskip(NEXT) | instid1(VALU_DEP_2)
	v_or_b32_e32 v23, v26, v23
	v_or_b32_e32 v22, v25, v22
	s_and_not1_b32 exec_lo, exec_lo, s6
	s_cbranch_execnz .LBB22_82
; %bb.83:                               ;   in Loop: Header=BB22_31 Depth=1
	s_or_b32 exec_lo, exec_lo, s6
.LBB22_84:                              ;   in Loop: Header=BB22_31 Depth=1
	s_delay_alu instid0(SALU_CYCLE_1)
	s_or_b32 exec_lo, exec_lo, s5
                                        ; implicit-def: $vgpr8
.LBB22_85:                              ;   in Loop: Header=BB22_31 Depth=1
	s_and_not1_saveexec_b32 s0, s4
	s_cbranch_execz .LBB22_87
; %bb.86:                               ;   in Loop: Header=BB22_31 Depth=1
	scratch_load_b64 v[22:23], v8, off
	s_waitcnt vmcnt(0)
	v_and_b32_e32 v8, 0xff, v23
	v_and_b32_e32 v24, 0xff00, v23
	;; [unrolled: 1-line block ×4, first 2 shown]
	v_or3_b32 v22, v22, 0, 0
	s_delay_alu instid0(VALU_DEP_4) | instskip(NEXT) | instid1(VALU_DEP_1)
	v_or_b32_e32 v8, v8, v24
	v_or3_b32 v23, v8, v25, v23
.LBB22_87:                              ;   in Loop: Header=BB22_31 Depth=1
	s_or_b32 exec_lo, exec_lo, s0
	v_readfirstlane_b32 s0, v35
	v_mov_b32_e32 v32, 0
	v_mov_b32_e32 v33, 0
	s_delay_alu instid0(VALU_DEP_3) | instskip(NEXT) | instid1(VALU_DEP_1)
	v_cmp_eq_u32_e64 s0, s0, v35
	s_and_saveexec_b32 s1, s0
	s_cbranch_execz .LBB22_93
; %bb.88:                               ;   in Loop: Header=BB22_31 Depth=1
	global_load_b64 v[26:27], v9, s[2:3] offset:24 glc
	s_waitcnt vmcnt(0)
	buffer_gl1_inv
	buffer_gl0_inv
	s_clause 0x1
	global_load_b64 v[24:25], v9, s[2:3] offset:40
	global_load_b64 v[32:33], v9, s[2:3]
	s_mov_b32 s4, exec_lo
	s_waitcnt vmcnt(1)
	v_and_b32_e32 v8, v25, v27
	v_and_b32_e32 v24, v24, v26
	s_delay_alu instid0(VALU_DEP_2) | instskip(NEXT) | instid1(VALU_DEP_2)
	v_mul_lo_u32 v8, v8, 24
	v_mul_hi_u32 v25, v24, 24
	v_mul_lo_u32 v24, v24, 24
	s_delay_alu instid0(VALU_DEP_2) | instskip(SKIP_1) | instid1(VALU_DEP_2)
	v_add_nc_u32_e32 v8, v25, v8
	s_waitcnt vmcnt(0)
	v_add_co_u32 v24, vcc_lo, v32, v24
	s_delay_alu instid0(VALU_DEP_2)
	v_add_co_ci_u32_e32 v25, vcc_lo, v33, v8, vcc_lo
	global_load_b64 v[24:25], v[24:25], off glc
	s_waitcnt vmcnt(0)
	global_atomic_cmpswap_b64 v[32:33], v9, v[24:27], s[2:3] offset:24 glc
	s_waitcnt vmcnt(0)
	buffer_gl1_inv
	buffer_gl0_inv
	v_cmpx_ne_u64_e64 v[32:33], v[26:27]
	s_cbranch_execz .LBB22_92
; %bb.89:                               ;   in Loop: Header=BB22_31 Depth=1
	s_mov_b32 s5, 0
	.p2align	6
.LBB22_90:                              ;   Parent Loop BB22_31 Depth=1
                                        ; =>  This Inner Loop Header: Depth=2
	s_sleep 1
	s_clause 0x1
	global_load_b64 v[24:25], v9, s[2:3] offset:40
	global_load_b64 v[38:39], v9, s[2:3]
	v_dual_mov_b32 v26, v32 :: v_dual_mov_b32 v27, v33
	s_waitcnt vmcnt(1)
	s_delay_alu instid0(VALU_DEP_1) | instskip(SKIP_1) | instid1(VALU_DEP_1)
	v_and_b32_e32 v8, v24, v26
	s_waitcnt vmcnt(0)
	v_mad_u64_u32 v[32:33], null, v8, 24, v[38:39]
	v_and_b32_e32 v38, v25, v27
	s_delay_alu instid0(VALU_DEP_2) | instskip(NEXT) | instid1(VALU_DEP_1)
	v_mov_b32_e32 v8, v33
	v_mad_u64_u32 v[24:25], null, v38, 24, v[8:9]
	s_delay_alu instid0(VALU_DEP_1)
	v_mov_b32_e32 v33, v24
	global_load_b64 v[24:25], v[32:33], off glc
	s_waitcnt vmcnt(0)
	global_atomic_cmpswap_b64 v[32:33], v9, v[24:27], s[2:3] offset:24 glc
	s_waitcnt vmcnt(0)
	buffer_gl1_inv
	buffer_gl0_inv
	v_cmp_eq_u64_e32 vcc_lo, v[32:33], v[26:27]
	s_or_b32 s5, vcc_lo, s5
	s_delay_alu instid0(SALU_CYCLE_1)
	s_and_not1_b32 exec_lo, exec_lo, s5
	s_cbranch_execnz .LBB22_90
; %bb.91:                               ;   in Loop: Header=BB22_31 Depth=1
	s_or_b32 exec_lo, exec_lo, s5
.LBB22_92:                              ;   in Loop: Header=BB22_31 Depth=1
	s_delay_alu instid0(SALU_CYCLE_1)
	s_or_b32 exec_lo, exec_lo, s4
.LBB22_93:                              ;   in Loop: Header=BB22_31 Depth=1
	s_delay_alu instid0(SALU_CYCLE_1)
	s_or_b32 exec_lo, exec_lo, s1
	s_clause 0x1
	global_load_b64 v[38:39], v9, s[2:3] offset:40
	global_load_b128 v[24:27], v9, s[2:3]
	v_readfirstlane_b32 s4, v32
	v_readfirstlane_b32 s5, v33
	s_mov_b32 s1, exec_lo
	s_waitcnt vmcnt(1)
	v_readfirstlane_b32 s6, v38
	v_readfirstlane_b32 s7, v39
	s_delay_alu instid0(VALU_DEP_1) | instskip(NEXT) | instid1(SALU_CYCLE_1)
	s_and_b64 s[6:7], s[4:5], s[6:7]
	s_mul_i32 s12, s7, 24
	s_mul_hi_u32 s13, s6, 24
	s_mul_i32 s14, s6, 24
	s_add_i32 s13, s13, s12
	s_waitcnt vmcnt(0)
	v_add_co_u32 v32, vcc_lo, v24, s14
	v_add_co_ci_u32_e32 v33, vcc_lo, s13, v25, vcc_lo
	s_and_saveexec_b32 s12, s0
	s_cbranch_execz .LBB22_95
; %bb.94:                               ;   in Loop: Header=BB22_31 Depth=1
	v_mov_b32_e32 v8, s1
	global_store_b128 v[32:33], v[8:11], off offset:8
.LBB22_95:                              ;   in Loop: Header=BB22_31 Depth=1
	s_or_b32 exec_lo, exec_lo, s12
	v_cmp_lt_u64_e32 vcc_lo, 56, v[28:29]
	v_or_b32_e32 v8, 0, v1
	v_or_b32_e32 v38, v0, v36
	v_lshl_add_u32 v39, v30, 2, 28
	s_lshl_b64 s[6:7], s[6:7], 12
	s_delay_alu instid0(SALU_CYCLE_1) | instskip(NEXT) | instid1(VALU_DEP_1)
	v_add_co_u32 v26, s1, v26, s6
	v_add_co_ci_u32_e64 v27, s1, s7, v27, s1
	v_dual_cndmask_b32 v1, v8, v1 :: v_dual_cndmask_b32 v0, v38, v0
	v_and_b32_e32 v8, 0x1e0, v39
	s_delay_alu instid0(VALU_DEP_4) | instskip(NEXT) | instid1(VALU_DEP_4)
	v_readfirstlane_b32 s6, v26
	v_readfirstlane_b32 s7, v27
	s_delay_alu instid0(VALU_DEP_3)
	v_and_or_b32 v0, 0xffffff1f, v0, v8
	s_clause 0x3
	global_store_b128 v34, v[0:3], s[6:7]
	global_store_b128 v34, v[12:15], s[6:7] offset:16
	global_store_b128 v34, v[16:19], s[6:7] offset:32
	;; [unrolled: 1-line block ×3, first 2 shown]
	s_and_saveexec_b32 s1, s0
	s_cbranch_execz .LBB22_103
; %bb.96:                               ;   in Loop: Header=BB22_31 Depth=1
	s_clause 0x1
	global_load_b64 v[16:17], v9, s[2:3] offset:32 glc
	global_load_b64 v[0:1], v9, s[2:3] offset:40
	v_dual_mov_b32 v14, s4 :: v_dual_mov_b32 v15, s5
	s_waitcnt vmcnt(0)
	v_readfirstlane_b32 s6, v0
	v_readfirstlane_b32 s7, v1
	s_delay_alu instid0(VALU_DEP_1) | instskip(NEXT) | instid1(SALU_CYCLE_1)
	s_and_b64 s[6:7], s[6:7], s[4:5]
	s_mul_i32 s7, s7, 24
	s_mul_hi_u32 s12, s6, 24
	s_mul_i32 s6, s6, 24
	s_add_i32 s12, s12, s7
	v_add_co_u32 v12, vcc_lo, v24, s6
	v_add_co_ci_u32_e32 v13, vcc_lo, s12, v25, vcc_lo
	s_mov_b32 s6, exec_lo
	global_store_b64 v[12:13], v[16:17], off
	s_waitcnt_vscnt null, 0x0
	global_atomic_cmpswap_b64 v[2:3], v9, v[14:17], s[2:3] offset:32 glc
	s_waitcnt vmcnt(0)
	v_cmpx_ne_u64_e64 v[2:3], v[16:17]
	s_cbranch_execz .LBB22_99
; %bb.97:                               ;   in Loop: Header=BB22_31 Depth=1
	s_mov_b32 s7, 0
.LBB22_98:                              ;   Parent Loop BB22_31 Depth=1
                                        ; =>  This Inner Loop Header: Depth=2
	v_dual_mov_b32 v0, s4 :: v_dual_mov_b32 v1, s5
	s_sleep 1
	global_store_b64 v[12:13], v[2:3], off
	s_waitcnt_vscnt null, 0x0
	global_atomic_cmpswap_b64 v[0:1], v9, v[0:3], s[2:3] offset:32 glc
	s_waitcnt vmcnt(0)
	v_cmp_eq_u64_e32 vcc_lo, v[0:1], v[2:3]
	v_dual_mov_b32 v3, v1 :: v_dual_mov_b32 v2, v0
	s_or_b32 s7, vcc_lo, s7
	s_delay_alu instid0(SALU_CYCLE_1)
	s_and_not1_b32 exec_lo, exec_lo, s7
	s_cbranch_execnz .LBB22_98
.LBB22_99:                              ;   in Loop: Header=BB22_31 Depth=1
	s_or_b32 exec_lo, exec_lo, s6
	global_load_b64 v[0:1], v9, s[2:3] offset:16
	s_mov_b32 s7, exec_lo
	s_mov_b32 s6, exec_lo
	v_mbcnt_lo_u32_b32 v2, s7, 0
	s_delay_alu instid0(VALU_DEP_1)
	v_cmpx_eq_u32_e32 0, v2
	s_cbranch_execz .LBB22_101
; %bb.100:                              ;   in Loop: Header=BB22_31 Depth=1
	s_bcnt1_i32_b32 s7, s7
	s_delay_alu instid0(SALU_CYCLE_1)
	v_mov_b32_e32 v8, s7
	s_waitcnt vmcnt(0)
	global_atomic_add_u64 v[0:1], v[8:9], off offset:8
.LBB22_101:                             ;   in Loop: Header=BB22_31 Depth=1
	s_or_b32 exec_lo, exec_lo, s6
	s_waitcnt vmcnt(0)
	global_load_b64 v[2:3], v[0:1], off offset:16
	s_waitcnt vmcnt(0)
	v_cmp_eq_u64_e32 vcc_lo, 0, v[2:3]
	s_cbranch_vccnz .LBB22_103
; %bb.102:                              ;   in Loop: Header=BB22_31 Depth=1
	global_load_b32 v8, v[0:1], off offset:24
	s_waitcnt vmcnt(0)
	v_and_b32_e32 v0, 0xffffff, v8
	s_waitcnt_vscnt null, 0x0
	global_store_b64 v[2:3], v[8:9], off
	v_readfirstlane_b32 m0, v0
	s_sendmsg sendmsg(MSG_INTERRUPT)
.LBB22_103:                             ;   in Loop: Header=BB22_31 Depth=1
	s_or_b32 exec_lo, exec_lo, s1
	v_add_co_u32 v0, vcc_lo, v26, v34
	v_add_co_ci_u32_e32 v1, vcc_lo, 0, v27, vcc_lo
	s_branch .LBB22_107
	.p2align	6
.LBB22_104:                             ;   in Loop: Header=BB22_107 Depth=2
	s_or_b32 exec_lo, exec_lo, s1
	s_delay_alu instid0(VALU_DEP_1) | instskip(NEXT) | instid1(VALU_DEP_1)
	v_readfirstlane_b32 s1, v2
	s_cmp_eq_u32 s1, 0
	s_cbranch_scc1 .LBB22_106
; %bb.105:                              ;   in Loop: Header=BB22_107 Depth=2
	s_sleep 1
	s_cbranch_execnz .LBB22_107
	s_branch .LBB22_109
	.p2align	6
.LBB22_106:                             ;   in Loop: Header=BB22_31 Depth=1
	s_branch .LBB22_109
.LBB22_107:                             ;   Parent Loop BB22_31 Depth=1
                                        ; =>  This Inner Loop Header: Depth=2
	v_mov_b32_e32 v2, 1
	s_and_saveexec_b32 s1, s0
	s_cbranch_execz .LBB22_104
; %bb.108:                              ;   in Loop: Header=BB22_107 Depth=2
	global_load_b32 v2, v[32:33], off offset:20 glc
	s_waitcnt vmcnt(0)
	buffer_gl1_inv
	buffer_gl0_inv
	v_and_b32_e32 v2, 1, v2
	s_branch .LBB22_104
.LBB22_109:                             ;   in Loop: Header=BB22_31 Depth=1
	global_load_b128 v[0:3], v[0:1], off
	s_and_saveexec_b32 s1, s0
	s_cbranch_execz .LBB22_30
; %bb.110:                              ;   in Loop: Header=BB22_31 Depth=1
	s_clause 0x2
	global_load_b64 v[2:3], v9, s[2:3] offset:40
	global_load_b64 v[16:17], v9, s[2:3] offset:24 glc
	global_load_b64 v[14:15], v9, s[2:3]
	s_waitcnt vmcnt(2)
	v_add_co_u32 v8, vcc_lo, v2, 1
	v_add_co_ci_u32_e32 v18, vcc_lo, 0, v3, vcc_lo
	s_delay_alu instid0(VALU_DEP_2) | instskip(NEXT) | instid1(VALU_DEP_2)
	v_add_co_u32 v12, vcc_lo, v8, s4
	v_add_co_ci_u32_e32 v13, vcc_lo, s5, v18, vcc_lo
	s_delay_alu instid0(VALU_DEP_1) | instskip(SKIP_1) | instid1(VALU_DEP_1)
	v_cmp_eq_u64_e32 vcc_lo, 0, v[12:13]
	v_dual_cndmask_b32 v13, v13, v18 :: v_dual_cndmask_b32 v12, v12, v8
	v_and_b32_e32 v3, v13, v3
	s_delay_alu instid0(VALU_DEP_2) | instskip(NEXT) | instid1(VALU_DEP_1)
	v_and_b32_e32 v2, v12, v2
	v_mul_hi_u32 v8, v2, 24
	v_mul_lo_u32 v2, v2, 24
	s_waitcnt vmcnt(0)
	s_delay_alu instid0(VALU_DEP_1) | instskip(SKIP_2) | instid1(VALU_DEP_1)
	v_add_co_u32 v2, vcc_lo, v14, v2
	v_mov_b32_e32 v14, v16
	v_mul_lo_u32 v3, v3, 24
	v_add_nc_u32_e32 v3, v8, v3
	s_delay_alu instid0(VALU_DEP_1)
	v_add_co_ci_u32_e32 v3, vcc_lo, v15, v3, vcc_lo
	v_mov_b32_e32 v15, v17
	global_store_b64 v[2:3], v[16:17], off
	s_waitcnt_vscnt null, 0x0
	global_atomic_cmpswap_b64 v[14:15], v9, v[12:15], s[2:3] offset:24 glc
	s_waitcnt vmcnt(0)
	v_cmp_ne_u64_e32 vcc_lo, v[14:15], v[16:17]
	s_and_b32 exec_lo, exec_lo, vcc_lo
	s_cbranch_execz .LBB22_30
; %bb.111:                              ;   in Loop: Header=BB22_31 Depth=1
	s_mov_b32 s0, 0
.LBB22_112:                             ;   Parent Loop BB22_31 Depth=1
                                        ; =>  This Inner Loop Header: Depth=2
	s_sleep 1
	global_store_b64 v[2:3], v[14:15], off
	s_waitcnt_vscnt null, 0x0
	global_atomic_cmpswap_b64 v[16:17], v9, v[12:15], s[2:3] offset:24 glc
	s_waitcnt vmcnt(0)
	v_cmp_eq_u64_e32 vcc_lo, v[16:17], v[14:15]
	v_dual_mov_b32 v14, v16 :: v_dual_mov_b32 v15, v17
	s_or_b32 s0, vcc_lo, s0
	s_delay_alu instid0(SALU_CYCLE_1)
	s_and_not1_b32 exec_lo, exec_lo, s0
	s_cbranch_execnz .LBB22_112
	s_branch .LBB22_30
.LBB22_113:
                                        ; implicit-def: $vgpr0_vgpr1
	s_cbranch_execnz .LBB22_115
	s_branch .LBB22_142
.LBB22_114:
	s_or_b32 exec_lo, exec_lo, s10
	s_branch .LBB22_142
.LBB22_115:
	v_readfirstlane_b32 s0, v35
	v_mov_b32_e32 v9, 0
	v_mov_b32_e32 v10, 0
	s_delay_alu instid0(VALU_DEP_3) | instskip(NEXT) | instid1(VALU_DEP_1)
	v_cmp_eq_u32_e64 s0, s0, v35
	s_and_saveexec_b32 s1, s0
	s_cbranch_execz .LBB22_121
; %bb.116:
	s_waitcnt vmcnt(0)
	v_mov_b32_e32 v0, 0
	s_mov_b32 s4, exec_lo
	global_load_b64 v[11:12], v0, s[2:3] offset:24 glc
	s_waitcnt vmcnt(0)
	buffer_gl1_inv
	buffer_gl0_inv
	s_clause 0x1
	global_load_b64 v[1:2], v0, s[2:3] offset:40
	global_load_b64 v[8:9], v0, s[2:3]
	s_waitcnt vmcnt(1)
	v_and_b32_e32 v1, v1, v11
	v_and_b32_e32 v2, v2, v12
	s_delay_alu instid0(VALU_DEP_2) | instskip(NEXT) | instid1(VALU_DEP_2)
	v_mul_hi_u32 v3, v1, 24
	v_mul_lo_u32 v2, v2, 24
	v_mul_lo_u32 v1, v1, 24
	s_delay_alu instid0(VALU_DEP_2) | instskip(SKIP_1) | instid1(VALU_DEP_2)
	v_add_nc_u32_e32 v2, v3, v2
	s_waitcnt vmcnt(0)
	v_add_co_u32 v1, vcc_lo, v8, v1
	s_delay_alu instid0(VALU_DEP_2)
	v_add_co_ci_u32_e32 v2, vcc_lo, v9, v2, vcc_lo
	global_load_b64 v[9:10], v[1:2], off glc
	s_waitcnt vmcnt(0)
	global_atomic_cmpswap_b64 v[9:10], v0, v[9:12], s[2:3] offset:24 glc
	s_waitcnt vmcnt(0)
	buffer_gl1_inv
	buffer_gl0_inv
	v_cmpx_ne_u64_e64 v[9:10], v[11:12]
	s_cbranch_execz .LBB22_120
; %bb.117:
	s_mov_b32 s5, 0
	.p2align	6
.LBB22_118:                             ; =>This Inner Loop Header: Depth=1
	s_sleep 1
	s_clause 0x1
	global_load_b64 v[1:2], v0, s[2:3] offset:40
	global_load_b64 v[13:14], v0, s[2:3]
	v_dual_mov_b32 v12, v10 :: v_dual_mov_b32 v11, v9
	s_waitcnt vmcnt(1)
	s_delay_alu instid0(VALU_DEP_1) | instskip(SKIP_1) | instid1(VALU_DEP_1)
	v_and_b32_e32 v1, v1, v11
	s_waitcnt vmcnt(0)
	v_mad_u64_u32 v[8:9], null, v1, 24, v[13:14]
	s_delay_alu instid0(VALU_DEP_1) | instskip(NEXT) | instid1(VALU_DEP_1)
	v_dual_mov_b32 v1, v9 :: v_dual_and_b32 v10, v2, v12
	v_mad_u64_u32 v[2:3], null, v10, 24, v[1:2]
	s_delay_alu instid0(VALU_DEP_1)
	v_mov_b32_e32 v9, v2
	global_load_b64 v[9:10], v[8:9], off glc
	s_waitcnt vmcnt(0)
	global_atomic_cmpswap_b64 v[9:10], v0, v[9:12], s[2:3] offset:24 glc
	s_waitcnt vmcnt(0)
	buffer_gl1_inv
	buffer_gl0_inv
	v_cmp_eq_u64_e32 vcc_lo, v[9:10], v[11:12]
	s_or_b32 s5, vcc_lo, s5
	s_delay_alu instid0(SALU_CYCLE_1)
	s_and_not1_b32 exec_lo, exec_lo, s5
	s_cbranch_execnz .LBB22_118
; %bb.119:
	s_or_b32 exec_lo, exec_lo, s5
.LBB22_120:
	s_delay_alu instid0(SALU_CYCLE_1)
	s_or_b32 exec_lo, exec_lo, s4
.LBB22_121:
	s_delay_alu instid0(SALU_CYCLE_1)
	s_or_b32 exec_lo, exec_lo, s1
	v_mov_b32_e32 v8, 0
	v_readfirstlane_b32 s4, v9
	v_readfirstlane_b32 s5, v10
	s_mov_b32 s1, exec_lo
	s_clause 0x1
	global_load_b64 v[11:12], v8, s[2:3] offset:40
	global_load_b128 v[0:3], v8, s[2:3]
	s_waitcnt vmcnt(1)
	v_readfirstlane_b32 s6, v11
	v_readfirstlane_b32 s7, v12
	s_delay_alu instid0(VALU_DEP_1) | instskip(NEXT) | instid1(SALU_CYCLE_1)
	s_and_b64 s[6:7], s[4:5], s[6:7]
	s_mul_i32 s10, s7, 24
	s_mul_hi_u32 s11, s6, 24
	s_mul_i32 s12, s6, 24
	s_add_i32 s11, s11, s10
	s_waitcnt vmcnt(0)
	v_add_co_u32 v10, vcc_lo, v0, s12
	v_add_co_ci_u32_e32 v11, vcc_lo, s11, v1, vcc_lo
	s_and_saveexec_b32 s10, s0
	s_cbranch_execz .LBB22_123
; %bb.122:
	v_dual_mov_b32 v12, s1 :: v_dual_mov_b32 v13, v8
	v_dual_mov_b32 v14, 2 :: v_dual_mov_b32 v15, 1
	global_store_b128 v[10:11], v[12:15], off offset:8
.LBB22_123:
	s_or_b32 exec_lo, exec_lo, s10
	s_lshl_b64 s[6:7], s[6:7], 12
	s_mov_b32 s12, 0
	v_add_co_u32 v2, vcc_lo, v2, s6
	v_add_co_ci_u32_e32 v3, vcc_lo, s7, v3, vcc_lo
	s_mov_b32 s15, s12
	s_delay_alu instid0(VALU_DEP_2)
	v_add_co_u32 v12, vcc_lo, v2, v34
	s_mov_b32 s13, s12
	s_mov_b32 s14, s12
	v_and_or_b32 v6, 0xffffff1f, v6, 32
	v_mov_b32_e32 v9, v8
	v_readfirstlane_b32 s6, v2
	v_readfirstlane_b32 s7, v3
	v_dual_mov_b32 v17, s15 :: v_dual_mov_b32 v14, s12
	v_add_co_ci_u32_e32 v13, vcc_lo, 0, v3, vcc_lo
	v_dual_mov_b32 v16, s14 :: v_dual_mov_b32 v15, s13
	s_clause 0x3
	global_store_b128 v34, v[6:9], s[6:7]
	global_store_b128 v34, v[14:17], s[6:7] offset:16
	global_store_b128 v34, v[14:17], s[6:7] offset:32
	;; [unrolled: 1-line block ×3, first 2 shown]
	s_and_saveexec_b32 s1, s0
	s_cbranch_execz .LBB22_131
; %bb.124:
	v_dual_mov_b32 v8, 0 :: v_dual_mov_b32 v15, s5
	v_mov_b32_e32 v14, s4
	s_clause 0x1
	global_load_b64 v[16:17], v8, s[2:3] offset:32 glc
	global_load_b64 v[2:3], v8, s[2:3] offset:40
	s_waitcnt vmcnt(0)
	v_readfirstlane_b32 s6, v2
	v_readfirstlane_b32 s7, v3
	s_delay_alu instid0(VALU_DEP_1) | instskip(NEXT) | instid1(SALU_CYCLE_1)
	s_and_b64 s[6:7], s[6:7], s[4:5]
	s_mul_i32 s7, s7, 24
	s_mul_hi_u32 s10, s6, 24
	s_mul_i32 s6, s6, 24
	s_add_i32 s10, s10, s7
	v_add_co_u32 v6, vcc_lo, v0, s6
	v_add_co_ci_u32_e32 v7, vcc_lo, s10, v1, vcc_lo
	s_mov_b32 s6, exec_lo
	global_store_b64 v[6:7], v[16:17], off
	s_waitcnt_vscnt null, 0x0
	global_atomic_cmpswap_b64 v[2:3], v8, v[14:17], s[2:3] offset:32 glc
	s_waitcnt vmcnt(0)
	v_cmpx_ne_u64_e64 v[2:3], v[16:17]
	s_cbranch_execz .LBB22_127
; %bb.125:
	s_mov_b32 s7, 0
.LBB22_126:                             ; =>This Inner Loop Header: Depth=1
	v_dual_mov_b32 v0, s4 :: v_dual_mov_b32 v1, s5
	s_sleep 1
	global_store_b64 v[6:7], v[2:3], off
	s_waitcnt_vscnt null, 0x0
	global_atomic_cmpswap_b64 v[0:1], v8, v[0:3], s[2:3] offset:32 glc
	s_waitcnt vmcnt(0)
	v_cmp_eq_u64_e32 vcc_lo, v[0:1], v[2:3]
	v_dual_mov_b32 v3, v1 :: v_dual_mov_b32 v2, v0
	s_or_b32 s7, vcc_lo, s7
	s_delay_alu instid0(SALU_CYCLE_1)
	s_and_not1_b32 exec_lo, exec_lo, s7
	s_cbranch_execnz .LBB22_126
.LBB22_127:
	s_or_b32 exec_lo, exec_lo, s6
	v_mov_b32_e32 v3, 0
	s_mov_b32 s7, exec_lo
	s_mov_b32 s6, exec_lo
	v_mbcnt_lo_u32_b32 v2, s7, 0
	global_load_b64 v[0:1], v3, s[2:3] offset:16
	v_cmpx_eq_u32_e32 0, v2
	s_cbranch_execz .LBB22_129
; %bb.128:
	s_bcnt1_i32_b32 s7, s7
	s_delay_alu instid0(SALU_CYCLE_1)
	v_mov_b32_e32 v2, s7
	s_waitcnt vmcnt(0)
	global_atomic_add_u64 v[0:1], v[2:3], off offset:8
.LBB22_129:
	s_or_b32 exec_lo, exec_lo, s6
	s_waitcnt vmcnt(0)
	global_load_b64 v[2:3], v[0:1], off offset:16
	s_waitcnt vmcnt(0)
	v_cmp_eq_u64_e32 vcc_lo, 0, v[2:3]
	s_cbranch_vccnz .LBB22_131
; %bb.130:
	global_load_b32 v0, v[0:1], off offset:24
	s_waitcnt vmcnt(0)
	v_dual_mov_b32 v1, 0 :: v_dual_and_b32 v6, 0xffffff, v0
	s_waitcnt_vscnt null, 0x0
	global_store_b64 v[2:3], v[0:1], off
	v_readfirstlane_b32 m0, v6
	s_sendmsg sendmsg(MSG_INTERRUPT)
.LBB22_131:
	s_or_b32 exec_lo, exec_lo, s1
	s_branch .LBB22_135
	.p2align	6
.LBB22_132:                             ;   in Loop: Header=BB22_135 Depth=1
	s_or_b32 exec_lo, exec_lo, s1
	s_delay_alu instid0(VALU_DEP_1) | instskip(NEXT) | instid1(VALU_DEP_1)
	v_readfirstlane_b32 s1, v0
	s_cmp_eq_u32 s1, 0
	s_cbranch_scc1 .LBB22_134
; %bb.133:                              ;   in Loop: Header=BB22_135 Depth=1
	s_sleep 1
	s_cbranch_execnz .LBB22_135
	s_branch .LBB22_137
	.p2align	6
.LBB22_134:
	s_branch .LBB22_137
.LBB22_135:                             ; =>This Inner Loop Header: Depth=1
	v_mov_b32_e32 v0, 1
	s_and_saveexec_b32 s1, s0
	s_cbranch_execz .LBB22_132
; %bb.136:                              ;   in Loop: Header=BB22_135 Depth=1
	global_load_b32 v0, v[10:11], off offset:20 glc
	s_waitcnt vmcnt(0)
	buffer_gl1_inv
	buffer_gl0_inv
	v_and_b32_e32 v0, 1, v0
	s_branch .LBB22_132
.LBB22_137:
	global_load_b64 v[0:1], v[12:13], off
	s_and_saveexec_b32 s1, s0
	s_cbranch_execz .LBB22_141
; %bb.138:
	v_mov_b32_e32 v10, 0
	s_clause 0x2
	global_load_b64 v[2:3], v10, s[2:3] offset:40
	global_load_b64 v[11:12], v10, s[2:3] offset:24 glc
	global_load_b64 v[8:9], v10, s[2:3]
	s_waitcnt vmcnt(2)
	v_add_co_u32 v13, vcc_lo, v2, 1
	v_add_co_ci_u32_e32 v14, vcc_lo, 0, v3, vcc_lo
	s_delay_alu instid0(VALU_DEP_2) | instskip(NEXT) | instid1(VALU_DEP_2)
	v_add_co_u32 v6, vcc_lo, v13, s4
	v_add_co_ci_u32_e32 v7, vcc_lo, s5, v14, vcc_lo
	s_delay_alu instid0(VALU_DEP_1) | instskip(SKIP_1) | instid1(VALU_DEP_1)
	v_cmp_eq_u64_e32 vcc_lo, 0, v[6:7]
	v_dual_cndmask_b32 v7, v7, v14 :: v_dual_cndmask_b32 v6, v6, v13
	v_and_b32_e32 v3, v7, v3
	s_delay_alu instid0(VALU_DEP_2) | instskip(NEXT) | instid1(VALU_DEP_2)
	v_and_b32_e32 v2, v6, v2
	v_mul_lo_u32 v3, v3, 24
	s_delay_alu instid0(VALU_DEP_2) | instskip(SKIP_1) | instid1(VALU_DEP_2)
	v_mul_hi_u32 v13, v2, 24
	v_mul_lo_u32 v2, v2, 24
	v_add_nc_u32_e32 v3, v13, v3
	s_waitcnt vmcnt(0)
	s_delay_alu instid0(VALU_DEP_2) | instskip(SKIP_1) | instid1(VALU_DEP_3)
	v_add_co_u32 v2, vcc_lo, v8, v2
	v_mov_b32_e32 v8, v11
	v_add_co_ci_u32_e32 v3, vcc_lo, v9, v3, vcc_lo
	v_mov_b32_e32 v9, v12
	global_store_b64 v[2:3], v[11:12], off
	s_waitcnt_vscnt null, 0x0
	global_atomic_cmpswap_b64 v[8:9], v10, v[6:9], s[2:3] offset:24 glc
	s_waitcnt vmcnt(0)
	v_cmp_ne_u64_e32 vcc_lo, v[8:9], v[11:12]
	s_and_b32 exec_lo, exec_lo, vcc_lo
	s_cbranch_execz .LBB22_141
; %bb.139:
	s_mov_b32 s0, 0
.LBB22_140:                             ; =>This Inner Loop Header: Depth=1
	s_sleep 1
	global_store_b64 v[2:3], v[8:9], off
	s_waitcnt_vscnt null, 0x0
	global_atomic_cmpswap_b64 v[11:12], v10, v[6:9], s[2:3] offset:24 glc
	s_waitcnt vmcnt(0)
	v_cmp_eq_u64_e32 vcc_lo, v[11:12], v[8:9]
	v_dual_mov_b32 v8, v11 :: v_dual_mov_b32 v9, v12
	s_or_b32 s0, vcc_lo, s0
	s_delay_alu instid0(SALU_CYCLE_1)
	s_and_not1_b32 exec_lo, exec_lo, s0
	s_cbranch_execnz .LBB22_140
.LBB22_141:
	s_or_b32 exec_lo, exec_lo, s1
.LBB22_142:
	s_waitcnt vmcnt(0)
	v_mov_b32_e32 v2, 0
	s_getpc_b64 s[4:5]
	s_add_u32 s4, s4, .str.2@rel32@lo+4
	s_addc_u32 s5, s5, .str.2@rel32@hi+12
.LBB22_143:                             ; =>This Inner Loop Header: Depth=1
	global_load_u8 v3, v2, s[4:5]
	s_add_u32 s0, s4, 1
	s_addc_u32 s1, s5, 0
	s_delay_alu instid0(SALU_CYCLE_1)
	s_mov_b64 s[4:5], s[0:1]
	s_waitcnt vmcnt(0)
	v_cmp_ne_u16_e32 vcc_lo, 0, v3
	s_cbranch_vccnz .LBB22_143
; %bb.144:
	s_getpc_b64 s[4:5]
	s_add_u32 s4, s4, .str.2@rel32@lo+4
	s_addc_u32 s5, s5, .str.2@rel32@hi+12
	s_delay_alu instid0(SALU_CYCLE_1)
	s_cmp_lg_u64 s[4:5], 0
	s_cbranch_scc0 .LBB22_222
; %bb.145:
	v_dual_mov_b32 v10, 0 :: v_dual_and_b32 v33, 2, v0
	v_dual_mov_b32 v7, v1 :: v_dual_and_b32 v6, -3, v0
	v_dual_mov_b32 v11, 2 :: v_dual_mov_b32 v12, 1
	s_sub_i32 s6, s0, s4
	s_delay_alu instid0(SALU_CYCLE_1)
	s_ashr_i32 s7, s6, 31
	s_branch .LBB22_147
.LBB22_146:                             ;   in Loop: Header=BB22_147 Depth=1
	s_or_b32 exec_lo, exec_lo, s1
	s_sub_u32 s6, s6, s10
	s_subb_u32 s7, s7, s11
	s_add_u32 s4, s4, s10
	s_addc_u32 s5, s5, s11
	s_cmp_lg_u64 s[6:7], 0
	s_cbranch_scc0 .LBB22_223
.LBB22_147:                             ; =>This Loop Header: Depth=1
                                        ;     Child Loop BB22_156 Depth 2
                                        ;     Child Loop BB22_152 Depth 2
                                        ;     Child Loop BB22_164 Depth 2
                                        ;     Child Loop BB22_171 Depth 2
                                        ;     Child Loop BB22_178 Depth 2
                                        ;     Child Loop BB22_185 Depth 2
                                        ;     Child Loop BB22_192 Depth 2
                                        ;     Child Loop BB22_199 Depth 2
                                        ;     Child Loop BB22_207 Depth 2
                                        ;     Child Loop BB22_216 Depth 2
                                        ;     Child Loop BB22_221 Depth 2
	v_cmp_lt_u64_e64 s0, s[6:7], 56
	v_cmp_gt_u64_e64 s1, s[6:7], 7
                                        ; implicit-def: $vgpr15_vgpr16
                                        ; implicit-def: $sgpr16
	s_delay_alu instid0(VALU_DEP_2) | instskip(SKIP_2) | instid1(VALU_DEP_1)
	s_and_b32 s0, s0, exec_lo
	s_cselect_b32 s11, s7, 0
	s_cselect_b32 s10, s6, 56
	s_and_b32 vcc_lo, exec_lo, s1
	s_mov_b32 s0, -1
	s_cbranch_vccz .LBB22_154
; %bb.148:                              ;   in Loop: Header=BB22_147 Depth=1
	s_and_not1_b32 vcc_lo, exec_lo, s0
	s_mov_b64 s[0:1], s[4:5]
	s_cbranch_vccz .LBB22_158
.LBB22_149:                             ;   in Loop: Header=BB22_147 Depth=1
	s_cmp_gt_u32 s16, 7
	s_cbranch_scc1 .LBB22_159
.LBB22_150:                             ;   in Loop: Header=BB22_147 Depth=1
	v_mov_b32_e32 v17, 0
	v_mov_b32_e32 v18, 0
	s_cmp_eq_u32 s16, 0
	s_cbranch_scc1 .LBB22_153
; %bb.151:                              ;   in Loop: Header=BB22_147 Depth=1
	s_mov_b64 s[12:13], 0
	s_mov_b64 s[14:15], 0
.LBB22_152:                             ;   Parent Loop BB22_147 Depth=1
                                        ; =>  This Inner Loop Header: Depth=2
	s_delay_alu instid0(SALU_CYCLE_1)
	s_add_u32 s18, s0, s14
	s_addc_u32 s19, s1, s15
	s_add_u32 s14, s14, 1
	global_load_u8 v2, v10, s[18:19]
	s_addc_u32 s15, s15, 0
	s_waitcnt vmcnt(0)
	v_and_b32_e32 v9, 0xffff, v2
	s_delay_alu instid0(VALU_DEP_1) | instskip(SKIP_3) | instid1(VALU_DEP_1)
	v_lshlrev_b64 v[2:3], s12, v[9:10]
	s_add_u32 s12, s12, 8
	s_addc_u32 s13, s13, 0
	s_cmp_lg_u32 s16, s14
	v_or_b32_e32 v17, v2, v17
	s_delay_alu instid0(VALU_DEP_2)
	v_or_b32_e32 v18, v3, v18
	s_cbranch_scc1 .LBB22_152
.LBB22_153:                             ;   in Loop: Header=BB22_147 Depth=1
	s_mov_b32 s17, 0
	s_cbranch_execz .LBB22_160
	s_branch .LBB22_161
.LBB22_154:                             ;   in Loop: Header=BB22_147 Depth=1
	v_mov_b32_e32 v15, 0
	v_mov_b32_e32 v16, 0
	s_cmp_eq_u64 s[6:7], 0
	s_mov_b64 s[0:1], 0
	s_cbranch_scc1 .LBB22_157
; %bb.155:                              ;   in Loop: Header=BB22_147 Depth=1
	v_mov_b32_e32 v15, 0
	v_mov_b32_e32 v16, 0
	s_lshl_b64 s[12:13], s[10:11], 3
	s_mov_b64 s[14:15], s[4:5]
.LBB22_156:                             ;   Parent Loop BB22_147 Depth=1
                                        ; =>  This Inner Loop Header: Depth=2
	global_load_u8 v2, v10, s[14:15]
	s_waitcnt vmcnt(0)
	v_and_b32_e32 v9, 0xffff, v2
	s_delay_alu instid0(VALU_DEP_1)
	v_lshlrev_b64 v[2:3], s0, v[9:10]
	s_add_u32 s0, s0, 8
	s_addc_u32 s1, s1, 0
	s_add_u32 s14, s14, 1
	s_addc_u32 s15, s15, 0
	s_cmp_lg_u32 s12, s0
	v_or_b32_e32 v15, v2, v15
	v_or_b32_e32 v16, v3, v16
	s_cbranch_scc1 .LBB22_156
.LBB22_157:                             ;   in Loop: Header=BB22_147 Depth=1
	s_mov_b32 s16, 0
	s_mov_b64 s[0:1], s[4:5]
	s_cbranch_execnz .LBB22_149
.LBB22_158:                             ;   in Loop: Header=BB22_147 Depth=1
	global_load_b64 v[15:16], v10, s[4:5]
	s_add_i32 s16, s10, -8
	s_add_u32 s0, s4, 8
	s_addc_u32 s1, s5, 0
	s_cmp_gt_u32 s16, 7
	s_cbranch_scc0 .LBB22_150
.LBB22_159:                             ;   in Loop: Header=BB22_147 Depth=1
                                        ; implicit-def: $vgpr17_vgpr18
                                        ; implicit-def: $sgpr17
.LBB22_160:                             ;   in Loop: Header=BB22_147 Depth=1
	global_load_b64 v[17:18], v10, s[0:1]
	s_add_i32 s17, s16, -8
	s_add_u32 s0, s0, 8
	s_addc_u32 s1, s1, 0
.LBB22_161:                             ;   in Loop: Header=BB22_147 Depth=1
	s_cmp_gt_u32 s17, 7
	s_cbranch_scc1 .LBB22_166
; %bb.162:                              ;   in Loop: Header=BB22_147 Depth=1
	v_mov_b32_e32 v19, 0
	v_mov_b32_e32 v20, 0
	s_cmp_eq_u32 s17, 0
	s_cbranch_scc1 .LBB22_165
; %bb.163:                              ;   in Loop: Header=BB22_147 Depth=1
	s_mov_b64 s[12:13], 0
	s_mov_b64 s[14:15], 0
.LBB22_164:                             ;   Parent Loop BB22_147 Depth=1
                                        ; =>  This Inner Loop Header: Depth=2
	s_delay_alu instid0(SALU_CYCLE_1)
	s_add_u32 s18, s0, s14
	s_addc_u32 s19, s1, s15
	s_add_u32 s14, s14, 1
	global_load_u8 v2, v10, s[18:19]
	s_addc_u32 s15, s15, 0
	s_waitcnt vmcnt(0)
	v_and_b32_e32 v9, 0xffff, v2
	s_delay_alu instid0(VALU_DEP_1) | instskip(SKIP_3) | instid1(VALU_DEP_1)
	v_lshlrev_b64 v[2:3], s12, v[9:10]
	s_add_u32 s12, s12, 8
	s_addc_u32 s13, s13, 0
	s_cmp_lg_u32 s17, s14
	v_or_b32_e32 v19, v2, v19
	s_delay_alu instid0(VALU_DEP_2)
	v_or_b32_e32 v20, v3, v20
	s_cbranch_scc1 .LBB22_164
.LBB22_165:                             ;   in Loop: Header=BB22_147 Depth=1
	s_mov_b32 s16, 0
	s_cbranch_execz .LBB22_167
	s_branch .LBB22_168
.LBB22_166:                             ;   in Loop: Header=BB22_147 Depth=1
                                        ; implicit-def: $sgpr16
.LBB22_167:                             ;   in Loop: Header=BB22_147 Depth=1
	global_load_b64 v[19:20], v10, s[0:1]
	s_add_i32 s16, s17, -8
	s_add_u32 s0, s0, 8
	s_addc_u32 s1, s1, 0
.LBB22_168:                             ;   in Loop: Header=BB22_147 Depth=1
	s_cmp_gt_u32 s16, 7
	s_cbranch_scc1 .LBB22_173
; %bb.169:                              ;   in Loop: Header=BB22_147 Depth=1
	v_mov_b32_e32 v21, 0
	v_mov_b32_e32 v22, 0
	s_cmp_eq_u32 s16, 0
	s_cbranch_scc1 .LBB22_172
; %bb.170:                              ;   in Loop: Header=BB22_147 Depth=1
	s_mov_b64 s[12:13], 0
	s_mov_b64 s[14:15], 0
.LBB22_171:                             ;   Parent Loop BB22_147 Depth=1
                                        ; =>  This Inner Loop Header: Depth=2
	s_delay_alu instid0(SALU_CYCLE_1)
	s_add_u32 s18, s0, s14
	s_addc_u32 s19, s1, s15
	s_add_u32 s14, s14, 1
	global_load_u8 v2, v10, s[18:19]
	s_addc_u32 s15, s15, 0
	s_waitcnt vmcnt(0)
	v_and_b32_e32 v9, 0xffff, v2
	s_delay_alu instid0(VALU_DEP_1) | instskip(SKIP_3) | instid1(VALU_DEP_1)
	v_lshlrev_b64 v[2:3], s12, v[9:10]
	s_add_u32 s12, s12, 8
	s_addc_u32 s13, s13, 0
	s_cmp_lg_u32 s16, s14
	v_or_b32_e32 v21, v2, v21
	s_delay_alu instid0(VALU_DEP_2)
	v_or_b32_e32 v22, v3, v22
	s_cbranch_scc1 .LBB22_171
.LBB22_172:                             ;   in Loop: Header=BB22_147 Depth=1
	s_mov_b32 s17, 0
	s_cbranch_execz .LBB22_174
	s_branch .LBB22_175
.LBB22_173:                             ;   in Loop: Header=BB22_147 Depth=1
                                        ; implicit-def: $vgpr21_vgpr22
                                        ; implicit-def: $sgpr17
.LBB22_174:                             ;   in Loop: Header=BB22_147 Depth=1
	global_load_b64 v[21:22], v10, s[0:1]
	s_add_i32 s17, s16, -8
	s_add_u32 s0, s0, 8
	s_addc_u32 s1, s1, 0
.LBB22_175:                             ;   in Loop: Header=BB22_147 Depth=1
	s_cmp_gt_u32 s17, 7
	s_cbranch_scc1 .LBB22_180
; %bb.176:                              ;   in Loop: Header=BB22_147 Depth=1
	v_mov_b32_e32 v23, 0
	v_mov_b32_e32 v24, 0
	s_cmp_eq_u32 s17, 0
	s_cbranch_scc1 .LBB22_179
; %bb.177:                              ;   in Loop: Header=BB22_147 Depth=1
	s_mov_b64 s[12:13], 0
	s_mov_b64 s[14:15], 0
.LBB22_178:                             ;   Parent Loop BB22_147 Depth=1
                                        ; =>  This Inner Loop Header: Depth=2
	s_delay_alu instid0(SALU_CYCLE_1)
	s_add_u32 s18, s0, s14
	s_addc_u32 s19, s1, s15
	s_add_u32 s14, s14, 1
	global_load_u8 v2, v10, s[18:19]
	s_addc_u32 s15, s15, 0
	s_waitcnt vmcnt(0)
	v_and_b32_e32 v9, 0xffff, v2
	s_delay_alu instid0(VALU_DEP_1) | instskip(SKIP_3) | instid1(VALU_DEP_1)
	v_lshlrev_b64 v[2:3], s12, v[9:10]
	s_add_u32 s12, s12, 8
	s_addc_u32 s13, s13, 0
	s_cmp_lg_u32 s17, s14
	v_or_b32_e32 v23, v2, v23
	s_delay_alu instid0(VALU_DEP_2)
	v_or_b32_e32 v24, v3, v24
	s_cbranch_scc1 .LBB22_178
.LBB22_179:                             ;   in Loop: Header=BB22_147 Depth=1
	s_mov_b32 s16, 0
	s_cbranch_execz .LBB22_181
	s_branch .LBB22_182
.LBB22_180:                             ;   in Loop: Header=BB22_147 Depth=1
                                        ; implicit-def: $sgpr16
.LBB22_181:                             ;   in Loop: Header=BB22_147 Depth=1
	global_load_b64 v[23:24], v10, s[0:1]
	s_add_i32 s16, s17, -8
	s_add_u32 s0, s0, 8
	s_addc_u32 s1, s1, 0
.LBB22_182:                             ;   in Loop: Header=BB22_147 Depth=1
	s_cmp_gt_u32 s16, 7
	s_cbranch_scc1 .LBB22_187
; %bb.183:                              ;   in Loop: Header=BB22_147 Depth=1
	v_mov_b32_e32 v25, 0
	v_mov_b32_e32 v26, 0
	s_cmp_eq_u32 s16, 0
	s_cbranch_scc1 .LBB22_186
; %bb.184:                              ;   in Loop: Header=BB22_147 Depth=1
	s_mov_b64 s[12:13], 0
	s_mov_b64 s[14:15], 0
.LBB22_185:                             ;   Parent Loop BB22_147 Depth=1
                                        ; =>  This Inner Loop Header: Depth=2
	s_delay_alu instid0(SALU_CYCLE_1)
	s_add_u32 s18, s0, s14
	s_addc_u32 s19, s1, s15
	s_add_u32 s14, s14, 1
	global_load_u8 v2, v10, s[18:19]
	s_addc_u32 s15, s15, 0
	s_waitcnt vmcnt(0)
	v_and_b32_e32 v9, 0xffff, v2
	s_delay_alu instid0(VALU_DEP_1) | instskip(SKIP_3) | instid1(VALU_DEP_1)
	v_lshlrev_b64 v[2:3], s12, v[9:10]
	s_add_u32 s12, s12, 8
	s_addc_u32 s13, s13, 0
	s_cmp_lg_u32 s16, s14
	v_or_b32_e32 v25, v2, v25
	s_delay_alu instid0(VALU_DEP_2)
	v_or_b32_e32 v26, v3, v26
	s_cbranch_scc1 .LBB22_185
.LBB22_186:                             ;   in Loop: Header=BB22_147 Depth=1
	s_mov_b32 s17, 0
	s_cbranch_execz .LBB22_188
	s_branch .LBB22_189
.LBB22_187:                             ;   in Loop: Header=BB22_147 Depth=1
                                        ; implicit-def: $vgpr25_vgpr26
                                        ; implicit-def: $sgpr17
.LBB22_188:                             ;   in Loop: Header=BB22_147 Depth=1
	global_load_b64 v[25:26], v10, s[0:1]
	s_add_i32 s17, s16, -8
	s_add_u32 s0, s0, 8
	s_addc_u32 s1, s1, 0
.LBB22_189:                             ;   in Loop: Header=BB22_147 Depth=1
	s_cmp_gt_u32 s17, 7
	s_cbranch_scc1 .LBB22_194
; %bb.190:                              ;   in Loop: Header=BB22_147 Depth=1
	v_mov_b32_e32 v27, 0
	v_mov_b32_e32 v28, 0
	s_cmp_eq_u32 s17, 0
	s_cbranch_scc1 .LBB22_193
; %bb.191:                              ;   in Loop: Header=BB22_147 Depth=1
	s_mov_b64 s[12:13], 0
	s_mov_b64 s[14:15], s[0:1]
.LBB22_192:                             ;   Parent Loop BB22_147 Depth=1
                                        ; =>  This Inner Loop Header: Depth=2
	global_load_u8 v2, v10, s[14:15]
	s_add_i32 s17, s17, -1
	s_waitcnt vmcnt(0)
	v_and_b32_e32 v9, 0xffff, v2
	s_delay_alu instid0(VALU_DEP_1)
	v_lshlrev_b64 v[2:3], s12, v[9:10]
	s_add_u32 s12, s12, 8
	s_addc_u32 s13, s13, 0
	s_add_u32 s14, s14, 1
	s_addc_u32 s15, s15, 0
	s_cmp_lg_u32 s17, 0
	v_or_b32_e32 v27, v2, v27
	v_or_b32_e32 v28, v3, v28
	s_cbranch_scc1 .LBB22_192
.LBB22_193:                             ;   in Loop: Header=BB22_147 Depth=1
	s_cbranch_execz .LBB22_195
	s_branch .LBB22_196
.LBB22_194:                             ;   in Loop: Header=BB22_147 Depth=1
.LBB22_195:                             ;   in Loop: Header=BB22_147 Depth=1
	global_load_b64 v[27:28], v10, s[0:1]
.LBB22_196:                             ;   in Loop: Header=BB22_147 Depth=1
	v_readfirstlane_b32 s0, v35
	v_mov_b32_e32 v2, 0
	v_mov_b32_e32 v3, 0
	s_delay_alu instid0(VALU_DEP_3) | instskip(NEXT) | instid1(VALU_DEP_1)
	v_cmp_eq_u32_e64 s0, s0, v35
	s_and_saveexec_b32 s1, s0
	s_cbranch_execz .LBB22_202
; %bb.197:                              ;   in Loop: Header=BB22_147 Depth=1
	global_load_b64 v[31:32], v10, s[2:3] offset:24 glc
	s_waitcnt vmcnt(0)
	buffer_gl1_inv
	buffer_gl0_inv
	s_clause 0x1
	global_load_b64 v[2:3], v10, s[2:3] offset:40
	global_load_b64 v[8:9], v10, s[2:3]
	s_mov_b32 s12, exec_lo
	s_waitcnt vmcnt(1)
	v_and_b32_e32 v3, v3, v32
	v_and_b32_e32 v2, v2, v31
	s_delay_alu instid0(VALU_DEP_2) | instskip(NEXT) | instid1(VALU_DEP_2)
	v_mul_lo_u32 v3, v3, 24
	v_mul_hi_u32 v13, v2, 24
	v_mul_lo_u32 v2, v2, 24
	s_delay_alu instid0(VALU_DEP_2) | instskip(SKIP_1) | instid1(VALU_DEP_2)
	v_add_nc_u32_e32 v3, v13, v3
	s_waitcnt vmcnt(0)
	v_add_co_u32 v2, vcc_lo, v8, v2
	s_delay_alu instid0(VALU_DEP_2)
	v_add_co_ci_u32_e32 v3, vcc_lo, v9, v3, vcc_lo
	global_load_b64 v[29:30], v[2:3], off glc
	s_waitcnt vmcnt(0)
	global_atomic_cmpswap_b64 v[2:3], v10, v[29:32], s[2:3] offset:24 glc
	s_waitcnt vmcnt(0)
	buffer_gl1_inv
	buffer_gl0_inv
	v_cmpx_ne_u64_e64 v[2:3], v[31:32]
	s_cbranch_execz .LBB22_201
; %bb.198:                              ;   in Loop: Header=BB22_147 Depth=1
	s_mov_b32 s13, 0
	.p2align	6
.LBB22_199:                             ;   Parent Loop BB22_147 Depth=1
                                        ; =>  This Inner Loop Header: Depth=2
	s_sleep 1
	s_clause 0x1
	global_load_b64 v[8:9], v10, s[2:3] offset:40
	global_load_b64 v[13:14], v10, s[2:3]
	v_dual_mov_b32 v32, v3 :: v_dual_mov_b32 v31, v2
	s_waitcnt vmcnt(1)
	s_delay_alu instid0(VALU_DEP_1) | instskip(SKIP_1) | instid1(VALU_DEP_1)
	v_and_b32_e32 v8, v8, v31
	s_waitcnt vmcnt(0)
	v_mad_u64_u32 v[2:3], null, v8, 24, v[13:14]
	v_and_b32_e32 v13, v9, v32
	s_delay_alu instid0(VALU_DEP_1) | instskip(NEXT) | instid1(VALU_DEP_1)
	v_mad_u64_u32 v[8:9], null, v13, 24, v[3:4]
	v_mov_b32_e32 v3, v8
	global_load_b64 v[29:30], v[2:3], off glc
	s_waitcnt vmcnt(0)
	global_atomic_cmpswap_b64 v[2:3], v10, v[29:32], s[2:3] offset:24 glc
	s_waitcnt vmcnt(0)
	buffer_gl1_inv
	buffer_gl0_inv
	v_cmp_eq_u64_e32 vcc_lo, v[2:3], v[31:32]
	s_or_b32 s13, vcc_lo, s13
	s_delay_alu instid0(SALU_CYCLE_1)
	s_and_not1_b32 exec_lo, exec_lo, s13
	s_cbranch_execnz .LBB22_199
; %bb.200:                              ;   in Loop: Header=BB22_147 Depth=1
	s_or_b32 exec_lo, exec_lo, s13
.LBB22_201:                             ;   in Loop: Header=BB22_147 Depth=1
	s_delay_alu instid0(SALU_CYCLE_1)
	s_or_b32 exec_lo, exec_lo, s12
.LBB22_202:                             ;   in Loop: Header=BB22_147 Depth=1
	s_delay_alu instid0(SALU_CYCLE_1)
	s_or_b32 exec_lo, exec_lo, s1
	s_clause 0x1
	global_load_b64 v[8:9], v10, s[2:3] offset:40
	global_load_b128 v[29:32], v10, s[2:3]
	v_readfirstlane_b32 s12, v2
	v_readfirstlane_b32 s13, v3
	s_mov_b32 s1, exec_lo
	s_waitcnt vmcnt(1)
	v_readfirstlane_b32 s14, v8
	v_readfirstlane_b32 s15, v9
	s_delay_alu instid0(VALU_DEP_1) | instskip(NEXT) | instid1(SALU_CYCLE_1)
	s_and_b64 s[14:15], s[12:13], s[14:15]
	s_mul_i32 s16, s15, 24
	s_mul_hi_u32 s17, s14, 24
	s_mul_i32 s18, s14, 24
	s_add_i32 s17, s17, s16
	s_waitcnt vmcnt(0)
	v_add_co_u32 v2, vcc_lo, v29, s18
	v_add_co_ci_u32_e32 v3, vcc_lo, s17, v30, vcc_lo
	s_and_saveexec_b32 s16, s0
	s_cbranch_execz .LBB22_204
; %bb.203:                              ;   in Loop: Header=BB22_147 Depth=1
	v_mov_b32_e32 v9, s1
	global_store_b128 v[2:3], v[9:12], off offset:8
.LBB22_204:                             ;   in Loop: Header=BB22_147 Depth=1
	s_or_b32 exec_lo, exec_lo, s16
	s_lshl_b64 s[14:15], s[14:15], 12
	v_cmp_gt_u64_e64 vcc_lo, s[6:7], 56
	v_or_b32_e32 v9, v6, v33
	v_add_co_u32 v31, s1, v31, s14
	s_delay_alu instid0(VALU_DEP_1)
	v_add_co_ci_u32_e64 v32, s1, s15, v32, s1
	s_lshl_b32 s1, s10, 2
	v_or_b32_e32 v8, 0, v7
	v_cndmask_b32_e32 v6, v9, v6, vcc_lo
	s_add_i32 s1, s1, 28
	v_readfirstlane_b32 s14, v31
	s_and_b32 s1, s1, 0x1e0
	v_cndmask_b32_e32 v14, v8, v7, vcc_lo
	v_readfirstlane_b32 s15, v32
	v_and_or_b32 v13, 0xffffff1f, v6, s1
	s_clause 0x3
	global_store_b128 v34, v[13:16], s[14:15]
	global_store_b128 v34, v[17:20], s[14:15] offset:16
	global_store_b128 v34, v[21:24], s[14:15] offset:32
	;; [unrolled: 1-line block ×3, first 2 shown]
	s_and_saveexec_b32 s1, s0
	s_cbranch_execz .LBB22_212
; %bb.205:                              ;   in Loop: Header=BB22_147 Depth=1
	s_clause 0x1
	global_load_b64 v[17:18], v10, s[2:3] offset:32 glc
	global_load_b64 v[6:7], v10, s[2:3] offset:40
	v_dual_mov_b32 v15, s12 :: v_dual_mov_b32 v16, s13
	s_waitcnt vmcnt(0)
	v_readfirstlane_b32 s14, v6
	v_readfirstlane_b32 s15, v7
	s_delay_alu instid0(VALU_DEP_1) | instskip(NEXT) | instid1(SALU_CYCLE_1)
	s_and_b64 s[14:15], s[14:15], s[12:13]
	s_mul_i32 s15, s15, 24
	s_mul_hi_u32 s16, s14, 24
	s_mul_i32 s14, s14, 24
	s_add_i32 s16, s16, s15
	v_add_co_u32 v13, vcc_lo, v29, s14
	v_add_co_ci_u32_e32 v14, vcc_lo, s16, v30, vcc_lo
	s_mov_b32 s14, exec_lo
	global_store_b64 v[13:14], v[17:18], off
	s_waitcnt_vscnt null, 0x0
	global_atomic_cmpswap_b64 v[8:9], v10, v[15:18], s[2:3] offset:32 glc
	s_waitcnt vmcnt(0)
	v_cmpx_ne_u64_e64 v[8:9], v[17:18]
	s_cbranch_execz .LBB22_208
; %bb.206:                              ;   in Loop: Header=BB22_147 Depth=1
	s_mov_b32 s15, 0
.LBB22_207:                             ;   Parent Loop BB22_147 Depth=1
                                        ; =>  This Inner Loop Header: Depth=2
	v_dual_mov_b32 v6, s12 :: v_dual_mov_b32 v7, s13
	s_sleep 1
	global_store_b64 v[13:14], v[8:9], off
	s_waitcnt_vscnt null, 0x0
	global_atomic_cmpswap_b64 v[6:7], v10, v[6:9], s[2:3] offset:32 glc
	s_waitcnt vmcnt(0)
	v_cmp_eq_u64_e32 vcc_lo, v[6:7], v[8:9]
	v_dual_mov_b32 v9, v7 :: v_dual_mov_b32 v8, v6
	s_or_b32 s15, vcc_lo, s15
	s_delay_alu instid0(SALU_CYCLE_1)
	s_and_not1_b32 exec_lo, exec_lo, s15
	s_cbranch_execnz .LBB22_207
.LBB22_208:                             ;   in Loop: Header=BB22_147 Depth=1
	s_or_b32 exec_lo, exec_lo, s14
	global_load_b64 v[6:7], v10, s[2:3] offset:16
	s_mov_b32 s15, exec_lo
	s_mov_b32 s14, exec_lo
	v_mbcnt_lo_u32_b32 v8, s15, 0
	s_delay_alu instid0(VALU_DEP_1)
	v_cmpx_eq_u32_e32 0, v8
	s_cbranch_execz .LBB22_210
; %bb.209:                              ;   in Loop: Header=BB22_147 Depth=1
	s_bcnt1_i32_b32 s15, s15
	s_delay_alu instid0(SALU_CYCLE_1)
	v_mov_b32_e32 v9, s15
	s_waitcnt vmcnt(0)
	global_atomic_add_u64 v[6:7], v[9:10], off offset:8
.LBB22_210:                             ;   in Loop: Header=BB22_147 Depth=1
	s_or_b32 exec_lo, exec_lo, s14
	s_waitcnt vmcnt(0)
	global_load_b64 v[13:14], v[6:7], off offset:16
	s_waitcnt vmcnt(0)
	v_cmp_eq_u64_e32 vcc_lo, 0, v[13:14]
	s_cbranch_vccnz .LBB22_212
; %bb.211:                              ;   in Loop: Header=BB22_147 Depth=1
	global_load_b32 v9, v[6:7], off offset:24
	s_waitcnt vmcnt(0)
	v_and_b32_e32 v6, 0xffffff, v9
	s_waitcnt_vscnt null, 0x0
	global_store_b64 v[13:14], v[9:10], off
	v_readfirstlane_b32 m0, v6
	s_sendmsg sendmsg(MSG_INTERRUPT)
.LBB22_212:                             ;   in Loop: Header=BB22_147 Depth=1
	s_or_b32 exec_lo, exec_lo, s1
	v_add_co_u32 v6, vcc_lo, v31, v34
	v_add_co_ci_u32_e32 v7, vcc_lo, 0, v32, vcc_lo
	s_branch .LBB22_216
	.p2align	6
.LBB22_213:                             ;   in Loop: Header=BB22_216 Depth=2
	s_or_b32 exec_lo, exec_lo, s1
	s_delay_alu instid0(VALU_DEP_1) | instskip(NEXT) | instid1(VALU_DEP_1)
	v_readfirstlane_b32 s1, v8
	s_cmp_eq_u32 s1, 0
	s_cbranch_scc1 .LBB22_215
; %bb.214:                              ;   in Loop: Header=BB22_216 Depth=2
	s_sleep 1
	s_cbranch_execnz .LBB22_216
	s_branch .LBB22_218
	.p2align	6
.LBB22_215:                             ;   in Loop: Header=BB22_147 Depth=1
	s_branch .LBB22_218
.LBB22_216:                             ;   Parent Loop BB22_147 Depth=1
                                        ; =>  This Inner Loop Header: Depth=2
	v_mov_b32_e32 v8, 1
	s_and_saveexec_b32 s1, s0
	s_cbranch_execz .LBB22_213
; %bb.217:                              ;   in Loop: Header=BB22_216 Depth=2
	global_load_b32 v8, v[2:3], off offset:20 glc
	s_waitcnt vmcnt(0)
	buffer_gl1_inv
	buffer_gl0_inv
	v_and_b32_e32 v8, 1, v8
	s_branch .LBB22_213
.LBB22_218:                             ;   in Loop: Header=BB22_147 Depth=1
	global_load_b128 v[6:9], v[6:7], off
	s_and_saveexec_b32 s1, s0
	s_cbranch_execz .LBB22_146
; %bb.219:                              ;   in Loop: Header=BB22_147 Depth=1
	s_clause 0x2
	global_load_b64 v[2:3], v10, s[2:3] offset:40
	global_load_b64 v[8:9], v10, s[2:3] offset:24 glc
	global_load_b64 v[15:16], v10, s[2:3]
	s_waitcnt vmcnt(2)
	v_add_co_u32 v17, vcc_lo, v2, 1
	v_add_co_ci_u32_e32 v18, vcc_lo, 0, v3, vcc_lo
	s_delay_alu instid0(VALU_DEP_2) | instskip(NEXT) | instid1(VALU_DEP_2)
	v_add_co_u32 v13, vcc_lo, v17, s12
	v_add_co_ci_u32_e32 v14, vcc_lo, s13, v18, vcc_lo
	s_delay_alu instid0(VALU_DEP_1) | instskip(SKIP_1) | instid1(VALU_DEP_1)
	v_cmp_eq_u64_e32 vcc_lo, 0, v[13:14]
	v_dual_cndmask_b32 v14, v14, v18 :: v_dual_cndmask_b32 v13, v13, v17
	v_and_b32_e32 v3, v14, v3
	s_delay_alu instid0(VALU_DEP_2) | instskip(NEXT) | instid1(VALU_DEP_2)
	v_and_b32_e32 v2, v13, v2
	v_mul_lo_u32 v3, v3, 24
	s_delay_alu instid0(VALU_DEP_2) | instskip(SKIP_1) | instid1(VALU_DEP_2)
	v_mul_hi_u32 v17, v2, 24
	v_mul_lo_u32 v2, v2, 24
	v_add_nc_u32_e32 v3, v17, v3
	s_waitcnt vmcnt(0)
	s_delay_alu instid0(VALU_DEP_2) | instskip(SKIP_1) | instid1(VALU_DEP_3)
	v_add_co_u32 v2, vcc_lo, v15, v2
	v_mov_b32_e32 v15, v8
	v_add_co_ci_u32_e32 v3, vcc_lo, v16, v3, vcc_lo
	v_mov_b32_e32 v16, v9
	global_store_b64 v[2:3], v[8:9], off
	s_waitcnt_vscnt null, 0x0
	global_atomic_cmpswap_b64 v[15:16], v10, v[13:16], s[2:3] offset:24 glc
	s_waitcnt vmcnt(0)
	v_cmp_ne_u64_e32 vcc_lo, v[15:16], v[8:9]
	s_and_b32 exec_lo, exec_lo, vcc_lo
	s_cbranch_execz .LBB22_146
; %bb.220:                              ;   in Loop: Header=BB22_147 Depth=1
	s_mov_b32 s0, 0
.LBB22_221:                             ;   Parent Loop BB22_147 Depth=1
                                        ; =>  This Inner Loop Header: Depth=2
	s_sleep 1
	global_store_b64 v[2:3], v[15:16], off
	s_waitcnt_vscnt null, 0x0
	global_atomic_cmpswap_b64 v[8:9], v10, v[13:16], s[2:3] offset:24 glc
	s_waitcnt vmcnt(0)
	v_cmp_eq_u64_e32 vcc_lo, v[8:9], v[15:16]
	v_dual_mov_b32 v16, v9 :: v_dual_mov_b32 v15, v8
	s_or_b32 s0, vcc_lo, s0
	s_delay_alu instid0(SALU_CYCLE_1)
	s_and_not1_b32 exec_lo, exec_lo, s0
	s_cbranch_execnz .LBB22_221
	s_branch .LBB22_146
.LBB22_222:
                                        ; implicit-def: $vgpr6_vgpr7
	s_cbranch_execnz .LBB22_224
	s_branch .LBB22_251
.LBB22_223:
	s_branch .LBB22_251
.LBB22_224:
	v_readfirstlane_b32 s0, v35
	v_mov_b32_e32 v10, 0
	v_mov_b32_e32 v11, 0
	s_delay_alu instid0(VALU_DEP_3) | instskip(NEXT) | instid1(VALU_DEP_1)
	v_cmp_eq_u32_e64 s0, s0, v35
	s_and_saveexec_b32 s1, s0
	s_cbranch_execz .LBB22_230
; %bb.225:
	v_mov_b32_e32 v2, 0
	s_mov_b32 s4, exec_lo
	global_load_b64 v[8:9], v2, s[2:3] offset:24 glc
	s_waitcnt vmcnt(0)
	buffer_gl1_inv
	buffer_gl0_inv
	s_clause 0x1
	global_load_b64 v[6:7], v2, s[2:3] offset:40
	global_load_b64 v[10:11], v2, s[2:3]
	s_waitcnt vmcnt(1)
	v_and_b32_e32 v3, v7, v9
	v_and_b32_e32 v6, v6, v8
	s_delay_alu instid0(VALU_DEP_2) | instskip(NEXT) | instid1(VALU_DEP_2)
	v_mul_lo_u32 v3, v3, 24
	v_mul_hi_u32 v7, v6, 24
	v_mul_lo_u32 v6, v6, 24
	s_delay_alu instid0(VALU_DEP_2) | instskip(SKIP_1) | instid1(VALU_DEP_2)
	v_add_nc_u32_e32 v3, v7, v3
	s_waitcnt vmcnt(0)
	v_add_co_u32 v6, vcc_lo, v10, v6
	s_delay_alu instid0(VALU_DEP_2)
	v_add_co_ci_u32_e32 v7, vcc_lo, v11, v3, vcc_lo
	global_load_b64 v[6:7], v[6:7], off glc
	s_waitcnt vmcnt(0)
	global_atomic_cmpswap_b64 v[10:11], v2, v[6:9], s[2:3] offset:24 glc
	s_waitcnt vmcnt(0)
	buffer_gl1_inv
	buffer_gl0_inv
	v_cmpx_ne_u64_e64 v[10:11], v[8:9]
	s_cbranch_execz .LBB22_229
; %bb.226:
	s_mov_b32 s5, 0
	.p2align	6
.LBB22_227:                             ; =>This Inner Loop Header: Depth=1
	s_sleep 1
	s_clause 0x1
	global_load_b64 v[6:7], v2, s[2:3] offset:40
	global_load_b64 v[12:13], v2, s[2:3]
	v_dual_mov_b32 v8, v10 :: v_dual_mov_b32 v9, v11
	s_waitcnt vmcnt(1)
	s_delay_alu instid0(VALU_DEP_1) | instskip(SKIP_1) | instid1(VALU_DEP_1)
	v_and_b32_e32 v3, v6, v8
	s_waitcnt vmcnt(0)
	v_mad_u64_u32 v[10:11], null, v3, 24, v[12:13]
	v_and_b32_e32 v12, v7, v9
	s_delay_alu instid0(VALU_DEP_2) | instskip(NEXT) | instid1(VALU_DEP_1)
	v_mov_b32_e32 v3, v11
	v_mad_u64_u32 v[6:7], null, v12, 24, v[3:4]
	s_delay_alu instid0(VALU_DEP_1)
	v_mov_b32_e32 v11, v6
	global_load_b64 v[6:7], v[10:11], off glc
	s_waitcnt vmcnt(0)
	global_atomic_cmpswap_b64 v[10:11], v2, v[6:9], s[2:3] offset:24 glc
	s_waitcnt vmcnt(0)
	buffer_gl1_inv
	buffer_gl0_inv
	v_cmp_eq_u64_e32 vcc_lo, v[10:11], v[8:9]
	s_or_b32 s5, vcc_lo, s5
	s_delay_alu instid0(SALU_CYCLE_1)
	s_and_not1_b32 exec_lo, exec_lo, s5
	s_cbranch_execnz .LBB22_227
; %bb.228:
	s_or_b32 exec_lo, exec_lo, s5
.LBB22_229:
	s_delay_alu instid0(SALU_CYCLE_1)
	s_or_b32 exec_lo, exec_lo, s4
.LBB22_230:
	s_delay_alu instid0(SALU_CYCLE_1)
	s_or_b32 exec_lo, exec_lo, s1
	v_mov_b32_e32 v2, 0
	v_readfirstlane_b32 s4, v10
	v_readfirstlane_b32 s5, v11
	s_mov_b32 s1, exec_lo
	s_clause 0x1
	global_load_b64 v[12:13], v2, s[2:3] offset:40
	global_load_b128 v[6:9], v2, s[2:3]
	s_waitcnt vmcnt(1)
	v_readfirstlane_b32 s6, v12
	v_readfirstlane_b32 s7, v13
	s_delay_alu instid0(VALU_DEP_1) | instskip(NEXT) | instid1(SALU_CYCLE_1)
	s_and_b64 s[6:7], s[4:5], s[6:7]
	s_mul_i32 s10, s7, 24
	s_mul_hi_u32 s11, s6, 24
	s_mul_i32 s12, s6, 24
	s_add_i32 s11, s11, s10
	s_waitcnt vmcnt(0)
	v_add_co_u32 v10, vcc_lo, v6, s12
	v_add_co_ci_u32_e32 v11, vcc_lo, s11, v7, vcc_lo
	s_and_saveexec_b32 s10, s0
	s_cbranch_execz .LBB22_232
; %bb.231:
	v_dual_mov_b32 v12, s1 :: v_dual_mov_b32 v13, v2
	v_dual_mov_b32 v14, 2 :: v_dual_mov_b32 v15, 1
	global_store_b128 v[10:11], v[12:15], off offset:8
.LBB22_232:
	s_or_b32 exec_lo, exec_lo, s10
	s_lshl_b64 s[6:7], s[6:7], 12
	s_mov_b32 s12, 0
	v_add_co_u32 v8, vcc_lo, v8, s6
	v_add_co_ci_u32_e32 v9, vcc_lo, s7, v9, vcc_lo
	s_mov_b32 s13, s12
	s_delay_alu instid0(VALU_DEP_2)
	v_readfirstlane_b32 s6, v8
	v_add_co_u32 v8, vcc_lo, v8, v34
	s_mov_b32 s14, s12
	s_mov_b32 s15, s12
	v_and_or_b32 v0, 0xffffff1f, v0, 32
	v_dual_mov_b32 v3, v2 :: v_dual_mov_b32 v12, s12
	v_readfirstlane_b32 s7, v9
	v_add_co_ci_u32_e32 v9, vcc_lo, 0, v9, vcc_lo
	v_dual_mov_b32 v13, s13 :: v_dual_mov_b32 v14, s14
	v_mov_b32_e32 v15, s15
	s_clause 0x3
	global_store_b128 v34, v[0:3], s[6:7]
	global_store_b128 v34, v[12:15], s[6:7] offset:16
	global_store_b128 v34, v[12:15], s[6:7] offset:32
	;; [unrolled: 1-line block ×3, first 2 shown]
	s_and_saveexec_b32 s1, s0
	s_cbranch_execz .LBB22_240
; %bb.233:
	v_dual_mov_b32 v12, 0 :: v_dual_mov_b32 v13, s4
	v_mov_b32_e32 v14, s5
	s_clause 0x1
	global_load_b64 v[15:16], v12, s[2:3] offset:32 glc
	global_load_b64 v[0:1], v12, s[2:3] offset:40
	s_waitcnt vmcnt(0)
	v_readfirstlane_b32 s6, v0
	v_readfirstlane_b32 s7, v1
	s_delay_alu instid0(VALU_DEP_1) | instskip(NEXT) | instid1(SALU_CYCLE_1)
	s_and_b64 s[6:7], s[6:7], s[4:5]
	s_mul_i32 s7, s7, 24
	s_mul_hi_u32 s10, s6, 24
	s_mul_i32 s6, s6, 24
	s_add_i32 s10, s10, s7
	v_add_co_u32 v6, vcc_lo, v6, s6
	v_add_co_ci_u32_e32 v7, vcc_lo, s10, v7, vcc_lo
	s_mov_b32 s6, exec_lo
	global_store_b64 v[6:7], v[15:16], off
	s_waitcnt_vscnt null, 0x0
	global_atomic_cmpswap_b64 v[2:3], v12, v[13:16], s[2:3] offset:32 glc
	s_waitcnt vmcnt(0)
	v_cmpx_ne_u64_e64 v[2:3], v[15:16]
	s_cbranch_execz .LBB22_236
; %bb.234:
	s_mov_b32 s7, 0
.LBB22_235:                             ; =>This Inner Loop Header: Depth=1
	v_dual_mov_b32 v0, s4 :: v_dual_mov_b32 v1, s5
	s_sleep 1
	global_store_b64 v[6:7], v[2:3], off
	s_waitcnt_vscnt null, 0x0
	global_atomic_cmpswap_b64 v[0:1], v12, v[0:3], s[2:3] offset:32 glc
	s_waitcnt vmcnt(0)
	v_cmp_eq_u64_e32 vcc_lo, v[0:1], v[2:3]
	v_dual_mov_b32 v3, v1 :: v_dual_mov_b32 v2, v0
	s_or_b32 s7, vcc_lo, s7
	s_delay_alu instid0(SALU_CYCLE_1)
	s_and_not1_b32 exec_lo, exec_lo, s7
	s_cbranch_execnz .LBB22_235
.LBB22_236:
	s_or_b32 exec_lo, exec_lo, s6
	v_mov_b32_e32 v3, 0
	s_mov_b32 s7, exec_lo
	s_mov_b32 s6, exec_lo
	v_mbcnt_lo_u32_b32 v2, s7, 0
	global_load_b64 v[0:1], v3, s[2:3] offset:16
	v_cmpx_eq_u32_e32 0, v2
	s_cbranch_execz .LBB22_238
; %bb.237:
	s_bcnt1_i32_b32 s7, s7
	s_delay_alu instid0(SALU_CYCLE_1)
	v_mov_b32_e32 v2, s7
	s_waitcnt vmcnt(0)
	global_atomic_add_u64 v[0:1], v[2:3], off offset:8
.LBB22_238:
	s_or_b32 exec_lo, exec_lo, s6
	s_waitcnt vmcnt(0)
	global_load_b64 v[2:3], v[0:1], off offset:16
	s_waitcnt vmcnt(0)
	v_cmp_eq_u64_e32 vcc_lo, 0, v[2:3]
	s_cbranch_vccnz .LBB22_240
; %bb.239:
	global_load_b32 v0, v[0:1], off offset:24
	s_waitcnt vmcnt(0)
	v_dual_mov_b32 v1, 0 :: v_dual_and_b32 v6, 0xffffff, v0
	s_waitcnt_vscnt null, 0x0
	global_store_b64 v[2:3], v[0:1], off
	v_readfirstlane_b32 m0, v6
	s_sendmsg sendmsg(MSG_INTERRUPT)
.LBB22_240:
	s_or_b32 exec_lo, exec_lo, s1
	s_branch .LBB22_244
	.p2align	6
.LBB22_241:                             ;   in Loop: Header=BB22_244 Depth=1
	s_or_b32 exec_lo, exec_lo, s1
	s_delay_alu instid0(VALU_DEP_1) | instskip(NEXT) | instid1(VALU_DEP_1)
	v_readfirstlane_b32 s1, v0
	s_cmp_eq_u32 s1, 0
	s_cbranch_scc1 .LBB22_243
; %bb.242:                              ;   in Loop: Header=BB22_244 Depth=1
	s_sleep 1
	s_cbranch_execnz .LBB22_244
	s_branch .LBB22_246
	.p2align	6
.LBB22_243:
	s_branch .LBB22_246
.LBB22_244:                             ; =>This Inner Loop Header: Depth=1
	v_mov_b32_e32 v0, 1
	s_and_saveexec_b32 s1, s0
	s_cbranch_execz .LBB22_241
; %bb.245:                              ;   in Loop: Header=BB22_244 Depth=1
	global_load_b32 v0, v[10:11], off offset:20 glc
	s_waitcnt vmcnt(0)
	buffer_gl1_inv
	buffer_gl0_inv
	v_and_b32_e32 v0, 1, v0
	s_branch .LBB22_241
.LBB22_246:
	global_load_b64 v[6:7], v[8:9], off
	s_and_saveexec_b32 s1, s0
	s_cbranch_execz .LBB22_250
; %bb.247:
	v_mov_b32_e32 v10, 0
	s_clause 0x2
	global_load_b64 v[2:3], v10, s[2:3] offset:40
	global_load_b64 v[11:12], v10, s[2:3] offset:24 glc
	global_load_b64 v[8:9], v10, s[2:3]
	s_waitcnt vmcnt(2)
	v_add_co_u32 v13, vcc_lo, v2, 1
	v_add_co_ci_u32_e32 v14, vcc_lo, 0, v3, vcc_lo
	s_delay_alu instid0(VALU_DEP_2) | instskip(NEXT) | instid1(VALU_DEP_2)
	v_add_co_u32 v0, vcc_lo, v13, s4
	v_add_co_ci_u32_e32 v1, vcc_lo, s5, v14, vcc_lo
	s_delay_alu instid0(VALU_DEP_1) | instskip(SKIP_1) | instid1(VALU_DEP_1)
	v_cmp_eq_u64_e32 vcc_lo, 0, v[0:1]
	v_dual_cndmask_b32 v1, v1, v14 :: v_dual_cndmask_b32 v0, v0, v13
	v_and_b32_e32 v3, v1, v3
	s_delay_alu instid0(VALU_DEP_2) | instskip(NEXT) | instid1(VALU_DEP_2)
	v_and_b32_e32 v2, v0, v2
	v_mul_lo_u32 v3, v3, 24
	s_delay_alu instid0(VALU_DEP_2) | instskip(SKIP_1) | instid1(VALU_DEP_2)
	v_mul_hi_u32 v13, v2, 24
	v_mul_lo_u32 v2, v2, 24
	v_add_nc_u32_e32 v3, v13, v3
	s_waitcnt vmcnt(0)
	s_delay_alu instid0(VALU_DEP_2) | instskip(SKIP_1) | instid1(VALU_DEP_3)
	v_add_co_u32 v8, vcc_lo, v8, v2
	v_mov_b32_e32 v2, v11
	v_add_co_ci_u32_e32 v9, vcc_lo, v9, v3, vcc_lo
	v_mov_b32_e32 v3, v12
	global_store_b64 v[8:9], v[11:12], off
	s_waitcnt_vscnt null, 0x0
	global_atomic_cmpswap_b64 v[2:3], v10, v[0:3], s[2:3] offset:24 glc
	s_waitcnt vmcnt(0)
	v_cmp_ne_u64_e32 vcc_lo, v[2:3], v[11:12]
	s_and_b32 exec_lo, exec_lo, vcc_lo
	s_cbranch_execz .LBB22_250
; %bb.248:
	s_mov_b32 s0, 0
.LBB22_249:                             ; =>This Inner Loop Header: Depth=1
	s_sleep 1
	global_store_b64 v[8:9], v[2:3], off
	s_waitcnt_vscnt null, 0x0
	global_atomic_cmpswap_b64 v[11:12], v10, v[0:3], s[2:3] offset:24 glc
	s_waitcnt vmcnt(0)
	v_cmp_eq_u64_e32 vcc_lo, v[11:12], v[2:3]
	v_dual_mov_b32 v2, v11 :: v_dual_mov_b32 v3, v12
	s_or_b32 s0, vcc_lo, s0
	s_delay_alu instid0(SALU_CYCLE_1)
	s_and_not1_b32 exec_lo, exec_lo, s0
	s_cbranch_execnz .LBB22_249
.LBB22_250:
	s_or_b32 exec_lo, exec_lo, s1
.LBB22_251:
	v_readfirstlane_b32 s0, v35
	v_mov_b32_e32 v10, 0
	v_mov_b32_e32 v11, 0
	s_delay_alu instid0(VALU_DEP_3) | instskip(NEXT) | instid1(VALU_DEP_1)
	v_cmp_eq_u32_e64 s0, s0, v35
	s_and_saveexec_b32 s1, s0
	s_cbranch_execz .LBB22_257
; %bb.252:
	v_mov_b32_e32 v0, 0
	s_mov_b32 s4, exec_lo
	global_load_b64 v[12:13], v0, s[2:3] offset:24 glc
	s_waitcnt vmcnt(0)
	buffer_gl1_inv
	buffer_gl0_inv
	s_clause 0x1
	global_load_b64 v[1:2], v0, s[2:3] offset:40
	global_load_b64 v[8:9], v0, s[2:3]
	s_waitcnt vmcnt(1)
	v_and_b32_e32 v1, v1, v12
	v_and_b32_e32 v2, v2, v13
	s_delay_alu instid0(VALU_DEP_2) | instskip(NEXT) | instid1(VALU_DEP_2)
	v_mul_hi_u32 v3, v1, 24
	v_mul_lo_u32 v2, v2, 24
	v_mul_lo_u32 v1, v1, 24
	s_delay_alu instid0(VALU_DEP_2) | instskip(SKIP_1) | instid1(VALU_DEP_2)
	v_add_nc_u32_e32 v2, v3, v2
	s_waitcnt vmcnt(0)
	v_add_co_u32 v1, vcc_lo, v8, v1
	s_delay_alu instid0(VALU_DEP_2)
	v_add_co_ci_u32_e32 v2, vcc_lo, v9, v2, vcc_lo
	global_load_b64 v[10:11], v[1:2], off glc
	s_waitcnt vmcnt(0)
	global_atomic_cmpswap_b64 v[10:11], v0, v[10:13], s[2:3] offset:24 glc
	s_waitcnt vmcnt(0)
	buffer_gl1_inv
	buffer_gl0_inv
	v_cmpx_ne_u64_e64 v[10:11], v[12:13]
	s_cbranch_execz .LBB22_256
; %bb.253:
	s_mov_b32 s5, 0
	.p2align	6
.LBB22_254:                             ; =>This Inner Loop Header: Depth=1
	s_sleep 1
	s_clause 0x1
	global_load_b64 v[1:2], v0, s[2:3] offset:40
	global_load_b64 v[8:9], v0, s[2:3]
	v_dual_mov_b32 v13, v11 :: v_dual_mov_b32 v12, v10
	s_waitcnt vmcnt(1)
	s_delay_alu instid0(VALU_DEP_1) | instskip(SKIP_1) | instid1(VALU_DEP_1)
	v_and_b32_e32 v1, v1, v12
	s_waitcnt vmcnt(0)
	v_mad_u64_u32 v[10:11], null, v1, 24, v[8:9]
	s_delay_alu instid0(VALU_DEP_1) | instskip(NEXT) | instid1(VALU_DEP_1)
	v_dual_mov_b32 v1, v11 :: v_dual_and_b32 v8, v2, v13
	v_mad_u64_u32 v[2:3], null, v8, 24, v[1:2]
	s_delay_alu instid0(VALU_DEP_1)
	v_mov_b32_e32 v11, v2
	global_load_b64 v[10:11], v[10:11], off glc
	s_waitcnt vmcnt(0)
	global_atomic_cmpswap_b64 v[10:11], v0, v[10:13], s[2:3] offset:24 glc
	s_waitcnt vmcnt(0)
	buffer_gl1_inv
	buffer_gl0_inv
	v_cmp_eq_u64_e32 vcc_lo, v[10:11], v[12:13]
	s_or_b32 s5, vcc_lo, s5
	s_delay_alu instid0(SALU_CYCLE_1)
	s_and_not1_b32 exec_lo, exec_lo, s5
	s_cbranch_execnz .LBB22_254
; %bb.255:
	s_or_b32 exec_lo, exec_lo, s5
.LBB22_256:
	s_delay_alu instid0(SALU_CYCLE_1)
	s_or_b32 exec_lo, exec_lo, s4
.LBB22_257:
	s_delay_alu instid0(SALU_CYCLE_1)
	s_or_b32 exec_lo, exec_lo, s1
	s_waitcnt vmcnt(0)
	v_mov_b32_e32 v9, 0
	v_readfirstlane_b32 s4, v10
	v_readfirstlane_b32 s5, v11
	s_mov_b32 s1, exec_lo
	s_clause 0x1
	global_load_b64 v[12:13], v9, s[2:3] offset:40
	global_load_b128 v[0:3], v9, s[2:3]
	s_waitcnt vmcnt(1)
	v_readfirstlane_b32 s6, v12
	v_readfirstlane_b32 s7, v13
	s_delay_alu instid0(VALU_DEP_1) | instskip(NEXT) | instid1(SALU_CYCLE_1)
	s_and_b64 s[6:7], s[4:5], s[6:7]
	s_mul_i32 s10, s7, 24
	s_mul_hi_u32 s11, s6, 24
	s_mul_i32 s12, s6, 24
	s_add_i32 s11, s11, s10
	s_waitcnt vmcnt(0)
	v_add_co_u32 v10, vcc_lo, v0, s12
	v_add_co_ci_u32_e32 v11, vcc_lo, s11, v1, vcc_lo
	s_and_saveexec_b32 s10, s0
	s_cbranch_execz .LBB22_259
; %bb.258:
	v_dual_mov_b32 v8, s1 :: v_dual_mov_b32 v15, 1
	v_dual_mov_b32 v14, 2 :: v_dual_mov_b32 v13, v9
	s_delay_alu instid0(VALU_DEP_2)
	v_mov_b32_e32 v12, v8
	global_store_b128 v[10:11], v[12:15], off offset:8
.LBB22_259:
	s_or_b32 exec_lo, exec_lo, s10
	s_lshl_b64 s[6:7], s[6:7], 12
	s_mov_b32 s12, 0
	v_add_co_u32 v2, vcc_lo, v2, s6
	v_add_co_ci_u32_e32 v3, vcc_lo, s7, v3, vcc_lo
	s_mov_b32 s15, s12
	s_delay_alu instid0(VALU_DEP_2)
	v_add_co_u32 v12, vcc_lo, v2, v34
	s_mov_b32 s13, s12
	s_mov_b32 s14, s12
	v_and_or_b32 v6, 0xffffff1f, v6, 32
	v_dual_mov_b32 v8, 0xec :: v_dual_mov_b32 v17, s15
	v_readfirstlane_b32 s6, v2
	v_readfirstlane_b32 s7, v3
	v_add_co_ci_u32_e32 v13, vcc_lo, 0, v3, vcc_lo
	v_dual_mov_b32 v16, s14 :: v_dual_mov_b32 v15, s13
	v_mov_b32_e32 v14, s12
	s_clause 0x3
	global_store_b128 v34, v[6:9], s[6:7]
	global_store_b128 v34, v[14:17], s[6:7] offset:16
	global_store_b128 v34, v[14:17], s[6:7] offset:32
	global_store_b128 v34, v[14:17], s[6:7] offset:48
	s_and_saveexec_b32 s1, s0
	s_cbranch_execz .LBB22_267
; %bb.260:
	v_dual_mov_b32 v8, 0 :: v_dual_mov_b32 v15, s5
	v_mov_b32_e32 v14, s4
	s_clause 0x1
	global_load_b64 v[16:17], v8, s[2:3] offset:32 glc
	global_load_b64 v[2:3], v8, s[2:3] offset:40
	s_waitcnt vmcnt(0)
	v_readfirstlane_b32 s6, v2
	v_readfirstlane_b32 s7, v3
	s_delay_alu instid0(VALU_DEP_1) | instskip(NEXT) | instid1(SALU_CYCLE_1)
	s_and_b64 s[6:7], s[6:7], s[4:5]
	s_mul_i32 s7, s7, 24
	s_mul_hi_u32 s10, s6, 24
	s_mul_i32 s6, s6, 24
	s_add_i32 s10, s10, s7
	v_add_co_u32 v6, vcc_lo, v0, s6
	v_add_co_ci_u32_e32 v7, vcc_lo, s10, v1, vcc_lo
	s_mov_b32 s6, exec_lo
	global_store_b64 v[6:7], v[16:17], off
	s_waitcnt_vscnt null, 0x0
	global_atomic_cmpswap_b64 v[2:3], v8, v[14:17], s[2:3] offset:32 glc
	s_waitcnt vmcnt(0)
	v_cmpx_ne_u64_e64 v[2:3], v[16:17]
	s_cbranch_execz .LBB22_263
; %bb.261:
	s_mov_b32 s7, 0
.LBB22_262:                             ; =>This Inner Loop Header: Depth=1
	v_dual_mov_b32 v0, s4 :: v_dual_mov_b32 v1, s5
	s_sleep 1
	global_store_b64 v[6:7], v[2:3], off
	s_waitcnt_vscnt null, 0x0
	global_atomic_cmpswap_b64 v[0:1], v8, v[0:3], s[2:3] offset:32 glc
	s_waitcnt vmcnt(0)
	v_cmp_eq_u64_e32 vcc_lo, v[0:1], v[2:3]
	v_dual_mov_b32 v3, v1 :: v_dual_mov_b32 v2, v0
	s_or_b32 s7, vcc_lo, s7
	s_delay_alu instid0(SALU_CYCLE_1)
	s_and_not1_b32 exec_lo, exec_lo, s7
	s_cbranch_execnz .LBB22_262
.LBB22_263:
	s_or_b32 exec_lo, exec_lo, s6
	v_mov_b32_e32 v3, 0
	s_mov_b32 s7, exec_lo
	s_mov_b32 s6, exec_lo
	v_mbcnt_lo_u32_b32 v2, s7, 0
	global_load_b64 v[0:1], v3, s[2:3] offset:16
	v_cmpx_eq_u32_e32 0, v2
	s_cbranch_execz .LBB22_265
; %bb.264:
	s_bcnt1_i32_b32 s7, s7
	s_delay_alu instid0(SALU_CYCLE_1)
	v_mov_b32_e32 v2, s7
	s_waitcnt vmcnt(0)
	global_atomic_add_u64 v[0:1], v[2:3], off offset:8
.LBB22_265:
	s_or_b32 exec_lo, exec_lo, s6
	s_waitcnt vmcnt(0)
	global_load_b64 v[2:3], v[0:1], off offset:16
	s_waitcnt vmcnt(0)
	v_cmp_eq_u64_e32 vcc_lo, 0, v[2:3]
	s_cbranch_vccnz .LBB22_267
; %bb.266:
	global_load_b32 v0, v[0:1], off offset:24
	s_waitcnt vmcnt(0)
	v_dual_mov_b32 v1, 0 :: v_dual_and_b32 v6, 0xffffff, v0
	s_waitcnt_vscnt null, 0x0
	global_store_b64 v[2:3], v[0:1], off
	v_readfirstlane_b32 m0, v6
	s_sendmsg sendmsg(MSG_INTERRUPT)
.LBB22_267:
	s_or_b32 exec_lo, exec_lo, s1
	s_branch .LBB22_271
	.p2align	6
.LBB22_268:                             ;   in Loop: Header=BB22_271 Depth=1
	s_or_b32 exec_lo, exec_lo, s1
	s_delay_alu instid0(VALU_DEP_1) | instskip(NEXT) | instid1(VALU_DEP_1)
	v_readfirstlane_b32 s1, v0
	s_cmp_eq_u32 s1, 0
	s_cbranch_scc1 .LBB22_270
; %bb.269:                              ;   in Loop: Header=BB22_271 Depth=1
	s_sleep 1
	s_cbranch_execnz .LBB22_271
	s_branch .LBB22_273
	.p2align	6
.LBB22_270:
	s_branch .LBB22_273
.LBB22_271:                             ; =>This Inner Loop Header: Depth=1
	v_mov_b32_e32 v0, 1
	s_and_saveexec_b32 s1, s0
	s_cbranch_execz .LBB22_268
; %bb.272:                              ;   in Loop: Header=BB22_271 Depth=1
	global_load_b32 v0, v[10:11], off offset:20 glc
	s_waitcnt vmcnt(0)
	buffer_gl1_inv
	buffer_gl0_inv
	v_and_b32_e32 v0, 1, v0
	s_branch .LBB22_268
.LBB22_273:
	global_load_b64 v[0:1], v[12:13], off
	s_and_saveexec_b32 s1, s0
	s_cbranch_execz .LBB22_277
; %bb.274:
	v_mov_b32_e32 v10, 0
	s_clause 0x2
	global_load_b64 v[2:3], v10, s[2:3] offset:40
	global_load_b64 v[11:12], v10, s[2:3] offset:24 glc
	global_load_b64 v[8:9], v10, s[2:3]
	s_waitcnt vmcnt(2)
	v_add_co_u32 v13, vcc_lo, v2, 1
	v_add_co_ci_u32_e32 v14, vcc_lo, 0, v3, vcc_lo
	s_delay_alu instid0(VALU_DEP_2) | instskip(NEXT) | instid1(VALU_DEP_2)
	v_add_co_u32 v6, vcc_lo, v13, s4
	v_add_co_ci_u32_e32 v7, vcc_lo, s5, v14, vcc_lo
	s_delay_alu instid0(VALU_DEP_1) | instskip(SKIP_1) | instid1(VALU_DEP_1)
	v_cmp_eq_u64_e32 vcc_lo, 0, v[6:7]
	v_dual_cndmask_b32 v7, v7, v14 :: v_dual_cndmask_b32 v6, v6, v13
	v_and_b32_e32 v3, v7, v3
	s_delay_alu instid0(VALU_DEP_2) | instskip(NEXT) | instid1(VALU_DEP_2)
	v_and_b32_e32 v2, v6, v2
	v_mul_lo_u32 v3, v3, 24
	s_delay_alu instid0(VALU_DEP_2) | instskip(SKIP_1) | instid1(VALU_DEP_2)
	v_mul_hi_u32 v13, v2, 24
	v_mul_lo_u32 v2, v2, 24
	v_add_nc_u32_e32 v3, v13, v3
	s_waitcnt vmcnt(0)
	s_delay_alu instid0(VALU_DEP_2) | instskip(SKIP_1) | instid1(VALU_DEP_3)
	v_add_co_u32 v2, vcc_lo, v8, v2
	v_mov_b32_e32 v8, v11
	v_add_co_ci_u32_e32 v3, vcc_lo, v9, v3, vcc_lo
	v_mov_b32_e32 v9, v12
	global_store_b64 v[2:3], v[11:12], off
	s_waitcnt_vscnt null, 0x0
	global_atomic_cmpswap_b64 v[8:9], v10, v[6:9], s[2:3] offset:24 glc
	s_waitcnt vmcnt(0)
	v_cmp_ne_u64_e32 vcc_lo, v[8:9], v[11:12]
	s_and_b32 exec_lo, exec_lo, vcc_lo
	s_cbranch_execz .LBB22_277
; %bb.275:
	s_mov_b32 s0, 0
.LBB22_276:                             ; =>This Inner Loop Header: Depth=1
	s_sleep 1
	global_store_b64 v[2:3], v[8:9], off
	s_waitcnt_vscnt null, 0x0
	global_atomic_cmpswap_b64 v[11:12], v10, v[6:9], s[2:3] offset:24 glc
	s_waitcnt vmcnt(0)
	v_cmp_eq_u64_e32 vcc_lo, v[11:12], v[8:9]
	v_dual_mov_b32 v8, v11 :: v_dual_mov_b32 v9, v12
	s_or_b32 s0, vcc_lo, s0
	s_delay_alu instid0(SALU_CYCLE_1)
	s_and_not1_b32 exec_lo, exec_lo, s0
	s_cbranch_execnz .LBB22_276
.LBB22_277:
	s_or_b32 exec_lo, exec_lo, s1
	v_dual_mov_b32 v7, v5 :: v_dual_mov_b32 v6, v4
	s_mov_b32 s0, 0
.LBB22_278:                             ; =>This Inner Loop Header: Depth=1
	flat_load_u8 v8, v[6:7]
	v_add_co_u32 v2, vcc_lo, v6, 1
	v_add_co_ci_u32_e32 v3, vcc_lo, 0, v7, vcc_lo
	s_delay_alu instid0(VALU_DEP_1) | instskip(SKIP_3) | instid1(SALU_CYCLE_1)
	v_dual_mov_b32 v7, v3 :: v_dual_mov_b32 v6, v2
	s_waitcnt vmcnt(0) lgkmcnt(0)
	v_cmp_eq_u16_e32 vcc_lo, 0, v8
	s_or_b32 s0, vcc_lo, s0
	s_and_not1_b32 exec_lo, exec_lo, s0
	s_cbranch_execnz .LBB22_278
; %bb.279:
	s_or_b32 exec_lo, exec_lo, s0
	s_delay_alu instid0(SALU_CYCLE_1)
	s_mov_b32 s0, exec_lo
	v_cmpx_ne_u64_e32 0, v[4:5]
	s_xor_b32 s10, exec_lo, s0
	s_cbranch_execz .LBB22_365
; %bb.280:
	v_sub_nc_u32_e32 v26, v2, v4
	v_dual_mov_b32 v7, 0 :: v_dual_and_b32 v32, 2, v0
	v_dual_mov_b32 v9, 1 :: v_dual_and_b32 v0, -3, v0
	v_mov_b32_e32 v8, 2
	s_delay_alu instid0(VALU_DEP_4)
	v_ashrrev_i32_e32 v27, 31, v26
	s_mov_b32 s12, 0
	s_mov_b32 s11, 0
	s_branch .LBB22_282
.LBB22_281:                             ;   in Loop: Header=BB22_282 Depth=1
	s_or_b32 exec_lo, exec_lo, s1
	v_sub_co_u32 v26, vcc_lo, v26, v28
	v_sub_co_ci_u32_e32 v27, vcc_lo, v27, v29, vcc_lo
	v_add_co_u32 v4, s0, v4, v28
	s_delay_alu instid0(VALU_DEP_1) | instskip(NEXT) | instid1(VALU_DEP_3)
	v_add_co_ci_u32_e64 v5, s0, v5, v29, s0
	v_cmp_eq_u64_e32 vcc_lo, 0, v[26:27]
	s_or_b32 s11, vcc_lo, s11
	s_delay_alu instid0(SALU_CYCLE_1)
	s_and_not1_b32 exec_lo, exec_lo, s11
	s_cbranch_execz .LBB22_364
.LBB22_282:                             ; =>This Loop Header: Depth=1
                                        ;     Child Loop BB22_285 Depth 2
                                        ;     Child Loop BB22_293 Depth 2
	;; [unrolled: 1-line block ×11, first 2 shown]
	s_delay_alu instid0(VALU_DEP_1)
	v_cmp_gt_u64_e32 vcc_lo, 56, v[26:27]
	s_mov_b32 s1, exec_lo
                                        ; implicit-def: $vgpr2_vgpr3
                                        ; implicit-def: $sgpr4
	v_dual_cndmask_b32 v29, 0, v27 :: v_dual_cndmask_b32 v28, 56, v26
	v_cmpx_gt_u64_e32 8, v[26:27]
	s_xor_b32 s1, exec_lo, s1
	s_cbranch_execz .LBB22_288
; %bb.283:                              ;   in Loop: Header=BB22_282 Depth=1
	s_waitcnt vmcnt(0)
	v_mov_b32_e32 v2, 0
	v_mov_b32_e32 v3, 0
	s_mov_b64 s[4:5], 0
	s_mov_b32 s6, exec_lo
	v_cmpx_ne_u64_e32 0, v[26:27]
	s_cbranch_execz .LBB22_287
; %bb.284:                              ;   in Loop: Header=BB22_282 Depth=1
	v_lshlrev_b64 v[10:11], 3, v[28:29]
	v_mov_b32_e32 v2, 0
	v_dual_mov_b32 v3, 0 :: v_dual_mov_b32 v12, v5
	v_mov_b32_e32 v11, v4
	s_mov_b32 s7, 0
	.p2align	6
.LBB22_285:                             ;   Parent Loop BB22_282 Depth=1
                                        ; =>  This Inner Loop Header: Depth=2
	flat_load_u8 v6, v[11:12]
	v_mov_b32_e32 v14, s12
	v_add_co_u32 v11, vcc_lo, v11, 1
	v_add_co_ci_u32_e32 v12, vcc_lo, 0, v12, vcc_lo
	s_waitcnt vmcnt(0) lgkmcnt(0)
	v_and_b32_e32 v13, 0xffff, v6
	s_delay_alu instid0(VALU_DEP_1) | instskip(SKIP_3) | instid1(VALU_DEP_2)
	v_lshlrev_b64 v[13:14], s4, v[13:14]
	s_add_u32 s4, s4, 8
	s_addc_u32 s5, s5, 0
	v_cmp_eq_u32_e64 s0, s4, v10
	v_or_b32_e32 v3, v14, v3
	s_delay_alu instid0(VALU_DEP_3) | instskip(NEXT) | instid1(VALU_DEP_3)
	v_or_b32_e32 v2, v13, v2
	s_or_b32 s7, s0, s7
	s_delay_alu instid0(SALU_CYCLE_1)
	s_and_not1_b32 exec_lo, exec_lo, s7
	s_cbranch_execnz .LBB22_285
; %bb.286:                              ;   in Loop: Header=BB22_282 Depth=1
	s_or_b32 exec_lo, exec_lo, s7
.LBB22_287:                             ;   in Loop: Header=BB22_282 Depth=1
	s_delay_alu instid0(SALU_CYCLE_1)
	s_or_b32 exec_lo, exec_lo, s6
	s_mov_b32 s4, 0
.LBB22_288:                             ;   in Loop: Header=BB22_282 Depth=1
	s_or_saveexec_b32 s0, s1
	v_dual_mov_b32 v6, s4 :: v_dual_mov_b32 v23, v5
	v_mov_b32_e32 v22, v4
	s_xor_b32 exec_lo, exec_lo, s0
	s_cbranch_execz .LBB22_290
; %bb.289:                              ;   in Loop: Header=BB22_282 Depth=1
	s_waitcnt vmcnt(0)
	flat_load_b64 v[2:3], v[4:5]
	v_add_co_u32 v22, vcc_lo, v4, 8
	v_add_co_ci_u32_e32 v23, vcc_lo, 0, v5, vcc_lo
	s_waitcnt vmcnt(0) lgkmcnt(0)
	v_and_b32_e32 v6, 0xff, v3
	v_and_b32_e32 v10, 0xff00, v3
	v_and_b32_e32 v11, 0xff0000, v3
	v_and_b32_e32 v3, 0xff000000, v3
	v_or3_b32 v2, v2, 0, 0
	s_delay_alu instid0(VALU_DEP_4) | instskip(SKIP_1) | instid1(VALU_DEP_2)
	v_or_b32_e32 v10, v6, v10
	v_add_nc_u32_e32 v6, -8, v28
	v_or3_b32 v3, v10, v11, v3
.LBB22_290:                             ;   in Loop: Header=BB22_282 Depth=1
	s_or_b32 exec_lo, exec_lo, s0
                                        ; implicit-def: $vgpr10_vgpr11
                                        ; implicit-def: $sgpr1
	s_delay_alu instid0(SALU_CYCLE_1) | instskip(NEXT) | instid1(VALU_DEP_2)
	s_mov_b32 s0, exec_lo
	v_cmpx_gt_u32_e32 8, v6
	s_xor_b32 s6, exec_lo, s0
	s_cbranch_execz .LBB22_296
; %bb.291:                              ;   in Loop: Header=BB22_282 Depth=1
	v_mov_b32_e32 v10, 0
	v_mov_b32_e32 v11, 0
	s_mov_b32 s7, exec_lo
	v_cmpx_ne_u32_e32 0, v6
	s_cbranch_execz .LBB22_295
; %bb.292:                              ;   in Loop: Header=BB22_282 Depth=1
	v_mov_b32_e32 v10, 0
	v_mov_b32_e32 v11, 0
	s_mov_b64 s[0:1], 0
	s_mov_b32 s13, 0
	s_mov_b64 s[4:5], 0
	.p2align	6
.LBB22_293:                             ;   Parent Loop BB22_282 Depth=1
                                        ; =>  This Inner Loop Header: Depth=2
	s_delay_alu instid0(SALU_CYCLE_1)
	v_add_co_u32 v12, vcc_lo, v22, s4
	v_add_co_ci_u32_e32 v13, vcc_lo, s5, v23, vcc_lo
	s_add_u32 s4, s4, 1
	s_addc_u32 s5, s5, 0
	v_cmp_eq_u32_e32 vcc_lo, s4, v6
	flat_load_u8 v12, v[12:13]
	s_waitcnt vmcnt(0) lgkmcnt(0)
	v_dual_mov_b32 v13, s12 :: v_dual_and_b32 v12, 0xffff, v12
	s_delay_alu instid0(VALU_DEP_1) | instskip(SKIP_3) | instid1(VALU_DEP_1)
	v_lshlrev_b64 v[12:13], s0, v[12:13]
	s_add_u32 s0, s0, 8
	s_addc_u32 s1, s1, 0
	s_or_b32 s13, vcc_lo, s13
	v_or_b32_e32 v11, v13, v11
	s_delay_alu instid0(VALU_DEP_2)
	v_or_b32_e32 v10, v12, v10
	s_and_not1_b32 exec_lo, exec_lo, s13
	s_cbranch_execnz .LBB22_293
; %bb.294:                              ;   in Loop: Header=BB22_282 Depth=1
	s_or_b32 exec_lo, exec_lo, s13
.LBB22_295:                             ;   in Loop: Header=BB22_282 Depth=1
	s_delay_alu instid0(SALU_CYCLE_1)
	s_or_b32 exec_lo, exec_lo, s7
	s_mov_b32 s1, 0
                                        ; implicit-def: $vgpr6
.LBB22_296:                             ;   in Loop: Header=BB22_282 Depth=1
	s_or_saveexec_b32 s0, s6
	v_mov_b32_e32 v14, s1
	s_xor_b32 exec_lo, exec_lo, s0
	s_cbranch_execz .LBB22_298
; %bb.297:                              ;   in Loop: Header=BB22_282 Depth=1
	flat_load_b64 v[10:11], v[22:23]
	v_add_co_u32 v22, vcc_lo, v22, 8
	v_add_nc_u32_e32 v14, -8, v6
	v_add_co_ci_u32_e32 v23, vcc_lo, 0, v23, vcc_lo
	s_waitcnt vmcnt(0) lgkmcnt(0)
	v_and_b32_e32 v12, 0xff, v11
	v_and_b32_e32 v13, 0xff00, v11
	;; [unrolled: 1-line block ×4, first 2 shown]
	v_or3_b32 v10, v10, 0, 0
	s_delay_alu instid0(VALU_DEP_4) | instskip(NEXT) | instid1(VALU_DEP_1)
	v_or_b32_e32 v12, v12, v13
	v_or3_b32 v11, v12, v15, v11
.LBB22_298:                             ;   in Loop: Header=BB22_282 Depth=1
	s_or_b32 exec_lo, exec_lo, s0
                                        ; implicit-def: $sgpr1
	s_delay_alu instid0(SALU_CYCLE_1)
	s_mov_b32 s0, exec_lo
	v_cmpx_gt_u32_e32 8, v14
	s_xor_b32 s6, exec_lo, s0
	s_cbranch_execz .LBB22_304
; %bb.299:                              ;   in Loop: Header=BB22_282 Depth=1
	v_mov_b32_e32 v12, 0
	v_mov_b32_e32 v13, 0
	s_mov_b32 s7, exec_lo
	v_cmpx_ne_u32_e32 0, v14
	s_cbranch_execz .LBB22_303
; %bb.300:                              ;   in Loop: Header=BB22_282 Depth=1
	v_mov_b32_e32 v12, 0
	v_mov_b32_e32 v13, 0
	s_mov_b64 s[0:1], 0
	s_mov_b32 s13, 0
	s_mov_b64 s[4:5], 0
	.p2align	6
.LBB22_301:                             ;   Parent Loop BB22_282 Depth=1
                                        ; =>  This Inner Loop Header: Depth=2
	s_delay_alu instid0(SALU_CYCLE_1)
	v_add_co_u32 v15, vcc_lo, v22, s4
	v_add_co_ci_u32_e32 v16, vcc_lo, s5, v23, vcc_lo
	s_add_u32 s4, s4, 1
	s_addc_u32 s5, s5, 0
	v_cmp_eq_u32_e32 vcc_lo, s4, v14
	flat_load_u8 v6, v[15:16]
	s_waitcnt vmcnt(0) lgkmcnt(0)
	v_dual_mov_b32 v16, s12 :: v_dual_and_b32 v15, 0xffff, v6
	s_delay_alu instid0(VALU_DEP_1) | instskip(SKIP_3) | instid1(VALU_DEP_1)
	v_lshlrev_b64 v[15:16], s0, v[15:16]
	s_add_u32 s0, s0, 8
	s_addc_u32 s1, s1, 0
	s_or_b32 s13, vcc_lo, s13
	v_or_b32_e32 v13, v16, v13
	s_delay_alu instid0(VALU_DEP_2)
	v_or_b32_e32 v12, v15, v12
	s_and_not1_b32 exec_lo, exec_lo, s13
	s_cbranch_execnz .LBB22_301
; %bb.302:                              ;   in Loop: Header=BB22_282 Depth=1
	s_or_b32 exec_lo, exec_lo, s13
.LBB22_303:                             ;   in Loop: Header=BB22_282 Depth=1
	s_delay_alu instid0(SALU_CYCLE_1)
	s_or_b32 exec_lo, exec_lo, s7
	s_mov_b32 s1, 0
                                        ; implicit-def: $vgpr14
.LBB22_304:                             ;   in Loop: Header=BB22_282 Depth=1
	s_or_saveexec_b32 s0, s6
	v_mov_b32_e32 v6, s1
	s_xor_b32 exec_lo, exec_lo, s0
	s_cbranch_execz .LBB22_306
; %bb.305:                              ;   in Loop: Header=BB22_282 Depth=1
	flat_load_b64 v[12:13], v[22:23]
	v_add_co_u32 v22, vcc_lo, v22, 8
	v_add_co_ci_u32_e32 v23, vcc_lo, 0, v23, vcc_lo
	s_waitcnt vmcnt(0) lgkmcnt(0)
	v_and_b32_e32 v6, 0xff, v13
	v_and_b32_e32 v15, 0xff00, v13
	;; [unrolled: 1-line block ×4, first 2 shown]
	v_or3_b32 v12, v12, 0, 0
	s_delay_alu instid0(VALU_DEP_4) | instskip(SKIP_1) | instid1(VALU_DEP_2)
	v_or_b32_e32 v15, v6, v15
	v_add_nc_u32_e32 v6, -8, v14
	v_or3_b32 v13, v15, v16, v13
.LBB22_306:                             ;   in Loop: Header=BB22_282 Depth=1
	s_or_b32 exec_lo, exec_lo, s0
                                        ; implicit-def: $vgpr14_vgpr15
                                        ; implicit-def: $sgpr1
	s_delay_alu instid0(SALU_CYCLE_1) | instskip(NEXT) | instid1(VALU_DEP_1)
	s_mov_b32 s0, exec_lo
	v_cmpx_gt_u32_e32 8, v6
	s_xor_b32 s6, exec_lo, s0
	s_cbranch_execz .LBB22_312
; %bb.307:                              ;   in Loop: Header=BB22_282 Depth=1
	v_mov_b32_e32 v14, 0
	v_mov_b32_e32 v15, 0
	s_mov_b32 s7, exec_lo
	v_cmpx_ne_u32_e32 0, v6
	s_cbranch_execz .LBB22_311
; %bb.308:                              ;   in Loop: Header=BB22_282 Depth=1
	v_mov_b32_e32 v14, 0
	v_mov_b32_e32 v15, 0
	s_mov_b64 s[0:1], 0
	s_mov_b32 s13, 0
	s_mov_b64 s[4:5], 0
	.p2align	6
.LBB22_309:                             ;   Parent Loop BB22_282 Depth=1
                                        ; =>  This Inner Loop Header: Depth=2
	s_delay_alu instid0(SALU_CYCLE_1)
	v_add_co_u32 v16, vcc_lo, v22, s4
	v_add_co_ci_u32_e32 v17, vcc_lo, s5, v23, vcc_lo
	s_add_u32 s4, s4, 1
	s_addc_u32 s5, s5, 0
	v_cmp_eq_u32_e32 vcc_lo, s4, v6
	flat_load_u8 v16, v[16:17]
	s_waitcnt vmcnt(0) lgkmcnt(0)
	v_dual_mov_b32 v17, s12 :: v_dual_and_b32 v16, 0xffff, v16
	s_delay_alu instid0(VALU_DEP_1) | instskip(SKIP_3) | instid1(VALU_DEP_1)
	v_lshlrev_b64 v[16:17], s0, v[16:17]
	s_add_u32 s0, s0, 8
	s_addc_u32 s1, s1, 0
	s_or_b32 s13, vcc_lo, s13
	v_or_b32_e32 v15, v17, v15
	s_delay_alu instid0(VALU_DEP_2)
	v_or_b32_e32 v14, v16, v14
	s_and_not1_b32 exec_lo, exec_lo, s13
	s_cbranch_execnz .LBB22_309
; %bb.310:                              ;   in Loop: Header=BB22_282 Depth=1
	s_or_b32 exec_lo, exec_lo, s13
.LBB22_311:                             ;   in Loop: Header=BB22_282 Depth=1
	s_delay_alu instid0(SALU_CYCLE_1)
	s_or_b32 exec_lo, exec_lo, s7
	s_mov_b32 s1, 0
                                        ; implicit-def: $vgpr6
.LBB22_312:                             ;   in Loop: Header=BB22_282 Depth=1
	s_or_saveexec_b32 s0, s6
	v_mov_b32_e32 v18, s1
	s_xor_b32 exec_lo, exec_lo, s0
	s_cbranch_execz .LBB22_314
; %bb.313:                              ;   in Loop: Header=BB22_282 Depth=1
	flat_load_b64 v[14:15], v[22:23]
	v_add_co_u32 v22, vcc_lo, v22, 8
	v_add_nc_u32_e32 v18, -8, v6
	v_add_co_ci_u32_e32 v23, vcc_lo, 0, v23, vcc_lo
	s_waitcnt vmcnt(0) lgkmcnt(0)
	v_and_b32_e32 v16, 0xff, v15
	v_and_b32_e32 v17, 0xff00, v15
	;; [unrolled: 1-line block ×4, first 2 shown]
	v_or3_b32 v14, v14, 0, 0
	s_delay_alu instid0(VALU_DEP_4) | instskip(NEXT) | instid1(VALU_DEP_1)
	v_or_b32_e32 v16, v16, v17
	v_or3_b32 v15, v16, v19, v15
.LBB22_314:                             ;   in Loop: Header=BB22_282 Depth=1
	s_or_b32 exec_lo, exec_lo, s0
                                        ; implicit-def: $sgpr1
	s_delay_alu instid0(SALU_CYCLE_1)
	s_mov_b32 s0, exec_lo
	v_cmpx_gt_u32_e32 8, v18
	s_xor_b32 s6, exec_lo, s0
	s_cbranch_execz .LBB22_320
; %bb.315:                              ;   in Loop: Header=BB22_282 Depth=1
	v_mov_b32_e32 v16, 0
	v_mov_b32_e32 v17, 0
	s_mov_b32 s7, exec_lo
	v_cmpx_ne_u32_e32 0, v18
	s_cbranch_execz .LBB22_319
; %bb.316:                              ;   in Loop: Header=BB22_282 Depth=1
	v_mov_b32_e32 v16, 0
	v_mov_b32_e32 v17, 0
	s_mov_b64 s[0:1], 0
	s_mov_b32 s13, 0
	s_mov_b64 s[4:5], 0
	.p2align	6
.LBB22_317:                             ;   Parent Loop BB22_282 Depth=1
                                        ; =>  This Inner Loop Header: Depth=2
	s_delay_alu instid0(SALU_CYCLE_1)
	v_add_co_u32 v19, vcc_lo, v22, s4
	v_add_co_ci_u32_e32 v20, vcc_lo, s5, v23, vcc_lo
	s_add_u32 s4, s4, 1
	s_addc_u32 s5, s5, 0
	v_cmp_eq_u32_e32 vcc_lo, s4, v18
	flat_load_u8 v6, v[19:20]
	s_waitcnt vmcnt(0) lgkmcnt(0)
	v_dual_mov_b32 v20, s12 :: v_dual_and_b32 v19, 0xffff, v6
	s_delay_alu instid0(VALU_DEP_1) | instskip(SKIP_3) | instid1(VALU_DEP_1)
	v_lshlrev_b64 v[19:20], s0, v[19:20]
	s_add_u32 s0, s0, 8
	s_addc_u32 s1, s1, 0
	s_or_b32 s13, vcc_lo, s13
	v_or_b32_e32 v17, v20, v17
	s_delay_alu instid0(VALU_DEP_2)
	v_or_b32_e32 v16, v19, v16
	s_and_not1_b32 exec_lo, exec_lo, s13
	s_cbranch_execnz .LBB22_317
; %bb.318:                              ;   in Loop: Header=BB22_282 Depth=1
	s_or_b32 exec_lo, exec_lo, s13
.LBB22_319:                             ;   in Loop: Header=BB22_282 Depth=1
	s_delay_alu instid0(SALU_CYCLE_1)
	s_or_b32 exec_lo, exec_lo, s7
	s_mov_b32 s1, 0
                                        ; implicit-def: $vgpr18
.LBB22_320:                             ;   in Loop: Header=BB22_282 Depth=1
	s_or_saveexec_b32 s0, s6
	v_mov_b32_e32 v6, s1
	s_xor_b32 exec_lo, exec_lo, s0
	s_cbranch_execz .LBB22_322
; %bb.321:                              ;   in Loop: Header=BB22_282 Depth=1
	flat_load_b64 v[16:17], v[22:23]
	v_add_co_u32 v22, vcc_lo, v22, 8
	v_add_co_ci_u32_e32 v23, vcc_lo, 0, v23, vcc_lo
	s_waitcnt vmcnt(0) lgkmcnt(0)
	v_and_b32_e32 v6, 0xff, v17
	v_and_b32_e32 v19, 0xff00, v17
	;; [unrolled: 1-line block ×4, first 2 shown]
	v_or3_b32 v16, v16, 0, 0
	s_delay_alu instid0(VALU_DEP_4) | instskip(SKIP_1) | instid1(VALU_DEP_2)
	v_or_b32_e32 v19, v6, v19
	v_add_nc_u32_e32 v6, -8, v18
	v_or3_b32 v17, v19, v20, v17
.LBB22_322:                             ;   in Loop: Header=BB22_282 Depth=1
	s_or_b32 exec_lo, exec_lo, s0
                                        ; implicit-def: $vgpr18_vgpr19
                                        ; implicit-def: $sgpr1
	s_delay_alu instid0(SALU_CYCLE_1) | instskip(NEXT) | instid1(VALU_DEP_1)
	s_mov_b32 s0, exec_lo
	v_cmpx_gt_u32_e32 8, v6
	s_xor_b32 s6, exec_lo, s0
	s_cbranch_execz .LBB22_328
; %bb.323:                              ;   in Loop: Header=BB22_282 Depth=1
	v_mov_b32_e32 v18, 0
	v_mov_b32_e32 v19, 0
	s_mov_b32 s7, exec_lo
	v_cmpx_ne_u32_e32 0, v6
	s_cbranch_execz .LBB22_327
; %bb.324:                              ;   in Loop: Header=BB22_282 Depth=1
	v_mov_b32_e32 v18, 0
	v_mov_b32_e32 v19, 0
	s_mov_b64 s[0:1], 0
	s_mov_b32 s13, 0
	s_mov_b64 s[4:5], 0
	.p2align	6
.LBB22_325:                             ;   Parent Loop BB22_282 Depth=1
                                        ; =>  This Inner Loop Header: Depth=2
	s_delay_alu instid0(SALU_CYCLE_1)
	v_add_co_u32 v20, vcc_lo, v22, s4
	v_add_co_ci_u32_e32 v21, vcc_lo, s5, v23, vcc_lo
	s_add_u32 s4, s4, 1
	s_addc_u32 s5, s5, 0
	v_cmp_eq_u32_e32 vcc_lo, s4, v6
	flat_load_u8 v20, v[20:21]
	s_waitcnt vmcnt(0) lgkmcnt(0)
	v_dual_mov_b32 v21, s12 :: v_dual_and_b32 v20, 0xffff, v20
	s_delay_alu instid0(VALU_DEP_1) | instskip(SKIP_3) | instid1(VALU_DEP_1)
	v_lshlrev_b64 v[20:21], s0, v[20:21]
	s_add_u32 s0, s0, 8
	s_addc_u32 s1, s1, 0
	s_or_b32 s13, vcc_lo, s13
	v_or_b32_e32 v19, v21, v19
	s_delay_alu instid0(VALU_DEP_2)
	v_or_b32_e32 v18, v20, v18
	s_and_not1_b32 exec_lo, exec_lo, s13
	s_cbranch_execnz .LBB22_325
; %bb.326:                              ;   in Loop: Header=BB22_282 Depth=1
	s_or_b32 exec_lo, exec_lo, s13
.LBB22_327:                             ;   in Loop: Header=BB22_282 Depth=1
	s_delay_alu instid0(SALU_CYCLE_1)
	s_or_b32 exec_lo, exec_lo, s7
	s_mov_b32 s1, 0
                                        ; implicit-def: $vgpr6
.LBB22_328:                             ;   in Loop: Header=BB22_282 Depth=1
	s_or_saveexec_b32 s0, s6
	v_mov_b32_e32 v24, s1
	s_xor_b32 exec_lo, exec_lo, s0
	s_cbranch_execz .LBB22_330
; %bb.329:                              ;   in Loop: Header=BB22_282 Depth=1
	flat_load_b64 v[18:19], v[22:23]
	v_add_co_u32 v22, vcc_lo, v22, 8
	v_add_nc_u32_e32 v24, -8, v6
	v_add_co_ci_u32_e32 v23, vcc_lo, 0, v23, vcc_lo
	s_waitcnt vmcnt(0) lgkmcnt(0)
	v_and_b32_e32 v20, 0xff, v19
	v_and_b32_e32 v21, 0xff00, v19
	;; [unrolled: 1-line block ×4, first 2 shown]
	v_or3_b32 v18, v18, 0, 0
	s_delay_alu instid0(VALU_DEP_4) | instskip(NEXT) | instid1(VALU_DEP_1)
	v_or_b32_e32 v20, v20, v21
	v_or3_b32 v19, v20, v25, v19
.LBB22_330:                             ;   in Loop: Header=BB22_282 Depth=1
	s_or_b32 exec_lo, exec_lo, s0
	s_delay_alu instid0(SALU_CYCLE_1)
	s_mov_b32 s0, exec_lo
	v_cmpx_gt_u32_e32 8, v24
	s_xor_b32 s4, exec_lo, s0
	s_cbranch_execz .LBB22_336
; %bb.331:                              ;   in Loop: Header=BB22_282 Depth=1
	v_mov_b32_e32 v20, 0
	v_mov_b32_e32 v21, 0
	s_mov_b32 s5, exec_lo
	v_cmpx_ne_u32_e32 0, v24
	s_cbranch_execz .LBB22_335
; %bb.332:                              ;   in Loop: Header=BB22_282 Depth=1
	v_mov_b32_e32 v20, 0
	v_mov_b32_e32 v21, 0
	s_mov_b64 s[0:1], 0
	s_mov_b32 s6, 0
	.p2align	6
.LBB22_333:                             ;   Parent Loop BB22_282 Depth=1
                                        ; =>  This Inner Loop Header: Depth=2
	flat_load_u8 v6, v[22:23]
	v_dual_mov_b32 v31, s12 :: v_dual_add_nc_u32 v24, -1, v24
	v_add_co_u32 v22, vcc_lo, v22, 1
	v_add_co_ci_u32_e32 v23, vcc_lo, 0, v23, vcc_lo
	s_delay_alu instid0(VALU_DEP_3) | instskip(SKIP_2) | instid1(VALU_DEP_1)
	v_cmp_eq_u32_e32 vcc_lo, 0, v24
	s_waitcnt vmcnt(0) lgkmcnt(0)
	v_and_b32_e32 v30, 0xffff, v6
	v_lshlrev_b64 v[30:31], s0, v[30:31]
	s_add_u32 s0, s0, 8
	s_addc_u32 s1, s1, 0
	s_or_b32 s6, vcc_lo, s6
	s_delay_alu instid0(VALU_DEP_1) | instskip(NEXT) | instid1(VALU_DEP_2)
	v_or_b32_e32 v21, v31, v21
	v_or_b32_e32 v20, v30, v20
	s_and_not1_b32 exec_lo, exec_lo, s6
	s_cbranch_execnz .LBB22_333
; %bb.334:                              ;   in Loop: Header=BB22_282 Depth=1
	s_or_b32 exec_lo, exec_lo, s6
.LBB22_335:                             ;   in Loop: Header=BB22_282 Depth=1
	s_delay_alu instid0(SALU_CYCLE_1)
	s_or_b32 exec_lo, exec_lo, s5
                                        ; implicit-def: $vgpr22_vgpr23
.LBB22_336:                             ;   in Loop: Header=BB22_282 Depth=1
	s_and_not1_saveexec_b32 s0, s4
	s_cbranch_execz .LBB22_338
; %bb.337:                              ;   in Loop: Header=BB22_282 Depth=1
	flat_load_b64 v[20:21], v[22:23]
	s_waitcnt vmcnt(0) lgkmcnt(0)
	v_and_b32_e32 v6, 0xff, v21
	v_and_b32_e32 v22, 0xff00, v21
	;; [unrolled: 1-line block ×4, first 2 shown]
	v_or3_b32 v20, v20, 0, 0
	s_delay_alu instid0(VALU_DEP_4) | instskip(NEXT) | instid1(VALU_DEP_1)
	v_or_b32_e32 v6, v6, v22
	v_or3_b32 v21, v6, v23, v21
.LBB22_338:                             ;   in Loop: Header=BB22_282 Depth=1
	s_or_b32 exec_lo, exec_lo, s0
	v_readfirstlane_b32 s0, v35
	v_mov_b32_e32 v30, 0
	v_mov_b32_e32 v31, 0
	s_delay_alu instid0(VALU_DEP_3) | instskip(NEXT) | instid1(VALU_DEP_1)
	v_cmp_eq_u32_e64 s0, s0, v35
	s_and_saveexec_b32 s1, s0
	s_cbranch_execz .LBB22_344
; %bb.339:                              ;   in Loop: Header=BB22_282 Depth=1
	global_load_b64 v[24:25], v7, s[2:3] offset:24 glc
	s_waitcnt vmcnt(0)
	buffer_gl1_inv
	buffer_gl0_inv
	s_clause 0x1
	global_load_b64 v[22:23], v7, s[2:3] offset:40
	global_load_b64 v[30:31], v7, s[2:3]
	s_mov_b32 s4, exec_lo
	s_waitcnt vmcnt(1)
	v_and_b32_e32 v6, v23, v25
	v_and_b32_e32 v22, v22, v24
	s_delay_alu instid0(VALU_DEP_2) | instskip(NEXT) | instid1(VALU_DEP_2)
	v_mul_lo_u32 v6, v6, 24
	v_mul_hi_u32 v23, v22, 24
	v_mul_lo_u32 v22, v22, 24
	s_delay_alu instid0(VALU_DEP_2) | instskip(SKIP_1) | instid1(VALU_DEP_2)
	v_add_nc_u32_e32 v6, v23, v6
	s_waitcnt vmcnt(0)
	v_add_co_u32 v22, vcc_lo, v30, v22
	s_delay_alu instid0(VALU_DEP_2)
	v_add_co_ci_u32_e32 v23, vcc_lo, v31, v6, vcc_lo
	global_load_b64 v[22:23], v[22:23], off glc
	s_waitcnt vmcnt(0)
	global_atomic_cmpswap_b64 v[30:31], v7, v[22:25], s[2:3] offset:24 glc
	s_waitcnt vmcnt(0)
	buffer_gl1_inv
	buffer_gl0_inv
	v_cmpx_ne_u64_e64 v[30:31], v[24:25]
	s_cbranch_execz .LBB22_343
; %bb.340:                              ;   in Loop: Header=BB22_282 Depth=1
	s_mov_b32 s5, 0
	.p2align	6
.LBB22_341:                             ;   Parent Loop BB22_282 Depth=1
                                        ; =>  This Inner Loop Header: Depth=2
	s_sleep 1
	s_clause 0x1
	global_load_b64 v[22:23], v7, s[2:3] offset:40
	global_load_b64 v[36:37], v7, s[2:3]
	v_dual_mov_b32 v24, v30 :: v_dual_mov_b32 v25, v31
	s_waitcnt vmcnt(1)
	s_delay_alu instid0(VALU_DEP_1) | instskip(NEXT) | instid1(VALU_DEP_2)
	v_and_b32_e32 v6, v22, v24
	v_and_b32_e32 v33, v23, v25
	s_waitcnt vmcnt(0)
	s_delay_alu instid0(VALU_DEP_2) | instskip(NEXT) | instid1(VALU_DEP_1)
	v_mad_u64_u32 v[30:31], null, v6, 24, v[36:37]
	v_mov_b32_e32 v6, v31
	s_delay_alu instid0(VALU_DEP_1) | instskip(NEXT) | instid1(VALU_DEP_1)
	v_mad_u64_u32 v[22:23], null, v33, 24, v[6:7]
	v_mov_b32_e32 v31, v22
	global_load_b64 v[22:23], v[30:31], off glc
	s_waitcnt vmcnt(0)
	global_atomic_cmpswap_b64 v[30:31], v7, v[22:25], s[2:3] offset:24 glc
	s_waitcnt vmcnt(0)
	buffer_gl1_inv
	buffer_gl0_inv
	v_cmp_eq_u64_e32 vcc_lo, v[30:31], v[24:25]
	s_or_b32 s5, vcc_lo, s5
	s_delay_alu instid0(SALU_CYCLE_1)
	s_and_not1_b32 exec_lo, exec_lo, s5
	s_cbranch_execnz .LBB22_341
; %bb.342:                              ;   in Loop: Header=BB22_282 Depth=1
	s_or_b32 exec_lo, exec_lo, s5
.LBB22_343:                             ;   in Loop: Header=BB22_282 Depth=1
	s_delay_alu instid0(SALU_CYCLE_1)
	s_or_b32 exec_lo, exec_lo, s4
.LBB22_344:                             ;   in Loop: Header=BB22_282 Depth=1
	s_delay_alu instid0(SALU_CYCLE_1)
	s_or_b32 exec_lo, exec_lo, s1
	s_clause 0x1
	global_load_b64 v[36:37], v7, s[2:3] offset:40
	global_load_b128 v[22:25], v7, s[2:3]
	v_readfirstlane_b32 s4, v30
	v_readfirstlane_b32 s5, v31
	s_mov_b32 s1, exec_lo
	s_waitcnt vmcnt(1)
	v_readfirstlane_b32 s6, v36
	v_readfirstlane_b32 s7, v37
	s_delay_alu instid0(VALU_DEP_1) | instskip(NEXT) | instid1(SALU_CYCLE_1)
	s_and_b64 s[6:7], s[4:5], s[6:7]
	s_mul_i32 s13, s7, 24
	s_mul_hi_u32 s14, s6, 24
	s_mul_i32 s15, s6, 24
	s_add_i32 s14, s14, s13
	s_waitcnt vmcnt(0)
	v_add_co_u32 v30, vcc_lo, v22, s15
	v_add_co_ci_u32_e32 v31, vcc_lo, s14, v23, vcc_lo
	s_and_saveexec_b32 s13, s0
	s_cbranch_execz .LBB22_346
; %bb.345:                              ;   in Loop: Header=BB22_282 Depth=1
	v_mov_b32_e32 v6, s1
	global_store_b128 v[30:31], v[6:9], off offset:8
.LBB22_346:                             ;   in Loop: Header=BB22_282 Depth=1
	s_or_b32 exec_lo, exec_lo, s13
	v_cmp_lt_u64_e32 vcc_lo, 56, v[26:27]
	v_or_b32_e32 v6, 0, v1
	v_or_b32_e32 v33, v0, v32
	v_lshl_add_u32 v36, v28, 2, 28
	s_lshl_b64 s[6:7], s[6:7], 12
	s_delay_alu instid0(SALU_CYCLE_1) | instskip(NEXT) | instid1(VALU_DEP_1)
	v_add_co_u32 v24, s1, v24, s6
	v_add_co_ci_u32_e64 v25, s1, s7, v25, s1
	v_dual_cndmask_b32 v1, v6, v1 :: v_dual_cndmask_b32 v0, v33, v0
	v_and_b32_e32 v6, 0x1e0, v36
	s_delay_alu instid0(VALU_DEP_4) | instskip(NEXT) | instid1(VALU_DEP_4)
	v_readfirstlane_b32 s6, v24
	v_readfirstlane_b32 s7, v25
	s_delay_alu instid0(VALU_DEP_3)
	v_and_or_b32 v0, 0xffffff1f, v0, v6
	s_clause 0x3
	global_store_b128 v34, v[0:3], s[6:7]
	global_store_b128 v34, v[10:13], s[6:7] offset:16
	global_store_b128 v34, v[14:17], s[6:7] offset:32
	;; [unrolled: 1-line block ×3, first 2 shown]
	s_and_saveexec_b32 s1, s0
	s_cbranch_execz .LBB22_354
; %bb.347:                              ;   in Loop: Header=BB22_282 Depth=1
	s_clause 0x1
	global_load_b64 v[14:15], v7, s[2:3] offset:32 glc
	global_load_b64 v[0:1], v7, s[2:3] offset:40
	v_dual_mov_b32 v12, s4 :: v_dual_mov_b32 v13, s5
	s_waitcnt vmcnt(0)
	v_readfirstlane_b32 s6, v0
	v_readfirstlane_b32 s7, v1
	s_delay_alu instid0(VALU_DEP_1) | instskip(NEXT) | instid1(SALU_CYCLE_1)
	s_and_b64 s[6:7], s[6:7], s[4:5]
	s_mul_i32 s7, s7, 24
	s_mul_hi_u32 s13, s6, 24
	s_mul_i32 s6, s6, 24
	s_add_i32 s13, s13, s7
	v_add_co_u32 v10, vcc_lo, v22, s6
	v_add_co_ci_u32_e32 v11, vcc_lo, s13, v23, vcc_lo
	s_mov_b32 s6, exec_lo
	global_store_b64 v[10:11], v[14:15], off
	s_waitcnt_vscnt null, 0x0
	global_atomic_cmpswap_b64 v[2:3], v7, v[12:15], s[2:3] offset:32 glc
	s_waitcnt vmcnt(0)
	v_cmpx_ne_u64_e64 v[2:3], v[14:15]
	s_cbranch_execz .LBB22_350
; %bb.348:                              ;   in Loop: Header=BB22_282 Depth=1
	s_mov_b32 s7, 0
.LBB22_349:                             ;   Parent Loop BB22_282 Depth=1
                                        ; =>  This Inner Loop Header: Depth=2
	v_dual_mov_b32 v0, s4 :: v_dual_mov_b32 v1, s5
	s_sleep 1
	global_store_b64 v[10:11], v[2:3], off
	s_waitcnt_vscnt null, 0x0
	global_atomic_cmpswap_b64 v[0:1], v7, v[0:3], s[2:3] offset:32 glc
	s_waitcnt vmcnt(0)
	v_cmp_eq_u64_e32 vcc_lo, v[0:1], v[2:3]
	v_dual_mov_b32 v3, v1 :: v_dual_mov_b32 v2, v0
	s_or_b32 s7, vcc_lo, s7
	s_delay_alu instid0(SALU_CYCLE_1)
	s_and_not1_b32 exec_lo, exec_lo, s7
	s_cbranch_execnz .LBB22_349
.LBB22_350:                             ;   in Loop: Header=BB22_282 Depth=1
	s_or_b32 exec_lo, exec_lo, s6
	global_load_b64 v[0:1], v7, s[2:3] offset:16
	s_mov_b32 s7, exec_lo
	s_mov_b32 s6, exec_lo
	v_mbcnt_lo_u32_b32 v2, s7, 0
	s_delay_alu instid0(VALU_DEP_1)
	v_cmpx_eq_u32_e32 0, v2
	s_cbranch_execz .LBB22_352
; %bb.351:                              ;   in Loop: Header=BB22_282 Depth=1
	s_bcnt1_i32_b32 s7, s7
	s_delay_alu instid0(SALU_CYCLE_1)
	v_mov_b32_e32 v6, s7
	s_waitcnt vmcnt(0)
	global_atomic_add_u64 v[0:1], v[6:7], off offset:8
.LBB22_352:                             ;   in Loop: Header=BB22_282 Depth=1
	s_or_b32 exec_lo, exec_lo, s6
	s_waitcnt vmcnt(0)
	global_load_b64 v[2:3], v[0:1], off offset:16
	s_waitcnt vmcnt(0)
	v_cmp_eq_u64_e32 vcc_lo, 0, v[2:3]
	s_cbranch_vccnz .LBB22_354
; %bb.353:                              ;   in Loop: Header=BB22_282 Depth=1
	global_load_b32 v6, v[0:1], off offset:24
	s_waitcnt vmcnt(0)
	v_and_b32_e32 v0, 0xffffff, v6
	s_waitcnt_vscnt null, 0x0
	global_store_b64 v[2:3], v[6:7], off
	v_readfirstlane_b32 m0, v0
	s_sendmsg sendmsg(MSG_INTERRUPT)
.LBB22_354:                             ;   in Loop: Header=BB22_282 Depth=1
	s_or_b32 exec_lo, exec_lo, s1
	v_add_co_u32 v0, vcc_lo, v24, v34
	v_add_co_ci_u32_e32 v1, vcc_lo, 0, v25, vcc_lo
	s_branch .LBB22_358
	.p2align	6
.LBB22_355:                             ;   in Loop: Header=BB22_358 Depth=2
	s_or_b32 exec_lo, exec_lo, s1
	s_delay_alu instid0(VALU_DEP_1) | instskip(NEXT) | instid1(VALU_DEP_1)
	v_readfirstlane_b32 s1, v2
	s_cmp_eq_u32 s1, 0
	s_cbranch_scc1 .LBB22_357
; %bb.356:                              ;   in Loop: Header=BB22_358 Depth=2
	s_sleep 1
	s_cbranch_execnz .LBB22_358
	s_branch .LBB22_360
	.p2align	6
.LBB22_357:                             ;   in Loop: Header=BB22_282 Depth=1
	s_branch .LBB22_360
.LBB22_358:                             ;   Parent Loop BB22_282 Depth=1
                                        ; =>  This Inner Loop Header: Depth=2
	v_mov_b32_e32 v2, 1
	s_and_saveexec_b32 s1, s0
	s_cbranch_execz .LBB22_355
; %bb.359:                              ;   in Loop: Header=BB22_358 Depth=2
	global_load_b32 v2, v[30:31], off offset:20 glc
	s_waitcnt vmcnt(0)
	buffer_gl1_inv
	buffer_gl0_inv
	v_and_b32_e32 v2, 1, v2
	s_branch .LBB22_355
.LBB22_360:                             ;   in Loop: Header=BB22_282 Depth=1
	global_load_b128 v[0:3], v[0:1], off
	s_and_saveexec_b32 s1, s0
	s_cbranch_execz .LBB22_281
; %bb.361:                              ;   in Loop: Header=BB22_282 Depth=1
	s_clause 0x2
	global_load_b64 v[2:3], v7, s[2:3] offset:40
	global_load_b64 v[14:15], v7, s[2:3] offset:24 glc
	global_load_b64 v[12:13], v7, s[2:3]
	s_waitcnt vmcnt(2)
	v_add_co_u32 v6, vcc_lo, v2, 1
	v_add_co_ci_u32_e32 v16, vcc_lo, 0, v3, vcc_lo
	s_delay_alu instid0(VALU_DEP_2) | instskip(NEXT) | instid1(VALU_DEP_2)
	v_add_co_u32 v10, vcc_lo, v6, s4
	v_add_co_ci_u32_e32 v11, vcc_lo, s5, v16, vcc_lo
	s_delay_alu instid0(VALU_DEP_1) | instskip(SKIP_1) | instid1(VALU_DEP_1)
	v_cmp_eq_u64_e32 vcc_lo, 0, v[10:11]
	v_dual_cndmask_b32 v11, v11, v16 :: v_dual_cndmask_b32 v10, v10, v6
	v_and_b32_e32 v3, v11, v3
	s_delay_alu instid0(VALU_DEP_2) | instskip(NEXT) | instid1(VALU_DEP_1)
	v_and_b32_e32 v2, v10, v2
	v_mul_hi_u32 v6, v2, 24
	v_mul_lo_u32 v2, v2, 24
	s_waitcnt vmcnt(0)
	s_delay_alu instid0(VALU_DEP_1) | instskip(SKIP_2) | instid1(VALU_DEP_1)
	v_add_co_u32 v2, vcc_lo, v12, v2
	v_mov_b32_e32 v12, v14
	v_mul_lo_u32 v3, v3, 24
	v_add_nc_u32_e32 v3, v6, v3
	s_delay_alu instid0(VALU_DEP_1)
	v_add_co_ci_u32_e32 v3, vcc_lo, v13, v3, vcc_lo
	v_mov_b32_e32 v13, v15
	global_store_b64 v[2:3], v[14:15], off
	s_waitcnt_vscnt null, 0x0
	global_atomic_cmpswap_b64 v[12:13], v7, v[10:13], s[2:3] offset:24 glc
	s_waitcnt vmcnt(0)
	v_cmp_ne_u64_e32 vcc_lo, v[12:13], v[14:15]
	s_and_b32 exec_lo, exec_lo, vcc_lo
	s_cbranch_execz .LBB22_281
; %bb.362:                              ;   in Loop: Header=BB22_282 Depth=1
	s_mov_b32 s0, 0
.LBB22_363:                             ;   Parent Loop BB22_282 Depth=1
                                        ; =>  This Inner Loop Header: Depth=2
	s_sleep 1
	global_store_b64 v[2:3], v[12:13], off
	s_waitcnt_vscnt null, 0x0
	global_atomic_cmpswap_b64 v[14:15], v7, v[10:13], s[2:3] offset:24 glc
	s_waitcnt vmcnt(0)
	v_cmp_eq_u64_e32 vcc_lo, v[14:15], v[12:13]
	v_dual_mov_b32 v12, v14 :: v_dual_mov_b32 v13, v15
	s_or_b32 s0, vcc_lo, s0
	s_delay_alu instid0(SALU_CYCLE_1)
	s_and_not1_b32 exec_lo, exec_lo, s0
	s_cbranch_execnz .LBB22_363
	s_branch .LBB22_281
.LBB22_364:
	s_or_b32 exec_lo, exec_lo, s11
                                        ; implicit-def: $vgpr34
                                        ; implicit-def: $vgpr35
.LBB22_365:
	s_and_not1_saveexec_b32 s1, s10
	s_cbranch_execz .LBB22_393
; %bb.366:
	v_readfirstlane_b32 s0, v35
	v_mov_b32_e32 v8, 0
	v_mov_b32_e32 v9, 0
	s_delay_alu instid0(VALU_DEP_3) | instskip(NEXT) | instid1(VALU_DEP_1)
	v_cmp_eq_u32_e64 s0, s0, v35
	s_and_saveexec_b32 s4, s0
	s_cbranch_execz .LBB22_372
; %bb.367:
	s_waitcnt vmcnt(0)
	v_mov_b32_e32 v2, 0
	s_mov_b32 s5, exec_lo
	global_load_b64 v[5:6], v2, s[2:3] offset:24 glc
	s_waitcnt vmcnt(0)
	buffer_gl1_inv
	buffer_gl0_inv
	s_clause 0x1
	global_load_b64 v[3:4], v2, s[2:3] offset:40
	global_load_b64 v[7:8], v2, s[2:3]
	s_waitcnt vmcnt(1)
	v_and_b32_e32 v3, v3, v5
	v_and_b32_e32 v4, v4, v6
	s_delay_alu instid0(VALU_DEP_2) | instskip(NEXT) | instid1(VALU_DEP_2)
	v_mul_hi_u32 v9, v3, 24
	v_mul_lo_u32 v4, v4, 24
	v_mul_lo_u32 v3, v3, 24
	s_delay_alu instid0(VALU_DEP_2) | instskip(SKIP_1) | instid1(VALU_DEP_2)
	v_add_nc_u32_e32 v4, v9, v4
	s_waitcnt vmcnt(0)
	v_add_co_u32 v3, vcc_lo, v7, v3
	s_delay_alu instid0(VALU_DEP_2)
	v_add_co_ci_u32_e32 v4, vcc_lo, v8, v4, vcc_lo
	global_load_b64 v[3:4], v[3:4], off glc
	s_waitcnt vmcnt(0)
	global_atomic_cmpswap_b64 v[8:9], v2, v[3:6], s[2:3] offset:24 glc
	s_waitcnt vmcnt(0)
	buffer_gl1_inv
	buffer_gl0_inv
	v_cmpx_ne_u64_e64 v[8:9], v[5:6]
	s_cbranch_execz .LBB22_371
; %bb.368:
	s_mov_b32 s6, 0
	.p2align	6
.LBB22_369:                             ; =>This Inner Loop Header: Depth=1
	s_sleep 1
	s_clause 0x1
	global_load_b64 v[3:4], v2, s[2:3] offset:40
	global_load_b64 v[10:11], v2, s[2:3]
	v_dual_mov_b32 v5, v8 :: v_dual_mov_b32 v6, v9
	s_waitcnt vmcnt(1)
	s_delay_alu instid0(VALU_DEP_1) | instskip(NEXT) | instid1(VALU_DEP_2)
	v_and_b32_e32 v3, v3, v5
	v_and_b32_e32 v4, v4, v6
	s_waitcnt vmcnt(0)
	s_delay_alu instid0(VALU_DEP_2) | instskip(NEXT) | instid1(VALU_DEP_1)
	v_mad_u64_u32 v[7:8], null, v3, 24, v[10:11]
	v_mov_b32_e32 v3, v8
	s_delay_alu instid0(VALU_DEP_1)
	v_mad_u64_u32 v[8:9], null, v4, 24, v[3:4]
	global_load_b64 v[3:4], v[7:8], off glc
	s_waitcnt vmcnt(0)
	global_atomic_cmpswap_b64 v[8:9], v2, v[3:6], s[2:3] offset:24 glc
	s_waitcnt vmcnt(0)
	buffer_gl1_inv
	buffer_gl0_inv
	v_cmp_eq_u64_e32 vcc_lo, v[8:9], v[5:6]
	s_or_b32 s6, vcc_lo, s6
	s_delay_alu instid0(SALU_CYCLE_1)
	s_and_not1_b32 exec_lo, exec_lo, s6
	s_cbranch_execnz .LBB22_369
; %bb.370:
	s_or_b32 exec_lo, exec_lo, s6
.LBB22_371:
	s_delay_alu instid0(SALU_CYCLE_1)
	s_or_b32 exec_lo, exec_lo, s5
.LBB22_372:
	s_delay_alu instid0(SALU_CYCLE_1)
	s_or_b32 exec_lo, exec_lo, s4
	s_waitcnt vmcnt(0)
	v_mov_b32_e32 v2, 0
	v_readfirstlane_b32 s4, v8
	v_readfirstlane_b32 s5, v9
	s_mov_b32 s10, exec_lo
	s_clause 0x1
	global_load_b64 v[10:11], v2, s[2:3] offset:40
	global_load_b128 v[4:7], v2, s[2:3]
	s_waitcnt vmcnt(1)
	v_readfirstlane_b32 s6, v10
	v_readfirstlane_b32 s7, v11
	s_delay_alu instid0(VALU_DEP_1) | instskip(NEXT) | instid1(SALU_CYCLE_1)
	s_and_b64 s[6:7], s[4:5], s[6:7]
	s_mul_i32 s11, s7, 24
	s_mul_hi_u32 s12, s6, 24
	s_mul_i32 s13, s6, 24
	s_add_i32 s12, s12, s11
	s_waitcnt vmcnt(0)
	v_add_co_u32 v8, vcc_lo, v4, s13
	v_add_co_ci_u32_e32 v9, vcc_lo, s12, v5, vcc_lo
	s_and_saveexec_b32 s11, s0
	s_cbranch_execz .LBB22_374
; %bb.373:
	v_dual_mov_b32 v10, s10 :: v_dual_mov_b32 v11, v2
	v_dual_mov_b32 v12, 2 :: v_dual_mov_b32 v13, 1
	global_store_b128 v[8:9], v[10:13], off offset:8
.LBB22_374:
	s_or_b32 exec_lo, exec_lo, s11
	s_lshl_b64 s[6:7], s[6:7], 12
	s_mov_b32 s12, 0
	v_add_co_u32 v6, vcc_lo, v6, s6
	v_add_co_ci_u32_e32 v7, vcc_lo, s7, v7, vcc_lo
	s_mov_b32 s13, s12
	s_delay_alu instid0(VALU_DEP_2)
	v_readfirstlane_b32 s6, v6
	v_add_co_u32 v6, vcc_lo, v6, v34
	s_mov_b32 s14, s12
	s_mov_b32 s15, s12
	v_and_or_b32 v0, 0xffffff1f, v0, 32
	v_dual_mov_b32 v3, v2 :: v_dual_mov_b32 v10, s12
	v_readfirstlane_b32 s7, v7
	v_add_co_ci_u32_e32 v7, vcc_lo, 0, v7, vcc_lo
	v_dual_mov_b32 v11, s13 :: v_dual_mov_b32 v12, s14
	v_mov_b32_e32 v13, s15
	s_clause 0x3
	global_store_b128 v34, v[0:3], s[6:7]
	global_store_b128 v34, v[10:13], s[6:7] offset:16
	global_store_b128 v34, v[10:13], s[6:7] offset:32
	;; [unrolled: 1-line block ×3, first 2 shown]
	s_and_saveexec_b32 s6, s0
	s_cbranch_execz .LBB22_382
; %bb.375:
	v_dual_mov_b32 v10, 0 :: v_dual_mov_b32 v11, s4
	v_mov_b32_e32 v12, s5
	s_clause 0x1
	global_load_b64 v[13:14], v10, s[2:3] offset:32 glc
	global_load_b64 v[0:1], v10, s[2:3] offset:40
	s_waitcnt vmcnt(0)
	v_readfirstlane_b32 s10, v0
	v_readfirstlane_b32 s11, v1
	s_delay_alu instid0(VALU_DEP_1) | instskip(NEXT) | instid1(SALU_CYCLE_1)
	s_and_b64 s[10:11], s[10:11], s[4:5]
	s_mul_i32 s7, s11, 24
	s_mul_hi_u32 s11, s10, 24
	s_mul_i32 s10, s10, 24
	s_add_i32 s11, s11, s7
	v_add_co_u32 v4, vcc_lo, v4, s10
	v_add_co_ci_u32_e32 v5, vcc_lo, s11, v5, vcc_lo
	s_mov_b32 s7, exec_lo
	global_store_b64 v[4:5], v[13:14], off
	s_waitcnt_vscnt null, 0x0
	global_atomic_cmpswap_b64 v[2:3], v10, v[11:14], s[2:3] offset:32 glc
	s_waitcnt vmcnt(0)
	v_cmpx_ne_u64_e64 v[2:3], v[13:14]
	s_cbranch_execz .LBB22_378
; %bb.376:
	s_mov_b32 s10, 0
.LBB22_377:                             ; =>This Inner Loop Header: Depth=1
	v_dual_mov_b32 v0, s4 :: v_dual_mov_b32 v1, s5
	s_sleep 1
	global_store_b64 v[4:5], v[2:3], off
	s_waitcnt_vscnt null, 0x0
	global_atomic_cmpswap_b64 v[0:1], v10, v[0:3], s[2:3] offset:32 glc
	s_waitcnt vmcnt(0)
	v_cmp_eq_u64_e32 vcc_lo, v[0:1], v[2:3]
	v_dual_mov_b32 v3, v1 :: v_dual_mov_b32 v2, v0
	s_or_b32 s10, vcc_lo, s10
	s_delay_alu instid0(SALU_CYCLE_1)
	s_and_not1_b32 exec_lo, exec_lo, s10
	s_cbranch_execnz .LBB22_377
.LBB22_378:
	s_or_b32 exec_lo, exec_lo, s7
	v_mov_b32_e32 v3, 0
	s_mov_b32 s10, exec_lo
	s_mov_b32 s7, exec_lo
	v_mbcnt_lo_u32_b32 v2, s10, 0
	global_load_b64 v[0:1], v3, s[2:3] offset:16
	v_cmpx_eq_u32_e32 0, v2
	s_cbranch_execz .LBB22_380
; %bb.379:
	s_bcnt1_i32_b32 s10, s10
	s_delay_alu instid0(SALU_CYCLE_1)
	v_mov_b32_e32 v2, s10
	s_waitcnt vmcnt(0)
	global_atomic_add_u64 v[0:1], v[2:3], off offset:8
.LBB22_380:
	s_or_b32 exec_lo, exec_lo, s7
	s_waitcnt vmcnt(0)
	global_load_b64 v[2:3], v[0:1], off offset:16
	s_waitcnt vmcnt(0)
	v_cmp_eq_u64_e32 vcc_lo, 0, v[2:3]
	s_cbranch_vccnz .LBB22_382
; %bb.381:
	global_load_b32 v0, v[0:1], off offset:24
	s_waitcnt vmcnt(0)
	v_dual_mov_b32 v1, 0 :: v_dual_and_b32 v4, 0xffffff, v0
	s_waitcnt_vscnt null, 0x0
	global_store_b64 v[2:3], v[0:1], off
	v_readfirstlane_b32 m0, v4
	s_sendmsg sendmsg(MSG_INTERRUPT)
.LBB22_382:
	s_or_b32 exec_lo, exec_lo, s6
	s_branch .LBB22_386
	.p2align	6
.LBB22_383:                             ;   in Loop: Header=BB22_386 Depth=1
	s_or_b32 exec_lo, exec_lo, s6
	s_delay_alu instid0(VALU_DEP_1) | instskip(NEXT) | instid1(VALU_DEP_1)
	v_readfirstlane_b32 s6, v0
	s_cmp_eq_u32 s6, 0
	s_cbranch_scc1 .LBB22_385
; %bb.384:                              ;   in Loop: Header=BB22_386 Depth=1
	s_sleep 1
	s_cbranch_execnz .LBB22_386
	s_branch .LBB22_388
	.p2align	6
.LBB22_385:
	s_branch .LBB22_388
.LBB22_386:                             ; =>This Inner Loop Header: Depth=1
	v_mov_b32_e32 v0, 1
	s_and_saveexec_b32 s6, s0
	s_cbranch_execz .LBB22_383
; %bb.387:                              ;   in Loop: Header=BB22_386 Depth=1
	global_load_b32 v0, v[8:9], off offset:20 glc
	s_waitcnt vmcnt(0)
	buffer_gl1_inv
	buffer_gl0_inv
	v_and_b32_e32 v0, 1, v0
	s_branch .LBB22_383
.LBB22_388:
	global_load_b64 v[0:1], v[6:7], off
	s_and_saveexec_b32 s6, s0
	s_cbranch_execz .LBB22_392
; %bb.389:
	v_mov_b32_e32 v8, 0
	s_clause 0x2
	global_load_b64 v[4:5], v8, s[2:3] offset:40
	global_load_b64 v[9:10], v8, s[2:3] offset:24 glc
	global_load_b64 v[6:7], v8, s[2:3]
	s_waitcnt vmcnt(2)
	v_add_co_u32 v11, vcc_lo, v4, 1
	v_add_co_ci_u32_e32 v12, vcc_lo, 0, v5, vcc_lo
	s_delay_alu instid0(VALU_DEP_2) | instskip(NEXT) | instid1(VALU_DEP_2)
	v_add_co_u32 v2, vcc_lo, v11, s4
	v_add_co_ci_u32_e32 v3, vcc_lo, s5, v12, vcc_lo
	s_delay_alu instid0(VALU_DEP_1) | instskip(SKIP_1) | instid1(VALU_DEP_1)
	v_cmp_eq_u64_e32 vcc_lo, 0, v[2:3]
	v_dual_cndmask_b32 v3, v3, v12 :: v_dual_cndmask_b32 v2, v2, v11
	v_and_b32_e32 v5, v3, v5
	s_delay_alu instid0(VALU_DEP_2) | instskip(NEXT) | instid1(VALU_DEP_2)
	v_and_b32_e32 v4, v2, v4
	v_mul_lo_u32 v5, v5, 24
	s_delay_alu instid0(VALU_DEP_2) | instskip(SKIP_1) | instid1(VALU_DEP_2)
	v_mul_hi_u32 v11, v4, 24
	v_mul_lo_u32 v4, v4, 24
	v_add_nc_u32_e32 v5, v11, v5
	s_waitcnt vmcnt(0)
	s_delay_alu instid0(VALU_DEP_2) | instskip(SKIP_1) | instid1(VALU_DEP_3)
	v_add_co_u32 v6, vcc_lo, v6, v4
	v_mov_b32_e32 v4, v9
	v_add_co_ci_u32_e32 v7, vcc_lo, v7, v5, vcc_lo
	v_mov_b32_e32 v5, v10
	global_store_b64 v[6:7], v[9:10], off
	s_waitcnt_vscnt null, 0x0
	global_atomic_cmpswap_b64 v[4:5], v8, v[2:5], s[2:3] offset:24 glc
	s_waitcnt vmcnt(0)
	v_cmp_ne_u64_e32 vcc_lo, v[4:5], v[9:10]
	s_and_b32 exec_lo, exec_lo, vcc_lo
	s_cbranch_execz .LBB22_392
; %bb.390:
	s_mov_b32 s0, 0
.LBB22_391:                             ; =>This Inner Loop Header: Depth=1
	s_sleep 1
	global_store_b64 v[6:7], v[4:5], off
	s_waitcnt_vscnt null, 0x0
	global_atomic_cmpswap_b64 v[9:10], v8, v[2:5], s[2:3] offset:24 glc
	s_waitcnt vmcnt(0)
	v_cmp_eq_u64_e32 vcc_lo, v[9:10], v[4:5]
	v_dual_mov_b32 v4, v9 :: v_dual_mov_b32 v5, v10
	s_or_b32 s0, vcc_lo, s0
	s_delay_alu instid0(SALU_CYCLE_1)
	s_and_not1_b32 exec_lo, exec_lo, s0
	s_cbranch_execnz .LBB22_391
.LBB22_392:
	s_or_b32 exec_lo, exec_lo, s6
.LBB22_393:
	s_delay_alu instid0(SALU_CYCLE_1)
	s_or_b32 exec_lo, exec_lo, s1
	s_getpc_b64 s[0:1]
	s_add_u32 s0, s0, .str.1@rel32@lo+4
	s_addc_u32 s1, s1, .str.1@rel32@hi+12
	s_getpc_b64 s[2:3]
	s_add_u32 s2, s2, .str.1@rel32@lo+22
	s_addc_u32 s3, s3, .str.1@rel32@hi+30
	s_sub_i32 s4, s2, s0
	s_getpc_b64 s[2:3]
	s_add_u32 s2, s2, __ockl_fprintf_append_string_n@rel32@lo+4
	s_addc_u32 s3, s3, __ockl_fprintf_append_string_n@rel32@hi+12
	s_ashr_i32 s5, s4, 31
	s_waitcnt vmcnt(0)
	v_dual_mov_b32 v2, s0 :: v_dual_mov_b32 v3, s1
	v_dual_mov_b32 v4, s4 :: v_dual_mov_b32 v5, s5
	v_mov_b32_e32 v6, 1
	s_swappc_b64 s[30:31], s[2:3]
	s_trap 2
	s_sendmsg_rtn_b32 s0, sendmsg(MSG_RTN_GET_DOORBELL)
	s_mov_b32 ttmp2, m0
	s_waitcnt lgkmcnt(0)
	s_and_b32 s0, s0, 0x3ff
	s_delay_alu instid0(SALU_CYCLE_1) | instskip(NEXT) | instid1(SALU_CYCLE_1)
	s_bitset1_b32 s0, 10
	s_mov_b32 m0, s0
	s_sendmsg sendmsg(MSG_INTERRUPT)
	s_mov_b32 m0, ttmp2
.LBB22_394:                             ; =>This Inner Loop Header: Depth=1
	s_sethalt 5
	s_branch .LBB22_394
.Lfunc_end22:
	.size	__assert_fail, .Lfunc_end22-__assert_fail
                                        ; -- End function
	.section	.AMDGPU.csdata,"",@progbits
; Function info:
; codeLenInByte = 16176
; NumSgprs: 36
; NumVgprs: 41
; ScratchSize: 64
; MemoryBound: 0
	.section	.text._ZN4vllm3moe7moeTopKILi256EiEEvPKfPKbPfPT0_PiiiiibS3_,"axG",@progbits,_ZN4vllm3moe7moeTopKILi256EiEEvPKfPKbPfPT0_PiiiiibS3_,comdat
	.protected	_ZN4vllm3moe7moeTopKILi256EiEEvPKfPKbPfPT0_PiiiiibS3_ ; -- Begin function _ZN4vllm3moe7moeTopKILi256EiEEvPKfPKbPfPT0_PiiiiibS3_
	.globl	_ZN4vllm3moe7moeTopKILi256EiEEvPKfPKbPfPT0_PiiiiibS3_
	.p2align	8
	.type	_ZN4vllm3moe7moeTopKILi256EiEEvPKfPKbPfPT0_PiiiiibS3_,@function
_ZN4vllm3moe7moeTopKILi256EiEEvPKfPKbPfPT0_PiiiiibS3_: ; @_ZN4vllm3moe7moeTopKILi256EiEEvPKfPKbPfPT0_PiiiiibS3_
; %bb.0:
	s_clause 0x1
	s_load_b256 s[16:23], s[0:1], 0x0
	s_load_b64 s[10:11], s[0:1], 0x20
	s_mov_b32 s3, -1
	s_mov_b32 s30, -1
	s_mov_b32 s32, 0
	s_waitcnt lgkmcnt(0)
	s_cmp_eq_u64 s[18:19], 0
	s_cbranch_scc1 .LBB23_2
; %bb.1:
	v_mov_b32_e32 v1, 0
	s_ashr_i32 s2, s15, 31
	s_add_u32 s4, s18, s15
	s_addc_u32 s5, s19, s2
	global_load_u8 v1, v1, s[4:5]
	s_waitcnt vmcnt(0)
	v_readfirstlane_b32 s2, v1
	s_delay_alu instid0(VALU_DEP_1) | instskip(SKIP_1) | instid1(SALU_CYCLE_1)
	s_bitcmp1_b32 s2, 0
	s_cselect_b32 s2, -1, 0
	s_xor_b32 s30, s2, -1
.LBB23_2:
	s_clause 0x1
	s_load_b32 s2, s[0:1], 0x38
	s_load_b128 s[24:27], s[0:1], 0x28
	s_mov_b32 s4, 0
	s_waitcnt lgkmcnt(0)
	s_bitcmp1_b32 s2, 0
	s_cselect_b32 s2, -1, 0
	s_cmp_gt_i32 s25, 0
	s_cselect_b32 s14, -1, 0
	s_delay_alu instid0(SALU_CYCLE_1)
	s_and_b32 vcc_lo, exec_lo, s14
	s_cbranch_vccnz .LBB23_4
; %bb.3:
	s_mov_b32 s19, -1
	s_mov_b32 s5, 0
	s_delay_alu instid0(SALU_CYCLE_1)
	v_mov_b32_e32 v3, s5
	s_cbranch_execz .LBB23_5
	s_branch .LBB23_29
.LBB23_4:
	s_mov_b32 s19, 0
                                        ; implicit-def: $sgpr5
	v_mov_b32_e32 v3, s5
	s_and_not1_b32 vcc_lo, exec_lo, s3
	s_cbranch_vccnz .LBB23_29
.LBB23_5:
	v_mbcnt_lo_u32_b32 v1, -1, 0
	s_clause 0x1
	s_load_b64 s[12:13], s[0:1], 0x40
	s_load_b32 s31, s[0:1], 0x48
	v_lshrrev_b32_e32 v2, 2, v0
	s_mul_i32 s18, s15, s25
	v_cmp_gt_i32_e64 s3, s24, v0
	v_dual_mov_b32 v4, 0x7c :: v_dual_and_b32 v3, 7, v1
	s_delay_alu instid0(VALU_DEP_3) | instskip(SKIP_2) | instid1(VALU_DEP_4)
	v_and_b32_e32 v5, 56, v2
	v_cmp_eq_u32_e64 s4, 0, v1
	v_cmp_gt_u32_e64 s5, 32, v0
	v_cmp_gt_u32_e32 vcc_lo, 6, v3
	v_cmp_eq_u32_e64 s6, 0, v0
	s_mul_i32 s33, s15, s24
	s_mov_b32 s34, 0
	s_mov_b32 s36, 0
	v_cndmask_b32_e64 v2, 0, 1, vcc_lo
	v_cmp_gt_u32_e32 vcc_lo, 4, v3
	s_waitcnt lgkmcnt(0)
	s_cmp_lg_u64 s[12:13], 0
	v_cndmask_b32_e64 v6, 0, 1, vcc_lo
	v_cmp_ne_u32_e32 vcc_lo, 7, v3
	v_lshlrev_b32_e32 v2, 1, v2
	s_cselect_b32 s35, -1, 0
	s_ashr_i32 s19, s18, 31
	v_lshlrev_b32_e32 v9, 2, v6
	v_add_co_ci_u32_e32 v7, vcc_lo, 0, v1, vcc_lo
	v_dual_mov_b32 v3, 0 :: v_dual_lshlrev_b32 v6, 3, v3
	v_add_lshl_u32 v8, v2, v1, 2
	s_delay_alu instid0(VALU_DEP_3)
	v_lshlrev_b32_e32 v7, 2, v7
	v_add_lshl_u32 v9, v9, v1, 2
	s_lshl_b64 s[8:9], s[18:19], 2
	v_mov_b32_e32 v2, 0
	s_add_u32 s28, s22, s8
	s_addc_u32 s29, s23, s9
                                        ; implicit-def: $sgpr19
	s_branch .LBB23_7
.LBB23_6:                               ;   in Loop: Header=BB23_7 Depth=1
	s_or_b32 exec_lo, exec_lo, s8
	s_xor_b32 s7, s7, -1
	s_and_b32 s8, exec_lo, s37
	s_delay_alu instid0(SALU_CYCLE_1) | instskip(SKIP_2) | instid1(SALU_CYCLE_1)
	s_or_b32 s34, s8, s34
	s_and_not1_b32 s8, s19, exec_lo
	s_and_b32 s7, s7, exec_lo
	s_or_b32 s19, s8, s7
	s_and_not1_b32 exec_lo, exec_lo, s34
	s_cbranch_execz .LBB23_28
.LBB23_7:                               ; =>This Loop Header: Depth=1
                                        ;     Child Loop BB23_10 Depth 2
                                        ;       Child Loop BB23_14 Depth 3
	s_delay_alu instid0(VALU_DEP_1)
	v_dual_mov_b32 v10, -1.0 :: v_dual_mov_b32 v11, v2
	s_and_saveexec_b32 s37, s3
	s_cbranch_execz .LBB23_18
; %bb.8:                                ;   in Loop: Header=BB23_7 Depth=1
	v_dual_mov_b32 v10, -1.0 :: v_dual_mov_b32 v11, 0
	v_mov_b32_e32 v1, v0
	s_cmp_lg_u32 s36, 0
	s_mov_b32 s39, 0
	s_cselect_b32 s38, -1, 0
	s_branch .LBB23_10
.LBB23_9:                               ;   in Loop: Header=BB23_10 Depth=2
	s_or_b32 exec_lo, exec_lo, s8
	v_add_nc_u32_e32 v1, 0x100, v1
	s_delay_alu instid0(VALU_DEP_1) | instskip(SKIP_1) | instid1(SALU_CYCLE_1)
	v_cmp_le_i32_e32 vcc_lo, s24, v1
	s_or_b32 s39, vcc_lo, s39
	s_and_not1_b32 exec_lo, exec_lo, s39
	s_cbranch_execz .LBB23_17
.LBB23_10:                              ;   Parent Loop BB23_7 Depth=1
                                        ; =>  This Loop Header: Depth=2
                                        ;       Child Loop BB23_14 Depth 3
	v_add_nc_u32_e32 v12, s33, v1
	s_delay_alu instid0(VALU_DEP_1) | instskip(NEXT) | instid1(VALU_DEP_1)
	v_ashrrev_i32_e32 v13, 31, v12
	v_lshlrev_b64 v[12:13], 2, v[12:13]
	s_delay_alu instid0(VALU_DEP_1) | instskip(NEXT) | instid1(VALU_DEP_2)
	v_add_co_u32 v12, vcc_lo, s16, v12
	v_add_co_ci_u32_e32 v13, vcc_lo, s17, v13, vcc_lo
	s_and_not1_b32 vcc_lo, exec_lo, s35
	global_load_b32 v12, v[12:13], off
	s_cbranch_vccnz .LBB23_12
; %bb.11:                               ;   in Loop: Header=BB23_10 Depth=2
	v_lshlrev_b64 v[13:14], 2, v[1:2]
	s_delay_alu instid0(VALU_DEP_1) | instskip(NEXT) | instid1(VALU_DEP_2)
	v_add_co_u32 v13, vcc_lo, s12, v13
	v_add_co_ci_u32_e32 v14, vcc_lo, s13, v14, vcc_lo
	global_load_b32 v13, v[13:14], off
	s_waitcnt vmcnt(0)
	v_add_f32_e32 v12, v12, v13
.LBB23_12:                              ;   in Loop: Header=BB23_10 Depth=2
	v_mov_b32_e32 v13, v1
	s_and_not1_b32 vcc_lo, exec_lo, s38
	s_cbranch_vccnz .LBB23_15
; %bb.13:                               ;   in Loop: Header=BB23_10 Depth=2
	s_mov_b32 s7, 0
	s_mov_b64 s[8:9], s[28:29]
.LBB23_14:                              ;   Parent Loop BB23_7 Depth=1
                                        ;     Parent Loop BB23_10 Depth=2
                                        ; =>    This Inner Loop Header: Depth=3
	global_load_b32 v14, v2, s[8:9]
	s_add_i32 s7, s7, 1
	s_add_u32 s8, s8, 4
	s_addc_u32 s9, s9, 0
	s_cmp_ge_u32 s7, s36
	s_waitcnt vmcnt(0)
	v_cmp_eq_u32_e32 vcc_lo, v14, v1
	v_dual_cndmask_b32 v13, v13, v11 :: v_dual_cndmask_b32 v12, v12, v10
	s_cbranch_scc0 .LBB23_14
.LBB23_15:                              ;   in Loop: Header=BB23_10 Depth=2
	s_mov_b32 s8, exec_lo
	s_waitcnt vmcnt(0)
	s_delay_alu instid0(VALU_DEP_1)
	v_cmpx_ngt_f32_e32 v10, v12
	s_cbranch_execz .LBB23_9
; %bb.16:                               ;   in Loop: Header=BB23_10 Depth=2
	v_cmp_eq_f32_e32 vcc_lo, v12, v10
	v_cmp_lt_i32_e64 s7, v11, v13
	s_delay_alu instid0(VALU_DEP_1)
	s_and_b32 vcc_lo, vcc_lo, s7
	v_dual_cndmask_b32 v10, v12, v10 :: v_dual_cndmask_b32 v11, v13, v11
	s_branch .LBB23_9
.LBB23_17:                              ;   in Loop: Header=BB23_7 Depth=1
	s_or_b32 exec_lo, exec_lo, s39
.LBB23_18:                              ;   in Loop: Header=BB23_7 Depth=1
	s_delay_alu instid0(SALU_CYCLE_1) | instskip(NEXT) | instid1(VALU_DEP_1)
	s_or_b32 exec_lo, exec_lo, s37
	v_mov_b32_dpp v1, v10 quad_perm:[1,0,3,2] row_mask:0xf bank_mask:0xf
	v_mov_b32_dpp v12, v11 quad_perm:[1,0,3,2] row_mask:0xf bank_mask:0xf
	s_delay_alu instid0(VALU_DEP_2) | instskip(NEXT) | instid1(VALU_DEP_2)
	v_cmp_eq_f32_e32 vcc_lo, v10, v1
	v_cmp_lt_i32_e64 s7, v11, v12
	s_delay_alu instid0(VALU_DEP_1) | instskip(SKIP_2) | instid1(VALU_DEP_2)
	s_and_b32 vcc_lo, vcc_lo, s7
	v_cmp_gt_f32_e64 s7, v10, v1
	v_cndmask_b32_e32 v13, v1, v10, vcc_lo
	s_or_b32 vcc_lo, s7, vcc_lo
	s_delay_alu instid0(VALU_DEP_1) | instskip(SKIP_1) | instid1(VALU_DEP_2)
	v_cndmask_b32_e64 v1, v13, v10, s7
	v_cndmask_b32_e32 v10, v12, v11, vcc_lo
	v_mov_b32_dpp v11, v1 quad_perm:[2,3,0,1] row_mask:0xf bank_mask:0xf
	s_delay_alu instid0(VALU_DEP_2) | instskip(NEXT) | instid1(VALU_DEP_2)
	v_mov_b32_dpp v12, v10 quad_perm:[2,3,0,1] row_mask:0xf bank_mask:0xf
	v_cmp_eq_f32_e32 vcc_lo, v1, v11
	s_delay_alu instid0(VALU_DEP_2) | instskip(NEXT) | instid1(VALU_DEP_1)
	v_cmp_lt_i32_e64 s7, v10, v12
	s_and_b32 vcc_lo, vcc_lo, s7
	v_cmp_gt_f32_e64 s7, v1, v11
	v_cndmask_b32_e32 v13, v11, v1, vcc_lo
	s_delay_alu instid0(VALU_DEP_2) | instskip(SKIP_1) | instid1(VALU_DEP_2)
	s_or_b32 vcc_lo, s7, vcc_lo
	v_cndmask_b32_e32 v10, v12, v10, vcc_lo
	v_cndmask_b32_e64 v1, v13, v1, s7
	s_delay_alu instid0(VALU_DEP_2) | instskip(NEXT) | instid1(VALU_DEP_2)
	v_mov_b32_dpp v12, v10 row_ror:4 row_mask:0xf bank_mask:0xf
	v_mov_b32_dpp v11, v1 row_ror:4 row_mask:0xf bank_mask:0xf
	s_delay_alu instid0(VALU_DEP_2) | instskip(NEXT) | instid1(VALU_DEP_2)
	v_cmp_lt_i32_e64 s7, v10, v12
	v_cmp_eq_f32_e32 vcc_lo, v1, v11
	s_delay_alu instid0(VALU_DEP_2) | instskip(SKIP_2) | instid1(VALU_DEP_2)
	s_and_b32 vcc_lo, vcc_lo, s7
	v_cmp_gt_f32_e64 s7, v1, v11
	v_cndmask_b32_e32 v13, v11, v1, vcc_lo
	s_or_b32 vcc_lo, s7, vcc_lo
	v_cndmask_b32_e32 v10, v12, v10, vcc_lo
	s_delay_alu instid0(VALU_DEP_2) | instskip(NEXT) | instid1(VALU_DEP_2)
	v_cndmask_b32_e64 v1, v13, v1, s7
	v_mov_b32_dpp v12, v10 row_ror:8 row_mask:0xf bank_mask:0xf
	s_delay_alu instid0(VALU_DEP_2) | instskip(NEXT) | instid1(VALU_DEP_2)
	v_mov_b32_dpp v11, v1 row_ror:8 row_mask:0xf bank_mask:0xf
	v_cmp_lt_i32_e64 s7, v10, v12
	s_delay_alu instid0(VALU_DEP_2) | instskip(NEXT) | instid1(VALU_DEP_2)
	v_cmp_eq_f32_e32 vcc_lo, v1, v11
	s_and_b32 vcc_lo, vcc_lo, s7
	v_cmp_gt_f32_e64 s7, v1, v11
	v_cndmask_b32_e32 v13, v11, v1, vcc_lo
	s_delay_alu instid0(VALU_DEP_2) | instskip(SKIP_1) | instid1(VALU_DEP_2)
	s_or_b32 vcc_lo, s7, vcc_lo
	v_cndmask_b32_e32 v10, v12, v10, vcc_lo
	v_cndmask_b32_e64 v1, v13, v1, s7
	ds_swizzle_b32 v12, v10 offset:swizzle(BROADCAST,32,15)
	ds_swizzle_b32 v11, v1 offset:swizzle(BROADCAST,32,15)
	s_waitcnt lgkmcnt(1)
	v_cmp_lt_i32_e64 s7, v10, v12
	s_waitcnt lgkmcnt(0)
	v_cmp_eq_f32_e32 vcc_lo, v1, v11
	s_delay_alu instid0(VALU_DEP_2) | instskip(SKIP_2) | instid1(VALU_DEP_2)
	s_and_b32 vcc_lo, vcc_lo, s7
	v_cmp_gt_f32_e64 s7, v1, v11
	v_cndmask_b32_e32 v13, v11, v1, vcc_lo
	s_or_b32 vcc_lo, s7, vcc_lo
	s_delay_alu instid0(VALU_DEP_1)
	v_cndmask_b32_e64 v11, v13, v1, s7
	v_cndmask_b32_e32 v1, v12, v10, vcc_lo
	ds_bpermute_b32 v10, v4, v11
	ds_bpermute_b32 v1, v4, v1
	s_and_saveexec_b32 s7, s4
	s_cbranch_execz .LBB23_20
; %bb.19:                               ;   in Loop: Header=BB23_7 Depth=1
	s_waitcnt lgkmcnt(0)
	ds_store_2addr_b32 v5, v1, v10 offset1:1
.LBB23_20:                              ;   in Loop: Header=BB23_7 Depth=1
	s_or_b32 exec_lo, exec_lo, s7
	s_waitcnt lgkmcnt(0)
	s_waitcnt_vscnt null, 0x0
	s_barrier
	buffer_gl0_inv
	s_and_saveexec_b32 s9, s5
	s_cbranch_execz .LBB23_22
; %bb.21:                               ;   in Loop: Header=BB23_7 Depth=1
	ds_load_2addr_b32 v[10:11], v6 offset1:1
	s_waitcnt lgkmcnt(0)
	ds_bpermute_b32 v1, v7, v11
	ds_bpermute_b32 v12, v7, v10
	s_waitcnt lgkmcnt(1)
	v_cmp_eq_f32_e32 vcc_lo, v11, v1
	s_waitcnt lgkmcnt(0)
	v_cmp_lt_i32_e64 s7, v12, v10
	v_cmp_lt_f32_e64 s8, v11, v1
	s_delay_alu instid0(VALU_DEP_2)
	s_and_b32 s7, vcc_lo, s7
	s_delay_alu instid0(VALU_DEP_1) | instid1(SALU_CYCLE_1)
	s_or_b32 vcc_lo, s8, s7
	v_dual_cndmask_b32 v1, v11, v1 :: v_dual_cndmask_b32 v10, v10, v12
	ds_bpermute_b32 v11, v8, v1
	ds_bpermute_b32 v12, v8, v10
	s_waitcnt lgkmcnt(1)
	v_cmp_eq_f32_e32 vcc_lo, v1, v11
	s_waitcnt lgkmcnt(0)
	v_cmp_lt_i32_e64 s7, v12, v10
	v_cmp_lt_f32_e64 s8, v1, v11
	s_delay_alu instid0(VALU_DEP_2)
	s_and_b32 s7, vcc_lo, s7
	s_delay_alu instid0(VALU_DEP_1) | instid1(SALU_CYCLE_1)
	s_or_b32 vcc_lo, s8, s7
	v_dual_cndmask_b32 v1, v1, v11 :: v_dual_cndmask_b32 v10, v10, v12
	ds_bpermute_b32 v11, v9, v1
	ds_bpermute_b32 v12, v9, v10
	s_waitcnt lgkmcnt(1)
	v_cmp_eq_f32_e32 vcc_lo, v1, v11
	s_waitcnt lgkmcnt(0)
	v_cmp_lt_i32_e64 s7, v12, v10
	v_cmp_lt_f32_e64 s8, v1, v11
	s_delay_alu instid0(VALU_DEP_2)
	s_and_b32 s7, vcc_lo, s7
	s_delay_alu instid0(VALU_DEP_1) | instid1(SALU_CYCLE_1)
	s_or_b32 vcc_lo, s8, s7
	v_cndmask_b32_e32 v1, v10, v12, vcc_lo
.LBB23_22:                              ;   in Loop: Header=BB23_7 Depth=1
	s_or_b32 exec_lo, exec_lo, s9
	s_mov_b32 s37, -1
	s_mov_b32 s9, -1
                                        ; implicit-def: $sgpr7
	s_and_saveexec_b32 s38, s6
	s_cbranch_execz .LBB23_26
; %bb.23:                               ;   in Loop: Header=BB23_7 Depth=1
	v_add_nc_u32_e32 v10, s33, v1
	v_cmp_gt_i32_e64 s7, s27, v1
	s_add_i32 s8, s36, s18
	s_mov_b32 s39, 0
	s_ashr_i32 s9, s8, 31
	v_ashrrev_i32_e32 v11, 31, v10
	s_lshl_b64 s[8:9], s[8:9], 2
	s_delay_alu instid0(VALU_DEP_1) | instskip(NEXT) | instid1(VALU_DEP_1)
	v_lshlrev_b64 v[10:11], 2, v[10:11]
	v_add_co_u32 v10, vcc_lo, s16, v10
	s_delay_alu instid0(VALU_DEP_2) | instskip(SKIP_4) | instid1(SALU_CYCLE_1)
	v_add_co_ci_u32_e32 v11, vcc_lo, s17, v11, vcc_lo
	v_cmp_le_i32_e32 vcc_lo, s26, v1
	v_subrev_nc_u32_e32 v1, s26, v1
	global_load_b32 v10, v[10:11], off
	s_and_b32 s7, vcc_lo, s7
	s_and_b32 vcc_lo, s30, s7
	s_add_u32 s40, s20, s8
	v_cndmask_b32_e32 v1, s24, v1, vcc_lo
	s_addc_u32 s41, s21, s9
	s_add_u32 s42, s22, s8
	s_mov_b32 s7, exec_lo
	s_addc_u32 s43, s23, s9
	s_waitcnt vmcnt(0)
	s_clause 0x1
	global_store_b32 v2, v10, s[40:41]
	global_store_b32 v2, v1, s[42:43]
	v_cmpx_lt_i32_e32 -1, v1
	s_cbranch_execz .LBB23_25
; %bb.24:                               ;   in Loop: Header=BB23_7 Depth=1
	s_mul_i32 s40, s36, s31
	s_mov_b32 s39, exec_lo
	s_add_i32 s40, s40, s15
	s_delay_alu instid0(SALU_CYCLE_1) | instskip(SKIP_2) | instid1(VALU_DEP_1)
	v_dual_add_f32 v1, v3, v10 :: v_dual_mov_b32 v10, s40
	s_add_u32 s8, s10, s8
	s_addc_u32 s9, s11, s9
	v_cndmask_b32_e64 v3, v3, v1, s2
	global_store_b32 v2, v10, s[8:9]
.LBB23_25:                              ;   in Loop: Header=BB23_7 Depth=1
	s_or_b32 exec_lo, exec_lo, s7
	s_mov_b32 s7, -1
	s_or_not1_b32 s9, s39, exec_lo
.LBB23_26:                              ;   in Loop: Header=BB23_7 Depth=1
	s_or_b32 exec_lo, exec_lo, s38
	s_and_saveexec_b32 s8, s9
	s_cbranch_execz .LBB23_6
; %bb.27:                               ;   in Loop: Header=BB23_7 Depth=1
	s_add_i32 s36, s36, 1
	s_waitcnt_vscnt null, 0x0
	s_cmp_eq_u32 s36, s25
	s_barrier
	s_cselect_b32 s9, -1, 0
	s_and_not1_b32 s7, s7, exec_lo
	s_or_not1_b32 s37, s9, exec_lo
	buffer_gl0_inv
	s_branch .LBB23_6
.LBB23_28:
	s_or_b32 exec_lo, exec_lo, s34
	s_mov_b32 s4, -1
.LBB23_29:
	s_and_saveexec_b32 s5, s19
	s_cbranch_execnz .LBB23_32
; %bb.30:
	s_or_b32 exec_lo, exec_lo, s5
	s_and_saveexec_b32 s2, s4
	s_cbranch_execnz .LBB23_37
.LBB23_31:
	s_nop 0
	s_sendmsg sendmsg(MSG_DEALLOC_VGPRS)
	s_endpgm
.LBB23_32:
	v_cmp_eq_u32_e32 vcc_lo, 0, v0
	s_and_b32 s2, vcc_lo, s2
	s_delay_alu instid0(SALU_CYCLE_1)
	s_and_saveexec_b32 s6, s2
	s_cbranch_execz .LBB23_36
; %bb.33:
	s_and_not1_b32 vcc_lo, exec_lo, s14
	s_cbranch_vccnz .LBB23_36
; %bb.34:
	v_cmp_lt_f32_e32 vcc_lo, 0, v3
	s_mul_i32 s2, s15, s25
	v_mov_b32_e32 v1, 0
	s_ashr_i32 s3, s2, 31
	v_cndmask_b32_e32 v0, 1.0, v3, vcc_lo
	s_lshl_b64 s[2:3], s[2:3], 2
	s_delay_alu instid0(SALU_CYCLE_1)
	s_add_u32 s2, s20, s2
	s_addc_u32 s3, s21, s3
	.p2align	6
.LBB23_35:                              ; =>This Inner Loop Header: Depth=1
	global_load_b32 v2, v1, s[2:3]
	s_add_i32 s25, s25, -1
	s_waitcnt vmcnt(0)
	v_div_scale_f32 v3, null, v0, v0, v2
	v_div_scale_f32 v6, vcc_lo, v2, v0, v2
	s_delay_alu instid0(VALU_DEP_2) | instskip(SKIP_2) | instid1(VALU_DEP_1)
	v_rcp_f32_e32 v4, v3
	s_waitcnt_depctr 0xfff
	v_fma_f32 v5, -v3, v4, 1.0
	v_fmac_f32_e32 v4, v5, v4
	s_delay_alu instid0(VALU_DEP_1) | instskip(NEXT) | instid1(VALU_DEP_1)
	v_mul_f32_e32 v5, v6, v4
	v_fma_f32 v7, -v3, v5, v6
	s_delay_alu instid0(VALU_DEP_1) | instskip(NEXT) | instid1(VALU_DEP_1)
	v_fmac_f32_e32 v5, v7, v4
	v_fma_f32 v3, -v3, v5, v6
	s_delay_alu instid0(VALU_DEP_1) | instskip(NEXT) | instid1(VALU_DEP_1)
	v_div_fmas_f32 v3, v3, v4, v5
	v_div_fixup_f32 v2, v3, v0, v2
	global_store_b32 v1, v2, s[2:3]
	s_add_u32 s2, s2, 4
	s_addc_u32 s3, s3, 0
	s_cmp_lg_u32 s25, 0
	s_cbranch_scc1 .LBB23_35
.LBB23_36:
	s_or_b32 exec_lo, exec_lo, s6
	s_delay_alu instid0(SALU_CYCLE_1)
	s_and_not1_b32 s4, s4, exec_lo
	s_or_b32 exec_lo, exec_lo, s5
	s_and_saveexec_b32 s2, s4
	s_cbranch_execz .LBB23_31
.LBB23_37:
	s_add_u32 s8, s0, 0x48
	s_addc_u32 s9, s1, 0
	s_getpc_b64 s[0:1]
	s_add_u32 s0, s0, __PRETTY_FUNCTION__._ZN4vllm3moe7moeTopKILi256EiEEvPKfPKbPfPT0_PiiiiibS3_@rel32@lo+4
	s_addc_u32 s1, s1, __PRETTY_FUNCTION__._ZN4vllm3moe7moeTopKILi256EiEEvPKfPKbPfPT0_PiiiiibS3_@rel32@hi+12
	s_delay_alu instid0(SALU_CYCLE_1) | instskip(SKIP_3) | instid1(SALU_CYCLE_1)
	v_dual_mov_b32 v0, s0 :: v_dual_mov_b32 v1, s1
	s_getpc_b64 s[2:3]
	s_add_u32 s2, s2, __assert_fail@rel32@lo+4
	s_addc_u32 s3, s3, __assert_fail@rel32@hi+12
	s_swappc_b64 s[30:31], s[2:3]
	; divergent unreachable
	s_endpgm
	.section	.rodata,"a",@progbits
	.p2align	6, 0x0
	.amdhsa_kernel _ZN4vllm3moe7moeTopKILi256EiEEvPKfPKbPfPT0_PiiiiibS3_
		.amdhsa_group_segment_fixed_size 64
		.amdhsa_private_segment_fixed_size 64
		.amdhsa_kernarg_size 328
		.amdhsa_user_sgpr_count 15
		.amdhsa_user_sgpr_dispatch_ptr 0
		.amdhsa_user_sgpr_queue_ptr 0
		.amdhsa_user_sgpr_kernarg_segment_ptr 1
		.amdhsa_user_sgpr_dispatch_id 0
		.amdhsa_user_sgpr_private_segment_size 0
		.amdhsa_wavefront_size32 1
		.amdhsa_uses_dynamic_stack 0
		.amdhsa_enable_private_segment 1
		.amdhsa_system_sgpr_workgroup_id_x 1
		.amdhsa_system_sgpr_workgroup_id_y 0
		.amdhsa_system_sgpr_workgroup_id_z 0
		.amdhsa_system_sgpr_workgroup_info 0
		.amdhsa_system_vgpr_workitem_id 0
		.amdhsa_next_free_vgpr 41
		.amdhsa_next_free_sgpr 44
		.amdhsa_reserve_vcc 1
		.amdhsa_float_round_mode_32 0
		.amdhsa_float_round_mode_16_64 0
		.amdhsa_float_denorm_mode_32 3
		.amdhsa_float_denorm_mode_16_64 3
		.amdhsa_dx10_clamp 1
		.amdhsa_ieee_mode 1
		.amdhsa_fp16_overflow 0
		.amdhsa_workgroup_processor_mode 1
		.amdhsa_memory_ordered 1
		.amdhsa_forward_progress 0
		.amdhsa_shared_vgpr_count 0
		.amdhsa_exception_fp_ieee_invalid_op 0
		.amdhsa_exception_fp_denorm_src 0
		.amdhsa_exception_fp_ieee_div_zero 0
		.amdhsa_exception_fp_ieee_overflow 0
		.amdhsa_exception_fp_ieee_underflow 0
		.amdhsa_exception_fp_ieee_inexact 0
		.amdhsa_exception_int_div_zero 0
	.end_amdhsa_kernel
	.section	.text._ZN4vllm3moe7moeTopKILi256EiEEvPKfPKbPfPT0_PiiiiibS3_,"axG",@progbits,_ZN4vllm3moe7moeTopKILi256EiEEvPKfPKbPfPT0_PiiiiibS3_,comdat
.Lfunc_end23:
	.size	_ZN4vllm3moe7moeTopKILi256EiEEvPKfPKbPfPT0_PiiiiibS3_, .Lfunc_end23-_ZN4vllm3moe7moeTopKILi256EiEEvPKfPKbPfPT0_PiiiiibS3_
                                        ; -- End function
	.section	.AMDGPU.csdata,"",@progbits
; Kernel info:
; codeLenInByte = 1988
; NumSgprs: 46
; NumVgprs: 41
; ScratchSize: 64
; MemoryBound: 0
; FloatMode: 240
; IeeeMode: 1
; LDSByteSize: 64 bytes/workgroup (compile time only)
; SGPRBlocks: 5
; VGPRBlocks: 5
; NumSGPRsForWavesPerEU: 46
; NumVGPRsForWavesPerEU: 41
; Occupancy: 16
; WaveLimiterHint : 1
; COMPUTE_PGM_RSRC2:SCRATCH_EN: 1
; COMPUTE_PGM_RSRC2:USER_SGPR: 15
; COMPUTE_PGM_RSRC2:TRAP_HANDLER: 0
; COMPUTE_PGM_RSRC2:TGID_X_EN: 1
; COMPUTE_PGM_RSRC2:TGID_Y_EN: 0
; COMPUTE_PGM_RSRC2:TGID_Z_EN: 0
; COMPUTE_PGM_RSRC2:TIDIG_COMP_CNT: 0
	.section	.text._ZN4vllm3moe10topkGatingILi1ELi1ELi4ELi4ELi64EjfLNS0_11ScoringFuncE0EEEvPKT5_PKbPfiPT4_PiiiibPKf,"axG",@progbits,_ZN4vllm3moe10topkGatingILi1ELi1ELi4ELi4ELi64EjfLNS0_11ScoringFuncE0EEEvPKT5_PKbPfiPT4_PiiiibPKf,comdat
	.protected	_ZN4vllm3moe10topkGatingILi1ELi1ELi4ELi4ELi64EjfLNS0_11ScoringFuncE0EEEvPKT5_PKbPfiPT4_PiiiibPKf ; -- Begin function _ZN4vllm3moe10topkGatingILi1ELi1ELi4ELi4ELi64EjfLNS0_11ScoringFuncE0EEEvPKT5_PKbPfiPT4_PiiiibPKf
	.globl	_ZN4vllm3moe10topkGatingILi1ELi1ELi4ELi4ELi64EjfLNS0_11ScoringFuncE0EEEvPKT5_PKbPfiPT4_PiiiibPKf
	.p2align	8
	.type	_ZN4vllm3moe10topkGatingILi1ELi1ELi4ELi4ELi64EjfLNS0_11ScoringFuncE0EEEvPKT5_PKbPfiPT4_PiiiibPKf,@function
_ZN4vllm3moe10topkGatingILi1ELi1ELi4ELi4ELi64EjfLNS0_11ScoringFuncE0EEEvPKT5_PKbPfiPT4_PiiiibPKf: ; @_ZN4vllm3moe10topkGatingILi1ELi1ELi4ELi4ELi64EjfLNS0_11ScoringFuncE0EEEvPKT5_PKbPfiPT4_PiiiibPKf
; %bb.0:
	s_load_b32 s3, s[0:1], 0x18
	v_bfe_u32 v1, v0, 10, 10
	v_and_b32_e32 v0, 0x3ff, v0
	s_lshl_b32 s2, s15, 8
	s_delay_alu instid0(VALU_DEP_2) | instskip(NEXT) | instid1(VALU_DEP_1)
	v_lshlrev_b32_e32 v1, 6, v1
	v_add3_u32 v0, v1, v0, s2
	s_mov_b32 s2, exec_lo
	s_waitcnt lgkmcnt(0)
	s_delay_alu instid0(VALU_DEP_1)
	v_cmpx_gt_i32_e64 s3, v0
	s_cbranch_execz .LBB24_12
; %bb.1:
	s_clause 0x1
	s_load_b128 s[8:11], s[0:1], 0x0
	s_load_b64 s[12:13], s[0:1], 0x10
	v_ashrrev_i32_e32 v1, 31, v0
	s_waitcnt lgkmcnt(0)
	s_cmp_eq_u64 s[10:11], 0
	s_cbranch_scc1 .LBB24_3
; %bb.2:
	v_add_co_u32 v2, vcc_lo, s10, v0
	v_add_co_ci_u32_e32 v3, vcc_lo, s11, v1, vcc_lo
	global_load_u8 v2, v[2:3], off
	s_waitcnt vmcnt(0)
	v_and_b32_e32 v2, 1, v2
	s_delay_alu instid0(VALU_DEP_1) | instskip(SKIP_1) | instid1(SALU_CYCLE_1)
	v_cmp_eq_u32_e32 vcc_lo, 1, v2
	s_xor_b32 s2, vcc_lo, -1
	s_or_not1_b32 s10, s2, exec_lo
	s_branch .LBB24_4
.LBB24_3:
	s_mov_b32 s10, -1
.LBB24_4:
	s_load_b128 s[4:7], s[0:1], 0x30
	s_waitcnt lgkmcnt(0)
	s_bitcmp1_b32 s7, 0
	s_cselect_b32 s2, -1, 0
	s_cmp_gt_i32 s4, 0
	s_cselect_b32 s7, -1, 0
	s_cmp_lt_i32 s4, 1
	s_cbranch_scc1 .LBB24_8
; %bb.5:
	v_lshlrev_b64 v[1:2], 2, v[0:1]
	s_load_b128 s[16:19], s[0:1], 0x20
	s_cmp_lt_i32 s5, 1
	v_mov_b32_e32 v7, 0
	s_cselect_b32 s0, -1, 0
	s_cmp_gt_i32 s6, 0
	v_add_co_u32 v1, vcc_lo, s8, v1
	v_add_co_ci_u32_e32 v2, vcc_lo, s9, v2, vcc_lo
	s_cselect_b32 s1, -1, 0
	s_sub_i32 s5, 0, s5
	s_and_b32 s0, s0, s1
	global_load_b32 v1, v[1:2], off
	s_and_b32 s0, s10, s0
	s_waitcnt vmcnt(0)
	v_sub_f32_e32 v1, v1, v1
	s_delay_alu instid0(VALU_DEP_1) | instskip(NEXT) | instid1(VALU_DEP_1)
	v_mul_f32_e32 v2, 0x3fb8aa3b, v1
	v_fma_f32 v3, 0x3fb8aa3b, v1, -v2
	v_rndne_f32_e32 v4, v2
	s_delay_alu instid0(VALU_DEP_1) | instskip(SKIP_1) | instid1(VALU_DEP_4)
	v_sub_f32_e32 v2, v2, v4
	v_cmp_ngt_f32_e32 vcc_lo, 0xc2ce8ed0, v1
	v_fmamk_f32 v3, v1, 0x32a5705f, v3
	s_delay_alu instid0(VALU_DEP_1) | instskip(SKIP_1) | instid1(VALU_DEP_2)
	v_add_f32_e32 v2, v2, v3
	v_cvt_i32_f32_e32 v3, v4
	v_exp_f32_e32 v2, v2
	s_waitcnt_depctr 0xfff
	v_ldexp_f32 v2, v2, v3
	s_delay_alu instid0(VALU_DEP_1) | instskip(SKIP_1) | instid1(VALU_DEP_2)
	v_cndmask_b32_e32 v2, 0, v2, vcc_lo
	v_cmp_nlt_f32_e32 vcc_lo, 0x42b17218, v1
	v_cndmask_b32_e32 v9, 0x7f800000, v2, vcc_lo
	s_delay_alu instid0(VALU_DEP_1) | instskip(NEXT) | instid1(VALU_DEP_1)
	v_div_scale_f32 v3, null, v9, v9, 1.0
	v_rcp_f32_e32 v4, v3
	s_waitcnt_depctr 0xfff
	v_fma_f32 v1, -v3, v4, 1.0
	s_delay_alu instid0(VALU_DEP_1) | instskip(SKIP_2) | instid1(VALU_DEP_2)
	v_fmac_f32_e32 v4, v1, v4
	v_div_scale_f32 v8, vcc_lo, 1.0, v9, 1.0
	v_mul_lo_u32 v1, v0, s4
	v_mul_f32_e32 v10, v8, v4
	s_delay_alu instid0(VALU_DEP_1) | instskip(NEXT) | instid1(VALU_DEP_3)
	v_fma_f32 v5, -v3, v10, v8
	v_ashrrev_i32_e32 v2, 31, v1
	s_delay_alu instid0(VALU_DEP_2) | instskip(NEXT) | instid1(VALU_DEP_2)
	v_fmac_f32_e32 v10, v5, v4
	v_lshlrev_b64 v[5:6], 2, v[1:2]
	s_delay_alu instid0(VALU_DEP_2) | instskip(SKIP_2) | instid1(VALU_DEP_2)
	v_fma_f32 v1, -v3, v10, v8
	v_cndmask_b32_e64 v8, 1, s5, s0
	s_mov_b32 s0, s4
	v_div_fmas_f32 v3, v1, v4, v10
	s_delay_alu instid0(VALU_DEP_4) | instskip(SKIP_1) | instid1(VALU_DEP_3)
	v_add_co_u32 v1, vcc_lo, s12, v5
	v_add_co_ci_u32_e32 v2, vcc_lo, s13, v6, vcc_lo
	v_div_fixup_f32 v10, v3, v9, 1.0
	s_waitcnt lgkmcnt(0)
	v_add_co_u32 v3, vcc_lo, s16, v5
	v_add_co_ci_u32_e32 v4, vcc_lo, s17, v6, vcc_lo
	s_delay_alu instid0(VALU_DEP_3) | instskip(SKIP_2) | instid1(VALU_DEP_3)
	v_mul_f32_e32 v9, v9, v10
	v_add_co_u32 v5, vcc_lo, s18, v5
	v_add_co_ci_u32_e32 v6, vcc_lo, s19, v6, vcc_lo
	v_cmp_class_f32_e64 vcc_lo, v9, 0x1f8
	v_dual_mov_b32 v10, v0 :: v_dual_cndmask_b32 v9, 0, v9
	.p2align	6
.LBB24_6:                               ; =>This Inner Loop Header: Depth=1
	global_store_b32 v[1:2], v9, off
	global_store_b32 v[3:4], v8, off
	;; [unrolled: 1-line block ×3, first 2 shown]
	v_add_co_u32 v1, vcc_lo, v1, 4
	v_add_co_ci_u32_e32 v2, vcc_lo, 0, v2, vcc_lo
	v_dual_add_f32 v11, v7, v9 :: v_dual_add_nc_u32 v10, s3, v10
	v_add_co_u32 v3, vcc_lo, v3, 4
	v_add_co_ci_u32_e32 v4, vcc_lo, 0, v4, vcc_lo
	v_add_co_u32 v5, vcc_lo, v5, 4
	s_delay_alu instid0(VALU_DEP_4) | instskip(SKIP_2) | instid1(SALU_CYCLE_1)
	v_cndmask_b32_e64 v7, v7, v11, s2
	v_add_co_ci_u32_e32 v6, vcc_lo, 0, v6, vcc_lo
	s_add_i32 s0, s0, -1
	s_cmp_lg_u32 s0, 0
	s_cbranch_scc1 .LBB24_6
; %bb.7:
	s_and_not1_b32 vcc_lo, exec_lo, s2
	s_cbranch_vccz .LBB24_9
	s_branch .LBB24_12
.LBB24_8:
	v_mov_b32_e32 v7, 0
	s_and_not1_b32 vcc_lo, exec_lo, s2
	s_cbranch_vccnz .LBB24_12
.LBB24_9:
	s_and_not1_b32 vcc_lo, exec_lo, s7
	s_cbranch_vccnz .LBB24_12
; %bb.10:
	v_mul_lo_u32 v0, v0, s4
	v_cmp_lt_f32_e32 vcc_lo, 0, v7
	v_cndmask_b32_e32 v2, 1.0, v7, vcc_lo
	s_delay_alu instid0(VALU_DEP_3) | instskip(NEXT) | instid1(VALU_DEP_1)
	v_ashrrev_i32_e32 v1, 31, v0
	v_lshlrev_b64 v[0:1], 2, v[0:1]
	s_delay_alu instid0(VALU_DEP_1) | instskip(NEXT) | instid1(VALU_DEP_2)
	v_add_co_u32 v0, vcc_lo, s12, v0
	v_add_co_ci_u32_e32 v1, vcc_lo, s13, v1, vcc_lo
	.p2align	6
.LBB24_11:                              ; =>This Inner Loop Header: Depth=1
	global_load_b32 v3, v[0:1], off
	s_add_i32 s4, s4, -1
	s_delay_alu instid0(SALU_CYCLE_1) | instskip(SKIP_3) | instid1(VALU_DEP_2)
	s_cmp_lg_u32 s4, 0
	s_waitcnt vmcnt(0)
	v_div_scale_f32 v4, null, v2, v2, v3
	v_div_scale_f32 v7, vcc_lo, v3, v2, v3
	v_rcp_f32_e32 v5, v4
	s_waitcnt_depctr 0xfff
	v_fma_f32 v6, -v4, v5, 1.0
	s_delay_alu instid0(VALU_DEP_1) | instskip(NEXT) | instid1(VALU_DEP_1)
	v_fmac_f32_e32 v5, v6, v5
	v_mul_f32_e32 v6, v7, v5
	s_delay_alu instid0(VALU_DEP_1) | instskip(NEXT) | instid1(VALU_DEP_1)
	v_fma_f32 v8, -v4, v6, v7
	v_fmac_f32_e32 v6, v8, v5
	s_delay_alu instid0(VALU_DEP_1) | instskip(NEXT) | instid1(VALU_DEP_1)
	v_fma_f32 v4, -v4, v6, v7
	v_div_fmas_f32 v4, v4, v5, v6
	s_delay_alu instid0(VALU_DEP_1)
	v_div_fixup_f32 v3, v4, v2, v3
	global_store_b32 v[0:1], v3, off
	v_add_co_u32 v0, vcc_lo, v0, 4
	v_add_co_ci_u32_e32 v1, vcc_lo, 0, v1, vcc_lo
	s_cbranch_scc1 .LBB24_11
.LBB24_12:
	s_nop 0
	s_sendmsg sendmsg(MSG_DEALLOC_VGPRS)
	s_endpgm
	.section	.rodata,"a",@progbits
	.p2align	6, 0x0
	.amdhsa_kernel _ZN4vllm3moe10topkGatingILi1ELi1ELi4ELi4ELi64EjfLNS0_11ScoringFuncE0EEEvPKT5_PKbPfiPT4_PiiiibPKf
		.amdhsa_group_segment_fixed_size 0
		.amdhsa_private_segment_fixed_size 0
		.amdhsa_kernarg_size 72
		.amdhsa_user_sgpr_count 15
		.amdhsa_user_sgpr_dispatch_ptr 0
		.amdhsa_user_sgpr_queue_ptr 0
		.amdhsa_user_sgpr_kernarg_segment_ptr 1
		.amdhsa_user_sgpr_dispatch_id 0
		.amdhsa_user_sgpr_private_segment_size 0
		.amdhsa_wavefront_size32 1
		.amdhsa_uses_dynamic_stack 0
		.amdhsa_enable_private_segment 0
		.amdhsa_system_sgpr_workgroup_id_x 1
		.amdhsa_system_sgpr_workgroup_id_y 0
		.amdhsa_system_sgpr_workgroup_id_z 0
		.amdhsa_system_sgpr_workgroup_info 0
		.amdhsa_system_vgpr_workitem_id 1
		.amdhsa_next_free_vgpr 12
		.amdhsa_next_free_sgpr 20
		.amdhsa_reserve_vcc 1
		.amdhsa_float_round_mode_32 0
		.amdhsa_float_round_mode_16_64 0
		.amdhsa_float_denorm_mode_32 3
		.amdhsa_float_denorm_mode_16_64 3
		.amdhsa_dx10_clamp 1
		.amdhsa_ieee_mode 1
		.amdhsa_fp16_overflow 0
		.amdhsa_workgroup_processor_mode 1
		.amdhsa_memory_ordered 1
		.amdhsa_forward_progress 0
		.amdhsa_shared_vgpr_count 0
		.amdhsa_exception_fp_ieee_invalid_op 0
		.amdhsa_exception_fp_denorm_src 0
		.amdhsa_exception_fp_ieee_div_zero 0
		.amdhsa_exception_fp_ieee_overflow 0
		.amdhsa_exception_fp_ieee_underflow 0
		.amdhsa_exception_fp_ieee_inexact 0
		.amdhsa_exception_int_div_zero 0
	.end_amdhsa_kernel
	.section	.text._ZN4vllm3moe10topkGatingILi1ELi1ELi4ELi4ELi64EjfLNS0_11ScoringFuncE0EEEvPKT5_PKbPfiPT4_PiiiibPKf,"axG",@progbits,_ZN4vllm3moe10topkGatingILi1ELi1ELi4ELi4ELi64EjfLNS0_11ScoringFuncE0EEEvPKT5_PKbPfiPT4_PiiiibPKf,comdat
.Lfunc_end24:
	.size	_ZN4vllm3moe10topkGatingILi1ELi1ELi4ELi4ELi64EjfLNS0_11ScoringFuncE0EEEvPKT5_PKbPfiPT4_PiiiibPKf, .Lfunc_end24-_ZN4vllm3moe10topkGatingILi1ELi1ELi4ELi4ELi64EjfLNS0_11ScoringFuncE0EEEvPKT5_PKbPfiPT4_PiiiibPKf
                                        ; -- End function
	.section	.AMDGPU.csdata,"",@progbits
; Kernel info:
; codeLenInByte = 896
; NumSgprs: 22
; NumVgprs: 12
; ScratchSize: 0
; MemoryBound: 0
; FloatMode: 240
; IeeeMode: 1
; LDSByteSize: 0 bytes/workgroup (compile time only)
; SGPRBlocks: 2
; VGPRBlocks: 1
; NumSGPRsForWavesPerEU: 22
; NumVGPRsForWavesPerEU: 12
; Occupancy: 16
; WaveLimiterHint : 0
; COMPUTE_PGM_RSRC2:SCRATCH_EN: 0
; COMPUTE_PGM_RSRC2:USER_SGPR: 15
; COMPUTE_PGM_RSRC2:TRAP_HANDLER: 0
; COMPUTE_PGM_RSRC2:TGID_X_EN: 1
; COMPUTE_PGM_RSRC2:TGID_Y_EN: 0
; COMPUTE_PGM_RSRC2:TGID_Z_EN: 0
; COMPUTE_PGM_RSRC2:TIDIG_COMP_CNT: 1
	.section	.text._ZN4vllm3moe10topkGatingILi1ELi1ELi4ELi4ELi32EjfLNS0_11ScoringFuncE0EEEvPKT5_PKbPfiPT4_PiiiibPKf,"axG",@progbits,_ZN4vllm3moe10topkGatingILi1ELi1ELi4ELi4ELi32EjfLNS0_11ScoringFuncE0EEEvPKT5_PKbPfiPT4_PiiiibPKf,comdat
	.protected	_ZN4vllm3moe10topkGatingILi1ELi1ELi4ELi4ELi32EjfLNS0_11ScoringFuncE0EEEvPKT5_PKbPfiPT4_PiiiibPKf ; -- Begin function _ZN4vllm3moe10topkGatingILi1ELi1ELi4ELi4ELi32EjfLNS0_11ScoringFuncE0EEEvPKT5_PKbPfiPT4_PiiiibPKf
	.globl	_ZN4vllm3moe10topkGatingILi1ELi1ELi4ELi4ELi32EjfLNS0_11ScoringFuncE0EEEvPKT5_PKbPfiPT4_PiiiibPKf
	.p2align	8
	.type	_ZN4vllm3moe10topkGatingILi1ELi1ELi4ELi4ELi32EjfLNS0_11ScoringFuncE0EEEvPKT5_PKbPfiPT4_PiiiibPKf,@function
_ZN4vllm3moe10topkGatingILi1ELi1ELi4ELi4ELi32EjfLNS0_11ScoringFuncE0EEEvPKT5_PKbPfiPT4_PiiiibPKf: ; @_ZN4vllm3moe10topkGatingILi1ELi1ELi4ELi4ELi32EjfLNS0_11ScoringFuncE0EEEvPKT5_PKbPfiPT4_PiiiibPKf
; %bb.0:
	s_load_b32 s3, s[0:1], 0x18
	v_bfe_u32 v1, v0, 10, 10
	v_and_b32_e32 v0, 0x3ff, v0
	s_lshl_b32 s2, s15, 7
	s_delay_alu instid0(VALU_DEP_2) | instskip(NEXT) | instid1(VALU_DEP_1)
	v_lshlrev_b32_e32 v1, 5, v1
	v_add3_u32 v0, v1, v0, s2
	s_mov_b32 s2, exec_lo
	s_waitcnt lgkmcnt(0)
	s_delay_alu instid0(VALU_DEP_1)
	v_cmpx_gt_i32_e64 s3, v0
	s_cbranch_execz .LBB25_12
; %bb.1:
	s_clause 0x1
	s_load_b128 s[8:11], s[0:1], 0x0
	s_load_b64 s[12:13], s[0:1], 0x10
	v_ashrrev_i32_e32 v1, 31, v0
	s_waitcnt lgkmcnt(0)
	s_cmp_eq_u64 s[10:11], 0
	s_cbranch_scc1 .LBB25_3
; %bb.2:
	v_add_co_u32 v2, vcc_lo, s10, v0
	v_add_co_ci_u32_e32 v3, vcc_lo, s11, v1, vcc_lo
	global_load_u8 v2, v[2:3], off
	s_waitcnt vmcnt(0)
	v_and_b32_e32 v2, 1, v2
	s_delay_alu instid0(VALU_DEP_1) | instskip(SKIP_1) | instid1(SALU_CYCLE_1)
	v_cmp_eq_u32_e32 vcc_lo, 1, v2
	s_xor_b32 s2, vcc_lo, -1
	s_or_not1_b32 s10, s2, exec_lo
	s_branch .LBB25_4
.LBB25_3:
	s_mov_b32 s10, -1
.LBB25_4:
	s_load_b128 s[4:7], s[0:1], 0x30
	s_waitcnt lgkmcnt(0)
	s_bitcmp1_b32 s7, 0
	s_cselect_b32 s2, -1, 0
	s_cmp_gt_i32 s4, 0
	s_cselect_b32 s7, -1, 0
	s_cmp_lt_i32 s4, 1
	s_cbranch_scc1 .LBB25_8
; %bb.5:
	v_lshlrev_b64 v[1:2], 2, v[0:1]
	s_load_b128 s[16:19], s[0:1], 0x20
	s_cmp_lt_i32 s5, 1
	v_mov_b32_e32 v7, 0
	s_cselect_b32 s0, -1, 0
	s_cmp_gt_i32 s6, 0
	v_add_co_u32 v1, vcc_lo, s8, v1
	v_add_co_ci_u32_e32 v2, vcc_lo, s9, v2, vcc_lo
	s_cselect_b32 s1, -1, 0
	s_sub_i32 s5, 0, s5
	s_and_b32 s0, s0, s1
	global_load_b32 v1, v[1:2], off
	s_and_b32 s0, s10, s0
	s_waitcnt vmcnt(0)
	v_sub_f32_e32 v1, v1, v1
	s_delay_alu instid0(VALU_DEP_1) | instskip(NEXT) | instid1(VALU_DEP_1)
	v_mul_f32_e32 v2, 0x3fb8aa3b, v1
	v_fma_f32 v3, 0x3fb8aa3b, v1, -v2
	v_rndne_f32_e32 v4, v2
	s_delay_alu instid0(VALU_DEP_1) | instskip(SKIP_1) | instid1(VALU_DEP_4)
	v_sub_f32_e32 v2, v2, v4
	v_cmp_ngt_f32_e32 vcc_lo, 0xc2ce8ed0, v1
	v_fmamk_f32 v3, v1, 0x32a5705f, v3
	s_delay_alu instid0(VALU_DEP_1) | instskip(SKIP_1) | instid1(VALU_DEP_2)
	v_add_f32_e32 v2, v2, v3
	v_cvt_i32_f32_e32 v3, v4
	v_exp_f32_e32 v2, v2
	s_waitcnt_depctr 0xfff
	v_ldexp_f32 v2, v2, v3
	s_delay_alu instid0(VALU_DEP_1) | instskip(SKIP_1) | instid1(VALU_DEP_2)
	v_cndmask_b32_e32 v2, 0, v2, vcc_lo
	v_cmp_nlt_f32_e32 vcc_lo, 0x42b17218, v1
	v_cndmask_b32_e32 v9, 0x7f800000, v2, vcc_lo
	s_delay_alu instid0(VALU_DEP_1) | instskip(NEXT) | instid1(VALU_DEP_1)
	v_div_scale_f32 v3, null, v9, v9, 1.0
	v_rcp_f32_e32 v4, v3
	s_waitcnt_depctr 0xfff
	v_fma_f32 v1, -v3, v4, 1.0
	s_delay_alu instid0(VALU_DEP_1) | instskip(SKIP_2) | instid1(VALU_DEP_2)
	v_fmac_f32_e32 v4, v1, v4
	v_div_scale_f32 v8, vcc_lo, 1.0, v9, 1.0
	v_mul_lo_u32 v1, v0, s4
	v_mul_f32_e32 v10, v8, v4
	s_delay_alu instid0(VALU_DEP_1) | instskip(NEXT) | instid1(VALU_DEP_3)
	v_fma_f32 v5, -v3, v10, v8
	v_ashrrev_i32_e32 v2, 31, v1
	s_delay_alu instid0(VALU_DEP_2) | instskip(NEXT) | instid1(VALU_DEP_2)
	v_fmac_f32_e32 v10, v5, v4
	v_lshlrev_b64 v[5:6], 2, v[1:2]
	s_delay_alu instid0(VALU_DEP_2) | instskip(SKIP_2) | instid1(VALU_DEP_2)
	v_fma_f32 v1, -v3, v10, v8
	v_cndmask_b32_e64 v8, 1, s5, s0
	s_mov_b32 s0, s4
	v_div_fmas_f32 v3, v1, v4, v10
	s_delay_alu instid0(VALU_DEP_4) | instskip(SKIP_1) | instid1(VALU_DEP_3)
	v_add_co_u32 v1, vcc_lo, s12, v5
	v_add_co_ci_u32_e32 v2, vcc_lo, s13, v6, vcc_lo
	v_div_fixup_f32 v10, v3, v9, 1.0
	s_waitcnt lgkmcnt(0)
	v_add_co_u32 v3, vcc_lo, s16, v5
	v_add_co_ci_u32_e32 v4, vcc_lo, s17, v6, vcc_lo
	s_delay_alu instid0(VALU_DEP_3) | instskip(SKIP_2) | instid1(VALU_DEP_3)
	v_mul_f32_e32 v9, v9, v10
	v_add_co_u32 v5, vcc_lo, s18, v5
	v_add_co_ci_u32_e32 v6, vcc_lo, s19, v6, vcc_lo
	v_cmp_class_f32_e64 vcc_lo, v9, 0x1f8
	v_dual_mov_b32 v10, v0 :: v_dual_cndmask_b32 v9, 0, v9
	.p2align	6
.LBB25_6:                               ; =>This Inner Loop Header: Depth=1
	global_store_b32 v[1:2], v9, off
	global_store_b32 v[3:4], v8, off
	;; [unrolled: 1-line block ×3, first 2 shown]
	v_add_co_u32 v1, vcc_lo, v1, 4
	v_add_co_ci_u32_e32 v2, vcc_lo, 0, v2, vcc_lo
	v_dual_add_f32 v11, v7, v9 :: v_dual_add_nc_u32 v10, s3, v10
	v_add_co_u32 v3, vcc_lo, v3, 4
	v_add_co_ci_u32_e32 v4, vcc_lo, 0, v4, vcc_lo
	v_add_co_u32 v5, vcc_lo, v5, 4
	s_delay_alu instid0(VALU_DEP_4) | instskip(SKIP_2) | instid1(SALU_CYCLE_1)
	v_cndmask_b32_e64 v7, v7, v11, s2
	v_add_co_ci_u32_e32 v6, vcc_lo, 0, v6, vcc_lo
	s_add_i32 s0, s0, -1
	s_cmp_lg_u32 s0, 0
	s_cbranch_scc1 .LBB25_6
; %bb.7:
	s_and_not1_b32 vcc_lo, exec_lo, s2
	s_cbranch_vccz .LBB25_9
	s_branch .LBB25_12
.LBB25_8:
	v_mov_b32_e32 v7, 0
	s_and_not1_b32 vcc_lo, exec_lo, s2
	s_cbranch_vccnz .LBB25_12
.LBB25_9:
	s_and_not1_b32 vcc_lo, exec_lo, s7
	s_cbranch_vccnz .LBB25_12
; %bb.10:
	v_mul_lo_u32 v0, v0, s4
	v_cmp_lt_f32_e32 vcc_lo, 0, v7
	v_cndmask_b32_e32 v2, 1.0, v7, vcc_lo
	s_delay_alu instid0(VALU_DEP_3) | instskip(NEXT) | instid1(VALU_DEP_1)
	v_ashrrev_i32_e32 v1, 31, v0
	v_lshlrev_b64 v[0:1], 2, v[0:1]
	s_delay_alu instid0(VALU_DEP_1) | instskip(NEXT) | instid1(VALU_DEP_2)
	v_add_co_u32 v0, vcc_lo, s12, v0
	v_add_co_ci_u32_e32 v1, vcc_lo, s13, v1, vcc_lo
	.p2align	6
.LBB25_11:                              ; =>This Inner Loop Header: Depth=1
	global_load_b32 v3, v[0:1], off
	s_add_i32 s4, s4, -1
	s_delay_alu instid0(SALU_CYCLE_1) | instskip(SKIP_3) | instid1(VALU_DEP_2)
	s_cmp_lg_u32 s4, 0
	s_waitcnt vmcnt(0)
	v_div_scale_f32 v4, null, v2, v2, v3
	v_div_scale_f32 v7, vcc_lo, v3, v2, v3
	v_rcp_f32_e32 v5, v4
	s_waitcnt_depctr 0xfff
	v_fma_f32 v6, -v4, v5, 1.0
	s_delay_alu instid0(VALU_DEP_1) | instskip(NEXT) | instid1(VALU_DEP_1)
	v_fmac_f32_e32 v5, v6, v5
	v_mul_f32_e32 v6, v7, v5
	s_delay_alu instid0(VALU_DEP_1) | instskip(NEXT) | instid1(VALU_DEP_1)
	v_fma_f32 v8, -v4, v6, v7
	v_fmac_f32_e32 v6, v8, v5
	s_delay_alu instid0(VALU_DEP_1) | instskip(NEXT) | instid1(VALU_DEP_1)
	v_fma_f32 v4, -v4, v6, v7
	v_div_fmas_f32 v4, v4, v5, v6
	s_delay_alu instid0(VALU_DEP_1)
	v_div_fixup_f32 v3, v4, v2, v3
	global_store_b32 v[0:1], v3, off
	v_add_co_u32 v0, vcc_lo, v0, 4
	v_add_co_ci_u32_e32 v1, vcc_lo, 0, v1, vcc_lo
	s_cbranch_scc1 .LBB25_11
.LBB25_12:
	s_nop 0
	s_sendmsg sendmsg(MSG_DEALLOC_VGPRS)
	s_endpgm
	.section	.rodata,"a",@progbits
	.p2align	6, 0x0
	.amdhsa_kernel _ZN4vllm3moe10topkGatingILi1ELi1ELi4ELi4ELi32EjfLNS0_11ScoringFuncE0EEEvPKT5_PKbPfiPT4_PiiiibPKf
		.amdhsa_group_segment_fixed_size 0
		.amdhsa_private_segment_fixed_size 0
		.amdhsa_kernarg_size 72
		.amdhsa_user_sgpr_count 15
		.amdhsa_user_sgpr_dispatch_ptr 0
		.amdhsa_user_sgpr_queue_ptr 0
		.amdhsa_user_sgpr_kernarg_segment_ptr 1
		.amdhsa_user_sgpr_dispatch_id 0
		.amdhsa_user_sgpr_private_segment_size 0
		.amdhsa_wavefront_size32 1
		.amdhsa_uses_dynamic_stack 0
		.amdhsa_enable_private_segment 0
		.amdhsa_system_sgpr_workgroup_id_x 1
		.amdhsa_system_sgpr_workgroup_id_y 0
		.amdhsa_system_sgpr_workgroup_id_z 0
		.amdhsa_system_sgpr_workgroup_info 0
		.amdhsa_system_vgpr_workitem_id 1
		.amdhsa_next_free_vgpr 12
		.amdhsa_next_free_sgpr 20
		.amdhsa_reserve_vcc 1
		.amdhsa_float_round_mode_32 0
		.amdhsa_float_round_mode_16_64 0
		.amdhsa_float_denorm_mode_32 3
		.amdhsa_float_denorm_mode_16_64 3
		.amdhsa_dx10_clamp 1
		.amdhsa_ieee_mode 1
		.amdhsa_fp16_overflow 0
		.amdhsa_workgroup_processor_mode 1
		.amdhsa_memory_ordered 1
		.amdhsa_forward_progress 0
		.amdhsa_shared_vgpr_count 0
		.amdhsa_exception_fp_ieee_invalid_op 0
		.amdhsa_exception_fp_denorm_src 0
		.amdhsa_exception_fp_ieee_div_zero 0
		.amdhsa_exception_fp_ieee_overflow 0
		.amdhsa_exception_fp_ieee_underflow 0
		.amdhsa_exception_fp_ieee_inexact 0
		.amdhsa_exception_int_div_zero 0
	.end_amdhsa_kernel
	.section	.text._ZN4vllm3moe10topkGatingILi1ELi1ELi4ELi4ELi32EjfLNS0_11ScoringFuncE0EEEvPKT5_PKbPfiPT4_PiiiibPKf,"axG",@progbits,_ZN4vllm3moe10topkGatingILi1ELi1ELi4ELi4ELi32EjfLNS0_11ScoringFuncE0EEEvPKT5_PKbPfiPT4_PiiiibPKf,comdat
.Lfunc_end25:
	.size	_ZN4vllm3moe10topkGatingILi1ELi1ELi4ELi4ELi32EjfLNS0_11ScoringFuncE0EEEvPKT5_PKbPfiPT4_PiiiibPKf, .Lfunc_end25-_ZN4vllm3moe10topkGatingILi1ELi1ELi4ELi4ELi32EjfLNS0_11ScoringFuncE0EEEvPKT5_PKbPfiPT4_PiiiibPKf
                                        ; -- End function
	.section	.AMDGPU.csdata,"",@progbits
; Kernel info:
; codeLenInByte = 896
; NumSgprs: 22
; NumVgprs: 12
; ScratchSize: 0
; MemoryBound: 0
; FloatMode: 240
; IeeeMode: 1
; LDSByteSize: 0 bytes/workgroup (compile time only)
; SGPRBlocks: 2
; VGPRBlocks: 1
; NumSGPRsForWavesPerEU: 22
; NumVGPRsForWavesPerEU: 12
; Occupancy: 16
; WaveLimiterHint : 0
; COMPUTE_PGM_RSRC2:SCRATCH_EN: 0
; COMPUTE_PGM_RSRC2:USER_SGPR: 15
; COMPUTE_PGM_RSRC2:TRAP_HANDLER: 0
; COMPUTE_PGM_RSRC2:TGID_X_EN: 1
; COMPUTE_PGM_RSRC2:TGID_Y_EN: 0
; COMPUTE_PGM_RSRC2:TGID_Z_EN: 0
; COMPUTE_PGM_RSRC2:TIDIG_COMP_CNT: 1
	.section	.text._ZN4vllm3moe10topkGatingILi2ELi2ELi4ELi8ELi64EjfLNS0_11ScoringFuncE0EEEvPKT5_PKbPfiPT4_PiiiibPKf,"axG",@progbits,_ZN4vllm3moe10topkGatingILi2ELi2ELi4ELi8ELi64EjfLNS0_11ScoringFuncE0EEEvPKT5_PKbPfiPT4_PiiiibPKf,comdat
	.protected	_ZN4vllm3moe10topkGatingILi2ELi2ELi4ELi8ELi64EjfLNS0_11ScoringFuncE0EEEvPKT5_PKbPfiPT4_PiiiibPKf ; -- Begin function _ZN4vllm3moe10topkGatingILi2ELi2ELi4ELi8ELi64EjfLNS0_11ScoringFuncE0EEEvPKT5_PKbPfiPT4_PiiiibPKf
	.globl	_ZN4vllm3moe10topkGatingILi2ELi2ELi4ELi8ELi64EjfLNS0_11ScoringFuncE0EEEvPKT5_PKbPfiPT4_PiiiibPKf
	.p2align	8
	.type	_ZN4vllm3moe10topkGatingILi2ELi2ELi4ELi8ELi64EjfLNS0_11ScoringFuncE0EEEvPKT5_PKbPfiPT4_PiiiibPKf,@function
_ZN4vllm3moe10topkGatingILi2ELi2ELi4ELi8ELi64EjfLNS0_11ScoringFuncE0EEEvPKT5_PKbPfiPT4_PiiiibPKf: ; @_ZN4vllm3moe10topkGatingILi2ELi2ELi4ELi8ELi64EjfLNS0_11ScoringFuncE0EEEvPKT5_PKbPfiPT4_PiiiibPKf
; %bb.0:
	s_load_b32 s10, s[0:1], 0x18
	v_bfe_u32 v1, v0, 10, 10
	v_and_b32_e32 v0, 0x3ff, v0
	s_lshl_b32 s2, s15, 8
	s_delay_alu instid0(VALU_DEP_2) | instskip(NEXT) | instid1(VALU_DEP_1)
	v_lshlrev_b32_e32 v1, 6, v1
	v_add3_u32 v10, v1, v0, s2
	s_mov_b32 s2, exec_lo
	s_waitcnt lgkmcnt(0)
	s_delay_alu instid0(VALU_DEP_1)
	v_cmpx_gt_i32_e64 s10, v10
	s_cbranch_execz .LBB26_14
; %bb.1:
	s_clause 0x1
	s_load_b128 s[4:7], s[0:1], 0x0
	s_load_b64 s[8:9], s[0:1], 0x10
	s_waitcnt lgkmcnt(0)
	s_cmp_eq_u64 s[6:7], 0
	s_cbranch_scc1 .LBB26_3
; %bb.2:
	v_ashrrev_i32_e32 v1, 31, v10
	v_add_co_u32 v0, vcc_lo, s6, v10
	s_delay_alu instid0(VALU_DEP_2) | instskip(SKIP_3) | instid1(VALU_DEP_1)
	v_add_co_ci_u32_e32 v1, vcc_lo, s7, v1, vcc_lo
	global_load_u8 v0, v[0:1], off
	s_waitcnt vmcnt(0)
	v_and_b32_e32 v0, 1, v0
	v_cmp_eq_u32_e32 vcc_lo, 1, v0
	s_xor_b32 s2, vcc_lo, -1
	s_delay_alu instid0(SALU_CYCLE_1)
	s_or_not1_b32 s11, s2, exec_lo
	s_branch .LBB26_4
.LBB26_3:
	s_mov_b32 s11, -1
.LBB26_4:
	v_lshlrev_b32_e32 v0, 1, v10
	s_load_b64 s[2:3], s[0:1], 0x40
	s_delay_alu instid0(VALU_DEP_1) | instskip(NEXT) | instid1(VALU_DEP_1)
	v_ashrrev_i32_e32 v1, 31, v0
	v_lshlrev_b64 v[0:1], 2, v[0:1]
	s_delay_alu instid0(VALU_DEP_1) | instskip(NEXT) | instid1(VALU_DEP_2)
	v_add_co_u32 v0, vcc_lo, s4, v0
	v_add_co_ci_u32_e32 v1, vcc_lo, s5, v1, vcc_lo
	s_waitcnt lgkmcnt(0)
	s_cmp_eq_u64 s[2:3], 0
	global_load_b64 v[0:1], v[0:1], off
	s_waitcnt vmcnt(0)
	v_dual_max_f32 v2, v1, v1 :: v_dual_max_f32 v3, v0, v0
	s_delay_alu instid0(VALU_DEP_1) | instskip(NEXT) | instid1(VALU_DEP_1)
	v_max_f32_e32 v2, v3, v2
	v_sub_f32_e32 v1, v1, v2
	s_delay_alu instid0(VALU_DEP_1) | instskip(NEXT) | instid1(VALU_DEP_1)
	v_mul_f32_e32 v3, 0x3fb8aa3b, v1
	v_rndne_f32_e32 v7, v3
	v_sub_f32_e32 v0, v0, v2
	v_fma_f32 v6, 0x3fb8aa3b, v1, -v3
	s_delay_alu instid0(VALU_DEP_2) | instskip(NEXT) | instid1(VALU_DEP_2)
	v_dual_sub_f32 v3, v3, v7 :: v_dual_mul_f32 v2, 0x3fb8aa3b, v0
	v_fmac_f32_e32 v6, 0x32a5705f, v1
	v_cmp_ngt_f32_e32 vcc_lo, 0xc2ce8ed0, v0
	s_delay_alu instid0(VALU_DEP_3) | instskip(SKIP_1) | instid1(VALU_DEP_2)
	v_fma_f32 v4, 0x3fb8aa3b, v0, -v2
	v_rndne_f32_e32 v5, v2
	v_dual_add_f32 v3, v3, v6 :: v_dual_fmac_f32 v4, 0x32a5705f, v0
	s_delay_alu instid0(VALU_DEP_2) | instskip(NEXT) | instid1(VALU_DEP_2)
	v_sub_f32_e32 v2, v2, v5
	v_exp_f32_e32 v3, v3
	s_delay_alu instid0(VALU_DEP_1) | instskip(SKIP_2) | instid1(VALU_DEP_3)
	v_add_f32_e32 v2, v2, v4
	v_cvt_i32_f32_e32 v4, v5
	v_cvt_i32_f32_e32 v5, v7
	v_exp_f32_e32 v2, v2
	s_waitcnt_depctr 0xfff
	v_ldexp_f32 v3, v3, v5
	v_ldexp_f32 v2, v2, v4
	s_delay_alu instid0(VALU_DEP_1) | instskip(SKIP_1) | instid1(VALU_DEP_4)
	v_cndmask_b32_e32 v2, 0, v2, vcc_lo
	v_cmp_ngt_f32_e32 vcc_lo, 0xc2ce8ed0, v1
	v_cndmask_b32_e32 v3, 0, v3, vcc_lo
	v_cmp_nlt_f32_e32 vcc_lo, 0x42b17218, v0
	s_delay_alu instid0(VALU_DEP_4) | instskip(SKIP_1) | instid1(VALU_DEP_4)
	v_cndmask_b32_e32 v0, 0x7f800000, v2, vcc_lo
	v_cmp_nlt_f32_e32 vcc_lo, 0x42b17218, v1
	v_cndmask_b32_e32 v1, 0x7f800000, v3, vcc_lo
	s_delay_alu instid0(VALU_DEP_1) | instskip(NEXT) | instid1(VALU_DEP_1)
	v_add_f32_e32 v2, v0, v1
	v_div_scale_f32 v3, null, v2, v2, 1.0
	v_div_scale_f32 v6, vcc_lo, 1.0, v2, 1.0
	s_delay_alu instid0(VALU_DEP_2) | instskip(SKIP_2) | instid1(VALU_DEP_1)
	v_rcp_f32_e32 v4, v3
	s_waitcnt_depctr 0xfff
	v_fma_f32 v5, -v3, v4, 1.0
	v_fmac_f32_e32 v4, v5, v4
	s_delay_alu instid0(VALU_DEP_1) | instskip(NEXT) | instid1(VALU_DEP_1)
	v_mul_f32_e32 v5, v6, v4
	v_fma_f32 v7, -v3, v5, v6
	s_delay_alu instid0(VALU_DEP_1) | instskip(NEXT) | instid1(VALU_DEP_1)
	v_fmac_f32_e32 v5, v7, v4
	v_fma_f32 v3, -v3, v5, v6
	s_delay_alu instid0(VALU_DEP_1) | instskip(NEXT) | instid1(VALU_DEP_1)
	v_div_fmas_f32 v3, v3, v4, v5
	v_div_fixup_f32 v2, v3, v2, 1.0
	s_delay_alu instid0(VALU_DEP_1) | instskip(SKIP_1) | instid1(VALU_DEP_1)
	v_mul_f32_e32 v1, v2, v1
	v_mul_f32_e32 v0, v2, v0
	v_cmp_class_f32_e64 vcc_lo, v0, 0x1f8
	v_cndmask_b32_e32 v0, 0, v0, vcc_lo
	s_delay_alu instid0(VALU_DEP_4) | instskip(SKIP_1) | instid1(VALU_DEP_1)
	v_cmp_class_f32_e64 vcc_lo, v1, 0x1f8
	v_cndmask_b32_e32 v1, 0, v1, vcc_lo
	v_dual_mov_b32 v3, v1 :: v_dual_mov_b32 v2, v0
	s_cbranch_scc1 .LBB26_6
; %bb.5:
	s_load_b64 s[2:3], s[2:3], 0x0
	s_waitcnt lgkmcnt(0)
	v_dual_add_f32 v2, s2, v0 :: v_dual_add_f32 v3, s3, v1
.LBB26_6:
	s_load_b128 s[4:7], s[0:1], 0x30
	s_waitcnt lgkmcnt(0)
	s_bitcmp1_b32 s7, 0
	s_cselect_b32 vcc_lo, -1, 0
	s_cmp_gt_i32 s4, 0
	s_cselect_b32 s3, -1, 0
	s_cmp_lt_i32 s4, 1
	s_cbranch_scc1 .LBB26_10
; %bb.7:
	v_mul_lo_u32 v4, v10, s4
	s_load_b128 s[12:15], s[0:1], 0x20
	v_dual_mov_b32 v11, 0 :: v_dual_mov_b32 v12, v10
	s_mov_b32 s7, 0
	s_delay_alu instid0(VALU_DEP_2) | instskip(NEXT) | instid1(VALU_DEP_1)
	v_ashrrev_i32_e32 v5, 31, v4
	v_lshlrev_b64 v[8:9], 2, v[4:5]
	s_delay_alu instid0(VALU_DEP_1) | instskip(NEXT) | instid1(VALU_DEP_1)
	v_add_co_u32 v4, s0, s8, v8
	v_add_co_ci_u32_e64 v5, s0, s9, v9, s0
	s_waitcnt lgkmcnt(0)
	v_add_co_u32 v6, s0, s12, v8
	s_delay_alu instid0(VALU_DEP_1) | instskip(SKIP_1) | instid1(VALU_DEP_1)
	v_add_co_ci_u32_e64 v7, s0, s13, v9, s0
	v_add_co_u32 v8, s0, s14, v8
	v_add_co_ci_u32_e64 v9, s0, s15, v9, s0
.LBB26_8:                               ; =>This Inner Loop Header: Depth=1
	v_cmp_gt_f32_e64 s0, v3, v2
	s_add_i32 s7, s7, 1
	s_delay_alu instid0(VALU_DEP_1) | instskip(SKIP_3) | instid1(VALU_DEP_4)
	v_cndmask_b32_e64 v14, 0, 1, s0
	v_cndmask_b32_e64 v13, v0, v1, s0
	v_cndmask_b32_e64 v15, 0xc61c4000, v2, s0
	v_cndmask_b32_e64 v16, v3, 0xc61c4000, s0
	v_cmp_le_i32_e64 s1, s5, v14
	v_cmp_gt_i32_e64 s2, s6, v14
	v_subrev_nc_u32_e32 v14, s5, v14
	global_store_b32 v[4:5], v13, off
	v_add_f32_e32 v13, v11, v13
	s_and_b32 s1, s1, s2
	s_delay_alu instid0(SALU_CYCLE_1)
	s_and_b32 s0, s11, s1
	s_cmp_lt_i32 s7, s4
	v_cndmask_b32_e64 v14, 2, v14, s0
	s_cselect_b32 s0, -1, 0
	s_cmp_eq_u32 s4, s7
	v_cndmask_b32_e64 v3, v3, v16, s0
	v_cndmask_b32_e64 v2, v2, v15, s0
	v_add_co_u32 v4, s0, v4, 4
	s_delay_alu instid0(VALU_DEP_1) | instskip(SKIP_4) | instid1(VALU_DEP_1)
	v_add_co_ci_u32_e64 v5, s0, 0, v5, s0
	global_store_b32 v[6:7], v14, off
	global_store_b32 v[8:9], v12, off
	v_add_nc_u32_e32 v12, s10, v12
	v_add_co_u32 v6, s0, v6, 4
	v_add_co_ci_u32_e64 v7, s0, 0, v7, s0
	v_add_co_u32 v8, s0, v8, 4
	v_cndmask_b32_e32 v11, v11, v13, vcc_lo
	v_add_co_ci_u32_e64 v9, s0, 0, v9, s0
	s_cbranch_scc0 .LBB26_8
; %bb.9:
	s_and_b32 vcc_lo, exec_lo, vcc_lo
	s_cbranch_vccnz .LBB26_11
	s_branch .LBB26_14
.LBB26_10:
	v_mov_b32_e32 v11, 0
	s_and_b32 vcc_lo, exec_lo, vcc_lo
	s_cbranch_vccz .LBB26_14
.LBB26_11:
	s_and_not1_b32 vcc_lo, exec_lo, s3
	s_cbranch_vccnz .LBB26_14
; %bb.12:
	v_mul_lo_u32 v0, v10, s4
	v_cmp_lt_f32_e32 vcc_lo, 0, v11
	v_cndmask_b32_e32 v2, 1.0, v11, vcc_lo
	s_delay_alu instid0(VALU_DEP_3) | instskip(NEXT) | instid1(VALU_DEP_1)
	v_ashrrev_i32_e32 v1, 31, v0
	v_lshlrev_b64 v[0:1], 2, v[0:1]
	s_delay_alu instid0(VALU_DEP_1) | instskip(NEXT) | instid1(VALU_DEP_2)
	v_add_co_u32 v0, vcc_lo, s8, v0
	v_add_co_ci_u32_e32 v1, vcc_lo, s9, v1, vcc_lo
	.p2align	6
.LBB26_13:                              ; =>This Inner Loop Header: Depth=1
	global_load_b32 v3, v[0:1], off
	s_add_i32 s4, s4, -1
	s_delay_alu instid0(SALU_CYCLE_1) | instskip(SKIP_3) | instid1(VALU_DEP_2)
	s_cmp_lg_u32 s4, 0
	s_waitcnt vmcnt(0)
	v_div_scale_f32 v4, null, v2, v2, v3
	v_div_scale_f32 v7, vcc_lo, v3, v2, v3
	v_rcp_f32_e32 v5, v4
	s_waitcnt_depctr 0xfff
	v_fma_f32 v6, -v4, v5, 1.0
	s_delay_alu instid0(VALU_DEP_1) | instskip(NEXT) | instid1(VALU_DEP_1)
	v_fmac_f32_e32 v5, v6, v5
	v_mul_f32_e32 v6, v7, v5
	s_delay_alu instid0(VALU_DEP_1) | instskip(NEXT) | instid1(VALU_DEP_1)
	v_fma_f32 v8, -v4, v6, v7
	v_fmac_f32_e32 v6, v8, v5
	s_delay_alu instid0(VALU_DEP_1) | instskip(NEXT) | instid1(VALU_DEP_1)
	v_fma_f32 v4, -v4, v6, v7
	v_div_fmas_f32 v4, v4, v5, v6
	s_delay_alu instid0(VALU_DEP_1)
	v_div_fixup_f32 v3, v4, v2, v3
	global_store_b32 v[0:1], v3, off
	v_add_co_u32 v0, vcc_lo, v0, 4
	v_add_co_ci_u32_e32 v1, vcc_lo, 0, v1, vcc_lo
	s_cbranch_scc1 .LBB26_13
.LBB26_14:
	s_nop 0
	s_sendmsg sendmsg(MSG_DEALLOC_VGPRS)
	s_endpgm
	.section	.rodata,"a",@progbits
	.p2align	6, 0x0
	.amdhsa_kernel _ZN4vllm3moe10topkGatingILi2ELi2ELi4ELi8ELi64EjfLNS0_11ScoringFuncE0EEEvPKT5_PKbPfiPT4_PiiiibPKf
		.amdhsa_group_segment_fixed_size 0
		.amdhsa_private_segment_fixed_size 0
		.amdhsa_kernarg_size 72
		.amdhsa_user_sgpr_count 15
		.amdhsa_user_sgpr_dispatch_ptr 0
		.amdhsa_user_sgpr_queue_ptr 0
		.amdhsa_user_sgpr_kernarg_segment_ptr 1
		.amdhsa_user_sgpr_dispatch_id 0
		.amdhsa_user_sgpr_private_segment_size 0
		.amdhsa_wavefront_size32 1
		.amdhsa_uses_dynamic_stack 0
		.amdhsa_enable_private_segment 0
		.amdhsa_system_sgpr_workgroup_id_x 1
		.amdhsa_system_sgpr_workgroup_id_y 0
		.amdhsa_system_sgpr_workgroup_id_z 0
		.amdhsa_system_sgpr_workgroup_info 0
		.amdhsa_system_vgpr_workitem_id 1
		.amdhsa_next_free_vgpr 17
		.amdhsa_next_free_sgpr 16
		.amdhsa_reserve_vcc 1
		.amdhsa_float_round_mode_32 0
		.amdhsa_float_round_mode_16_64 0
		.amdhsa_float_denorm_mode_32 3
		.amdhsa_float_denorm_mode_16_64 3
		.amdhsa_dx10_clamp 1
		.amdhsa_ieee_mode 1
		.amdhsa_fp16_overflow 0
		.amdhsa_workgroup_processor_mode 1
		.amdhsa_memory_ordered 1
		.amdhsa_forward_progress 0
		.amdhsa_shared_vgpr_count 0
		.amdhsa_exception_fp_ieee_invalid_op 0
		.amdhsa_exception_fp_denorm_src 0
		.amdhsa_exception_fp_ieee_div_zero 0
		.amdhsa_exception_fp_ieee_overflow 0
		.amdhsa_exception_fp_ieee_underflow 0
		.amdhsa_exception_fp_ieee_inexact 0
		.amdhsa_exception_int_div_zero 0
	.end_amdhsa_kernel
	.section	.text._ZN4vllm3moe10topkGatingILi2ELi2ELi4ELi8ELi64EjfLNS0_11ScoringFuncE0EEEvPKT5_PKbPfiPT4_PiiiibPKf,"axG",@progbits,_ZN4vllm3moe10topkGatingILi2ELi2ELi4ELi8ELi64EjfLNS0_11ScoringFuncE0EEEvPKT5_PKbPfiPT4_PiiiibPKf,comdat
.Lfunc_end26:
	.size	_ZN4vllm3moe10topkGatingILi2ELi2ELi4ELi8ELi64EjfLNS0_11ScoringFuncE0EEEvPKT5_PKbPfiPT4_PiiiibPKf, .Lfunc_end26-_ZN4vllm3moe10topkGatingILi2ELi2ELi4ELi8ELi64EjfLNS0_11ScoringFuncE0EEEvPKT5_PKbPfiPT4_PiiiibPKf
                                        ; -- End function
	.section	.AMDGPU.csdata,"",@progbits
; Kernel info:
; codeLenInByte = 1216
; NumSgprs: 18
; NumVgprs: 17
; ScratchSize: 0
; MemoryBound: 0
; FloatMode: 240
; IeeeMode: 1
; LDSByteSize: 0 bytes/workgroup (compile time only)
; SGPRBlocks: 2
; VGPRBlocks: 2
; NumSGPRsForWavesPerEU: 18
; NumVGPRsForWavesPerEU: 17
; Occupancy: 16
; WaveLimiterHint : 0
; COMPUTE_PGM_RSRC2:SCRATCH_EN: 0
; COMPUTE_PGM_RSRC2:USER_SGPR: 15
; COMPUTE_PGM_RSRC2:TRAP_HANDLER: 0
; COMPUTE_PGM_RSRC2:TGID_X_EN: 1
; COMPUTE_PGM_RSRC2:TGID_Y_EN: 0
; COMPUTE_PGM_RSRC2:TGID_Z_EN: 0
; COMPUTE_PGM_RSRC2:TIDIG_COMP_CNT: 1
	.section	.text._ZN4vllm3moe10topkGatingILi2ELi2ELi4ELi8ELi32EjfLNS0_11ScoringFuncE0EEEvPKT5_PKbPfiPT4_PiiiibPKf,"axG",@progbits,_ZN4vllm3moe10topkGatingILi2ELi2ELi4ELi8ELi32EjfLNS0_11ScoringFuncE0EEEvPKT5_PKbPfiPT4_PiiiibPKf,comdat
	.protected	_ZN4vllm3moe10topkGatingILi2ELi2ELi4ELi8ELi32EjfLNS0_11ScoringFuncE0EEEvPKT5_PKbPfiPT4_PiiiibPKf ; -- Begin function _ZN4vllm3moe10topkGatingILi2ELi2ELi4ELi8ELi32EjfLNS0_11ScoringFuncE0EEEvPKT5_PKbPfiPT4_PiiiibPKf
	.globl	_ZN4vllm3moe10topkGatingILi2ELi2ELi4ELi8ELi32EjfLNS0_11ScoringFuncE0EEEvPKT5_PKbPfiPT4_PiiiibPKf
	.p2align	8
	.type	_ZN4vllm3moe10topkGatingILi2ELi2ELi4ELi8ELi32EjfLNS0_11ScoringFuncE0EEEvPKT5_PKbPfiPT4_PiiiibPKf,@function
_ZN4vllm3moe10topkGatingILi2ELi2ELi4ELi8ELi32EjfLNS0_11ScoringFuncE0EEEvPKT5_PKbPfiPT4_PiiiibPKf: ; @_ZN4vllm3moe10topkGatingILi2ELi2ELi4ELi8ELi32EjfLNS0_11ScoringFuncE0EEEvPKT5_PKbPfiPT4_PiiiibPKf
; %bb.0:
	s_load_b32 s10, s[0:1], 0x18
	v_bfe_u32 v1, v0, 10, 10
	v_and_b32_e32 v0, 0x3ff, v0
	s_lshl_b32 s2, s15, 7
	s_delay_alu instid0(VALU_DEP_2) | instskip(NEXT) | instid1(VALU_DEP_1)
	v_lshlrev_b32_e32 v1, 5, v1
	v_add3_u32 v10, v1, v0, s2
	s_mov_b32 s2, exec_lo
	s_waitcnt lgkmcnt(0)
	s_delay_alu instid0(VALU_DEP_1)
	v_cmpx_gt_i32_e64 s10, v10
	s_cbranch_execz .LBB27_14
; %bb.1:
	s_clause 0x1
	s_load_b128 s[4:7], s[0:1], 0x0
	s_load_b64 s[8:9], s[0:1], 0x10
	s_waitcnt lgkmcnt(0)
	s_cmp_eq_u64 s[6:7], 0
	s_cbranch_scc1 .LBB27_3
; %bb.2:
	v_ashrrev_i32_e32 v1, 31, v10
	v_add_co_u32 v0, vcc_lo, s6, v10
	s_delay_alu instid0(VALU_DEP_2) | instskip(SKIP_3) | instid1(VALU_DEP_1)
	v_add_co_ci_u32_e32 v1, vcc_lo, s7, v1, vcc_lo
	global_load_u8 v0, v[0:1], off
	s_waitcnt vmcnt(0)
	v_and_b32_e32 v0, 1, v0
	v_cmp_eq_u32_e32 vcc_lo, 1, v0
	s_xor_b32 s2, vcc_lo, -1
	s_delay_alu instid0(SALU_CYCLE_1)
	s_or_not1_b32 s11, s2, exec_lo
	s_branch .LBB27_4
.LBB27_3:
	s_mov_b32 s11, -1
.LBB27_4:
	v_lshlrev_b32_e32 v0, 1, v10
	s_load_b64 s[2:3], s[0:1], 0x40
	s_delay_alu instid0(VALU_DEP_1) | instskip(NEXT) | instid1(VALU_DEP_1)
	v_ashrrev_i32_e32 v1, 31, v0
	v_lshlrev_b64 v[0:1], 2, v[0:1]
	s_delay_alu instid0(VALU_DEP_1) | instskip(NEXT) | instid1(VALU_DEP_2)
	v_add_co_u32 v0, vcc_lo, s4, v0
	v_add_co_ci_u32_e32 v1, vcc_lo, s5, v1, vcc_lo
	s_waitcnt lgkmcnt(0)
	s_cmp_eq_u64 s[2:3], 0
	global_load_b64 v[0:1], v[0:1], off
	s_waitcnt vmcnt(0)
	v_dual_max_f32 v2, v1, v1 :: v_dual_max_f32 v3, v0, v0
	s_delay_alu instid0(VALU_DEP_1) | instskip(NEXT) | instid1(VALU_DEP_1)
	v_max_f32_e32 v2, v3, v2
	v_sub_f32_e32 v1, v1, v2
	s_delay_alu instid0(VALU_DEP_1) | instskip(NEXT) | instid1(VALU_DEP_1)
	v_mul_f32_e32 v3, 0x3fb8aa3b, v1
	v_rndne_f32_e32 v7, v3
	v_sub_f32_e32 v0, v0, v2
	v_fma_f32 v6, 0x3fb8aa3b, v1, -v3
	s_delay_alu instid0(VALU_DEP_2) | instskip(NEXT) | instid1(VALU_DEP_2)
	v_dual_sub_f32 v3, v3, v7 :: v_dual_mul_f32 v2, 0x3fb8aa3b, v0
	v_fmac_f32_e32 v6, 0x32a5705f, v1
	v_cmp_ngt_f32_e32 vcc_lo, 0xc2ce8ed0, v0
	s_delay_alu instid0(VALU_DEP_3) | instskip(SKIP_1) | instid1(VALU_DEP_2)
	v_fma_f32 v4, 0x3fb8aa3b, v0, -v2
	v_rndne_f32_e32 v5, v2
	v_dual_add_f32 v3, v3, v6 :: v_dual_fmac_f32 v4, 0x32a5705f, v0
	s_delay_alu instid0(VALU_DEP_2) | instskip(NEXT) | instid1(VALU_DEP_2)
	v_sub_f32_e32 v2, v2, v5
	v_exp_f32_e32 v3, v3
	s_delay_alu instid0(VALU_DEP_1) | instskip(SKIP_2) | instid1(VALU_DEP_3)
	v_add_f32_e32 v2, v2, v4
	v_cvt_i32_f32_e32 v4, v5
	v_cvt_i32_f32_e32 v5, v7
	v_exp_f32_e32 v2, v2
	s_waitcnt_depctr 0xfff
	v_ldexp_f32 v3, v3, v5
	v_ldexp_f32 v2, v2, v4
	s_delay_alu instid0(VALU_DEP_1) | instskip(SKIP_1) | instid1(VALU_DEP_4)
	v_cndmask_b32_e32 v2, 0, v2, vcc_lo
	v_cmp_ngt_f32_e32 vcc_lo, 0xc2ce8ed0, v1
	v_cndmask_b32_e32 v3, 0, v3, vcc_lo
	v_cmp_nlt_f32_e32 vcc_lo, 0x42b17218, v0
	s_delay_alu instid0(VALU_DEP_4) | instskip(SKIP_1) | instid1(VALU_DEP_4)
	v_cndmask_b32_e32 v0, 0x7f800000, v2, vcc_lo
	v_cmp_nlt_f32_e32 vcc_lo, 0x42b17218, v1
	v_cndmask_b32_e32 v1, 0x7f800000, v3, vcc_lo
	s_delay_alu instid0(VALU_DEP_1) | instskip(NEXT) | instid1(VALU_DEP_1)
	v_add_f32_e32 v2, v0, v1
	v_div_scale_f32 v3, null, v2, v2, 1.0
	v_div_scale_f32 v6, vcc_lo, 1.0, v2, 1.0
	s_delay_alu instid0(VALU_DEP_2) | instskip(SKIP_2) | instid1(VALU_DEP_1)
	v_rcp_f32_e32 v4, v3
	s_waitcnt_depctr 0xfff
	v_fma_f32 v5, -v3, v4, 1.0
	v_fmac_f32_e32 v4, v5, v4
	s_delay_alu instid0(VALU_DEP_1) | instskip(NEXT) | instid1(VALU_DEP_1)
	v_mul_f32_e32 v5, v6, v4
	v_fma_f32 v7, -v3, v5, v6
	s_delay_alu instid0(VALU_DEP_1) | instskip(NEXT) | instid1(VALU_DEP_1)
	v_fmac_f32_e32 v5, v7, v4
	v_fma_f32 v3, -v3, v5, v6
	s_delay_alu instid0(VALU_DEP_1) | instskip(NEXT) | instid1(VALU_DEP_1)
	v_div_fmas_f32 v3, v3, v4, v5
	v_div_fixup_f32 v2, v3, v2, 1.0
	s_delay_alu instid0(VALU_DEP_1) | instskip(SKIP_1) | instid1(VALU_DEP_1)
	v_mul_f32_e32 v1, v2, v1
	v_mul_f32_e32 v0, v2, v0
	v_cmp_class_f32_e64 vcc_lo, v0, 0x1f8
	v_cndmask_b32_e32 v0, 0, v0, vcc_lo
	s_delay_alu instid0(VALU_DEP_4) | instskip(SKIP_1) | instid1(VALU_DEP_1)
	v_cmp_class_f32_e64 vcc_lo, v1, 0x1f8
	v_cndmask_b32_e32 v1, 0, v1, vcc_lo
	v_dual_mov_b32 v3, v1 :: v_dual_mov_b32 v2, v0
	s_cbranch_scc1 .LBB27_6
; %bb.5:
	s_load_b64 s[2:3], s[2:3], 0x0
	s_waitcnt lgkmcnt(0)
	v_dual_add_f32 v2, s2, v0 :: v_dual_add_f32 v3, s3, v1
.LBB27_6:
	s_load_b128 s[4:7], s[0:1], 0x30
	s_waitcnt lgkmcnt(0)
	s_bitcmp1_b32 s7, 0
	s_cselect_b32 vcc_lo, -1, 0
	s_cmp_gt_i32 s4, 0
	s_cselect_b32 s3, -1, 0
	s_cmp_lt_i32 s4, 1
	s_cbranch_scc1 .LBB27_10
; %bb.7:
	v_mul_lo_u32 v4, v10, s4
	s_load_b128 s[12:15], s[0:1], 0x20
	v_dual_mov_b32 v11, 0 :: v_dual_mov_b32 v12, v10
	s_mov_b32 s7, 0
	s_delay_alu instid0(VALU_DEP_2) | instskip(NEXT) | instid1(VALU_DEP_1)
	v_ashrrev_i32_e32 v5, 31, v4
	v_lshlrev_b64 v[8:9], 2, v[4:5]
	s_delay_alu instid0(VALU_DEP_1) | instskip(NEXT) | instid1(VALU_DEP_1)
	v_add_co_u32 v4, s0, s8, v8
	v_add_co_ci_u32_e64 v5, s0, s9, v9, s0
	s_waitcnt lgkmcnt(0)
	v_add_co_u32 v6, s0, s12, v8
	s_delay_alu instid0(VALU_DEP_1) | instskip(SKIP_1) | instid1(VALU_DEP_1)
	v_add_co_ci_u32_e64 v7, s0, s13, v9, s0
	v_add_co_u32 v8, s0, s14, v8
	v_add_co_ci_u32_e64 v9, s0, s15, v9, s0
.LBB27_8:                               ; =>This Inner Loop Header: Depth=1
	v_cmp_gt_f32_e64 s0, v3, v2
	s_add_i32 s7, s7, 1
	s_delay_alu instid0(VALU_DEP_1) | instskip(SKIP_3) | instid1(VALU_DEP_4)
	v_cndmask_b32_e64 v14, 0, 1, s0
	v_cndmask_b32_e64 v13, v0, v1, s0
	;; [unrolled: 1-line block ×4, first 2 shown]
	v_cmp_le_i32_e64 s1, s5, v14
	v_cmp_gt_i32_e64 s2, s6, v14
	v_subrev_nc_u32_e32 v14, s5, v14
	global_store_b32 v[4:5], v13, off
	v_add_f32_e32 v13, v11, v13
	s_and_b32 s1, s1, s2
	s_delay_alu instid0(SALU_CYCLE_1)
	s_and_b32 s0, s11, s1
	s_cmp_lt_i32 s7, s4
	v_cndmask_b32_e64 v14, 2, v14, s0
	s_cselect_b32 s0, -1, 0
	s_cmp_eq_u32 s4, s7
	v_cndmask_b32_e64 v3, v3, v16, s0
	v_cndmask_b32_e64 v2, v2, v15, s0
	v_add_co_u32 v4, s0, v4, 4
	s_delay_alu instid0(VALU_DEP_1) | instskip(SKIP_4) | instid1(VALU_DEP_1)
	v_add_co_ci_u32_e64 v5, s0, 0, v5, s0
	global_store_b32 v[6:7], v14, off
	global_store_b32 v[8:9], v12, off
	v_add_nc_u32_e32 v12, s10, v12
	v_add_co_u32 v6, s0, v6, 4
	v_add_co_ci_u32_e64 v7, s0, 0, v7, s0
	v_add_co_u32 v8, s0, v8, 4
	v_cndmask_b32_e32 v11, v11, v13, vcc_lo
	v_add_co_ci_u32_e64 v9, s0, 0, v9, s0
	s_cbranch_scc0 .LBB27_8
; %bb.9:
	s_and_b32 vcc_lo, exec_lo, vcc_lo
	s_cbranch_vccnz .LBB27_11
	s_branch .LBB27_14
.LBB27_10:
	v_mov_b32_e32 v11, 0
	s_and_b32 vcc_lo, exec_lo, vcc_lo
	s_cbranch_vccz .LBB27_14
.LBB27_11:
	s_and_not1_b32 vcc_lo, exec_lo, s3
	s_cbranch_vccnz .LBB27_14
; %bb.12:
	v_mul_lo_u32 v0, v10, s4
	v_cmp_lt_f32_e32 vcc_lo, 0, v11
	v_cndmask_b32_e32 v2, 1.0, v11, vcc_lo
	s_delay_alu instid0(VALU_DEP_3) | instskip(NEXT) | instid1(VALU_DEP_1)
	v_ashrrev_i32_e32 v1, 31, v0
	v_lshlrev_b64 v[0:1], 2, v[0:1]
	s_delay_alu instid0(VALU_DEP_1) | instskip(NEXT) | instid1(VALU_DEP_2)
	v_add_co_u32 v0, vcc_lo, s8, v0
	v_add_co_ci_u32_e32 v1, vcc_lo, s9, v1, vcc_lo
	.p2align	6
.LBB27_13:                              ; =>This Inner Loop Header: Depth=1
	global_load_b32 v3, v[0:1], off
	s_add_i32 s4, s4, -1
	s_delay_alu instid0(SALU_CYCLE_1) | instskip(SKIP_3) | instid1(VALU_DEP_2)
	s_cmp_lg_u32 s4, 0
	s_waitcnt vmcnt(0)
	v_div_scale_f32 v4, null, v2, v2, v3
	v_div_scale_f32 v7, vcc_lo, v3, v2, v3
	v_rcp_f32_e32 v5, v4
	s_waitcnt_depctr 0xfff
	v_fma_f32 v6, -v4, v5, 1.0
	s_delay_alu instid0(VALU_DEP_1) | instskip(NEXT) | instid1(VALU_DEP_1)
	v_fmac_f32_e32 v5, v6, v5
	v_mul_f32_e32 v6, v7, v5
	s_delay_alu instid0(VALU_DEP_1) | instskip(NEXT) | instid1(VALU_DEP_1)
	v_fma_f32 v8, -v4, v6, v7
	v_fmac_f32_e32 v6, v8, v5
	s_delay_alu instid0(VALU_DEP_1) | instskip(NEXT) | instid1(VALU_DEP_1)
	v_fma_f32 v4, -v4, v6, v7
	v_div_fmas_f32 v4, v4, v5, v6
	s_delay_alu instid0(VALU_DEP_1)
	v_div_fixup_f32 v3, v4, v2, v3
	global_store_b32 v[0:1], v3, off
	v_add_co_u32 v0, vcc_lo, v0, 4
	v_add_co_ci_u32_e32 v1, vcc_lo, 0, v1, vcc_lo
	s_cbranch_scc1 .LBB27_13
.LBB27_14:
	s_nop 0
	s_sendmsg sendmsg(MSG_DEALLOC_VGPRS)
	s_endpgm
	.section	.rodata,"a",@progbits
	.p2align	6, 0x0
	.amdhsa_kernel _ZN4vllm3moe10topkGatingILi2ELi2ELi4ELi8ELi32EjfLNS0_11ScoringFuncE0EEEvPKT5_PKbPfiPT4_PiiiibPKf
		.amdhsa_group_segment_fixed_size 0
		.amdhsa_private_segment_fixed_size 0
		.amdhsa_kernarg_size 72
		.amdhsa_user_sgpr_count 15
		.amdhsa_user_sgpr_dispatch_ptr 0
		.amdhsa_user_sgpr_queue_ptr 0
		.amdhsa_user_sgpr_kernarg_segment_ptr 1
		.amdhsa_user_sgpr_dispatch_id 0
		.amdhsa_user_sgpr_private_segment_size 0
		.amdhsa_wavefront_size32 1
		.amdhsa_uses_dynamic_stack 0
		.amdhsa_enable_private_segment 0
		.amdhsa_system_sgpr_workgroup_id_x 1
		.amdhsa_system_sgpr_workgroup_id_y 0
		.amdhsa_system_sgpr_workgroup_id_z 0
		.amdhsa_system_sgpr_workgroup_info 0
		.amdhsa_system_vgpr_workitem_id 1
		.amdhsa_next_free_vgpr 17
		.amdhsa_next_free_sgpr 16
		.amdhsa_reserve_vcc 1
		.amdhsa_float_round_mode_32 0
		.amdhsa_float_round_mode_16_64 0
		.amdhsa_float_denorm_mode_32 3
		.amdhsa_float_denorm_mode_16_64 3
		.amdhsa_dx10_clamp 1
		.amdhsa_ieee_mode 1
		.amdhsa_fp16_overflow 0
		.amdhsa_workgroup_processor_mode 1
		.amdhsa_memory_ordered 1
		.amdhsa_forward_progress 0
		.amdhsa_shared_vgpr_count 0
		.amdhsa_exception_fp_ieee_invalid_op 0
		.amdhsa_exception_fp_denorm_src 0
		.amdhsa_exception_fp_ieee_div_zero 0
		.amdhsa_exception_fp_ieee_overflow 0
		.amdhsa_exception_fp_ieee_underflow 0
		.amdhsa_exception_fp_ieee_inexact 0
		.amdhsa_exception_int_div_zero 0
	.end_amdhsa_kernel
	.section	.text._ZN4vllm3moe10topkGatingILi2ELi2ELi4ELi8ELi32EjfLNS0_11ScoringFuncE0EEEvPKT5_PKbPfiPT4_PiiiibPKf,"axG",@progbits,_ZN4vllm3moe10topkGatingILi2ELi2ELi4ELi8ELi32EjfLNS0_11ScoringFuncE0EEEvPKT5_PKbPfiPT4_PiiiibPKf,comdat
.Lfunc_end27:
	.size	_ZN4vllm3moe10topkGatingILi2ELi2ELi4ELi8ELi32EjfLNS0_11ScoringFuncE0EEEvPKT5_PKbPfiPT4_PiiiibPKf, .Lfunc_end27-_ZN4vllm3moe10topkGatingILi2ELi2ELi4ELi8ELi32EjfLNS0_11ScoringFuncE0EEEvPKT5_PKbPfiPT4_PiiiibPKf
                                        ; -- End function
	.section	.AMDGPU.csdata,"",@progbits
; Kernel info:
; codeLenInByte = 1216
; NumSgprs: 18
; NumVgprs: 17
; ScratchSize: 0
; MemoryBound: 0
; FloatMode: 240
; IeeeMode: 1
; LDSByteSize: 0 bytes/workgroup (compile time only)
; SGPRBlocks: 2
; VGPRBlocks: 2
; NumSGPRsForWavesPerEU: 18
; NumVGPRsForWavesPerEU: 17
; Occupancy: 16
; WaveLimiterHint : 0
; COMPUTE_PGM_RSRC2:SCRATCH_EN: 0
; COMPUTE_PGM_RSRC2:USER_SGPR: 15
; COMPUTE_PGM_RSRC2:TRAP_HANDLER: 0
; COMPUTE_PGM_RSRC2:TGID_X_EN: 1
; COMPUTE_PGM_RSRC2:TGID_Y_EN: 0
; COMPUTE_PGM_RSRC2:TGID_Z_EN: 0
; COMPUTE_PGM_RSRC2:TIDIG_COMP_CNT: 1
	.section	.text._ZN4vllm3moe10topkGatingILi4ELi4ELi4ELi16ELi64EjfLNS0_11ScoringFuncE0EEEvPKT5_PKbPfiPT4_PiiiibPKf,"axG",@progbits,_ZN4vllm3moe10topkGatingILi4ELi4ELi4ELi16ELi64EjfLNS0_11ScoringFuncE0EEEvPKT5_PKbPfiPT4_PiiiibPKf,comdat
	.protected	_ZN4vllm3moe10topkGatingILi4ELi4ELi4ELi16ELi64EjfLNS0_11ScoringFuncE0EEEvPKT5_PKbPfiPT4_PiiiibPKf ; -- Begin function _ZN4vllm3moe10topkGatingILi4ELi4ELi4ELi16ELi64EjfLNS0_11ScoringFuncE0EEEvPKT5_PKbPfiPT4_PiiiibPKf
	.globl	_ZN4vllm3moe10topkGatingILi4ELi4ELi4ELi16ELi64EjfLNS0_11ScoringFuncE0EEEvPKT5_PKbPfiPT4_PiiiibPKf
	.p2align	8
	.type	_ZN4vllm3moe10topkGatingILi4ELi4ELi4ELi16ELi64EjfLNS0_11ScoringFuncE0EEEvPKT5_PKbPfiPT4_PiiiibPKf,@function
_ZN4vllm3moe10topkGatingILi4ELi4ELi4ELi16ELi64EjfLNS0_11ScoringFuncE0EEEvPKT5_PKbPfiPT4_PiiiibPKf: ; @_ZN4vllm3moe10topkGatingILi4ELi4ELi4ELi16ELi64EjfLNS0_11ScoringFuncE0EEEvPKT5_PKbPfiPT4_PiiiibPKf
; %bb.0:
	s_load_b32 s10, s[0:1], 0x18
	v_bfe_u32 v1, v0, 10, 10
	v_and_b32_e32 v0, 0x3ff, v0
	s_lshl_b32 s2, s15, 8
	s_delay_alu instid0(VALU_DEP_2) | instskip(NEXT) | instid1(VALU_DEP_1)
	v_lshlrev_b32_e32 v1, 6, v1
	v_add3_u32 v14, v1, v0, s2
	s_mov_b32 s2, exec_lo
	s_waitcnt lgkmcnt(0)
	s_delay_alu instid0(VALU_DEP_1)
	v_cmpx_gt_i32_e64 s10, v14
	s_cbranch_execz .LBB28_15
; %bb.1:
	s_clause 0x1
	s_load_b128 s[4:7], s[0:1], 0x0
	s_load_b64 s[8:9], s[0:1], 0x10
	s_mov_b32 s12, -1
	s_mov_b32 s11, -1
	s_waitcnt lgkmcnt(0)
	s_cmp_eq_u64 s[6:7], 0
	s_cbranch_scc1 .LBB28_3
; %bb.2:
	v_ashrrev_i32_e32 v1, 31, v14
	v_add_co_u32 v0, vcc_lo, s6, v14
	s_delay_alu instid0(VALU_DEP_2) | instskip(SKIP_3) | instid1(VALU_DEP_1)
	v_add_co_ci_u32_e32 v1, vcc_lo, s7, v1, vcc_lo
	global_load_u8 v0, v[0:1], off
	s_waitcnt vmcnt(0)
	v_and_b32_e32 v0, 1, v0
	v_cmp_eq_u32_e32 vcc_lo, 1, v0
	s_xor_b32 s2, vcc_lo, -1
	s_delay_alu instid0(SALU_CYCLE_1)
	s_or_not1_b32 s11, s2, exec_lo
.LBB28_3:
	v_lshlrev_b32_e32 v0, 2, v14
	s_load_b64 s[2:3], s[0:1], 0x40
	s_delay_alu instid0(VALU_DEP_1) | instskip(NEXT) | instid1(VALU_DEP_1)
	v_ashrrev_i32_e32 v1, 31, v0
	v_lshlrev_b64 v[0:1], 2, v[0:1]
	s_delay_alu instid0(VALU_DEP_1) | instskip(NEXT) | instid1(VALU_DEP_2)
	v_add_co_u32 v0, vcc_lo, s4, v0
	v_add_co_ci_u32_e32 v1, vcc_lo, s5, v1, vcc_lo
	s_waitcnt lgkmcnt(0)
	s_cmp_eq_u64 s[2:3], 0
	global_load_b128 v[0:3], v[0:1], off
	s_waitcnt vmcnt(0)
	v_dual_max_f32 v4, v1, v1 :: v_dual_max_f32 v5, v0, v0
	s_delay_alu instid0(VALU_DEP_1) | instskip(NEXT) | instid1(VALU_DEP_1)
	v_max_f32_e32 v4, v5, v4
	v_max3_f32 v4, v4, v2, v3
	s_delay_alu instid0(VALU_DEP_1) | instskip(NEXT) | instid1(VALU_DEP_1)
	v_sub_f32_e32 v1, v1, v4
	v_mul_f32_e32 v5, 0x3fb8aa3b, v1
	s_delay_alu instid0(VALU_DEP_1) | instskip(SKIP_2) | instid1(VALU_DEP_3)
	v_rndne_f32_e32 v11, v5
	v_sub_f32_e32 v2, v2, v4
	v_fma_f32 v10, 0x3fb8aa3b, v1, -v5
	v_sub_f32_e32 v5, v5, v11
	s_delay_alu instid0(VALU_DEP_3) | instskip(SKIP_1) | instid1(VALU_DEP_4)
	v_dual_sub_f32 v3, v3, v4 :: v_dual_mul_f32 v6, 0x3fb8aa3b, v2
	v_sub_f32_e32 v0, v0, v4
	v_fmac_f32_e32 v10, 0x32a5705f, v1
	s_delay_alu instid0(VALU_DEP_3) | instskip(NEXT) | instid1(VALU_DEP_4)
	v_mul_f32_e32 v7, 0x3fb8aa3b, v3
	v_fma_f32 v12, 0x3fb8aa3b, v2, -v6
	s_delay_alu instid0(VALU_DEP_3) | instskip(SKIP_1) | instid1(VALU_DEP_4)
	v_dual_mul_f32 v4, 0x3fb8aa3b, v0 :: v_dual_add_f32 v5, v5, v10
	v_rndne_f32_e32 v13, v6
	v_fma_f32 v15, 0x3fb8aa3b, v3, -v7
	v_rndne_f32_e32 v16, v7
	s_delay_alu instid0(VALU_DEP_4)
	v_fma_f32 v8, 0x3fb8aa3b, v0, -v4
	v_rndne_f32_e32 v9, v4
	v_exp_f32_e32 v5, v5
	v_fmac_f32_e32 v15, 0x32a5705f, v3
	v_sub_f32_e32 v7, v7, v16
	v_fmac_f32_e32 v8, 0x32a5705f, v0
	v_sub_f32_e32 v4, v4, v9
	v_cmp_ngt_f32_e32 vcc_lo, 0xc2ce8ed0, v0
	v_sub_f32_e32 v6, v6, v13
	v_cvt_i32_f32_e32 v10, v13
	s_delay_alu instid0(VALU_DEP_4) | instskip(SKIP_3) | instid1(VALU_DEP_4)
	v_dual_add_f32 v7, v7, v15 :: v_dual_add_f32 v4, v4, v8
	v_cvt_i32_f32_e32 v8, v9
	v_cvt_i32_f32_e32 v9, v11
	;; [unrolled: 1-line block ×3, first 2 shown]
	v_exp_f32_e32 v7, v7
	v_exp_f32_e32 v4, v4
	s_delay_alu instid0(VALU_DEP_2) | instskip(SKIP_3) | instid1(VALU_DEP_1)
	v_ldexp_f32 v5, v5, v9
	s_waitcnt_depctr 0xfff
	v_ldexp_f32 v7, v7, v11
	v_ldexp_f32 v4, v4, v8
	v_cndmask_b32_e32 v4, 0, v4, vcc_lo
	v_cmp_ngt_f32_e32 vcc_lo, 0xc2ce8ed0, v1
	v_dual_fmac_f32 v12, 0x32a5705f, v2 :: v_dual_cndmask_b32 v5, 0, v5
	s_delay_alu instid0(VALU_DEP_1) | instskip(SKIP_1) | instid1(VALU_DEP_2)
	v_add_f32_e32 v6, v6, v12
	v_cmp_ngt_f32_e32 vcc_lo, 0xc2ce8ed0, v2
	v_exp_f32_e32 v6, v6
	s_waitcnt_depctr 0xfff
	v_ldexp_f32 v6, v6, v10
	s_delay_alu instid0(VALU_DEP_1)
	v_cndmask_b32_e32 v6, 0, v6, vcc_lo
	v_cmp_nlt_f32_e32 vcc_lo, 0x42b17218, v0
	v_cndmask_b32_e32 v0, 0x7f800000, v4, vcc_lo
	v_cmp_nlt_f32_e32 vcc_lo, 0x42b17218, v1
	v_cndmask_b32_e32 v1, 0x7f800000, v5, vcc_lo
	v_cmp_ngt_f32_e32 vcc_lo, 0xc2ce8ed0, v3
	s_delay_alu instid0(VALU_DEP_2) | instskip(SKIP_3) | instid1(VALU_DEP_2)
	v_dual_add_f32 v5, v0, v1 :: v_dual_cndmask_b32 v4, 0, v7
	v_cmp_nlt_f32_e32 vcc_lo, 0x42b17218, v2
	v_cndmask_b32_e32 v2, 0x7f800000, v6, vcc_lo
	v_cmp_nlt_f32_e32 vcc_lo, 0x42b17218, v3
	v_dual_cndmask_b32 v3, 0x7f800000, v4 :: v_dual_add_f32 v4, v5, v2
	s_delay_alu instid0(VALU_DEP_1) | instskip(NEXT) | instid1(VALU_DEP_1)
	v_add_f32_e32 v4, v4, v3
	v_div_scale_f32 v5, null, v4, v4, 1.0
	v_div_scale_f32 v8, vcc_lo, 1.0, v4, 1.0
	s_delay_alu instid0(VALU_DEP_2) | instskip(SKIP_2) | instid1(VALU_DEP_1)
	v_rcp_f32_e32 v6, v5
	s_waitcnt_depctr 0xfff
	v_fma_f32 v7, -v5, v6, 1.0
	v_fmac_f32_e32 v6, v7, v6
	s_delay_alu instid0(VALU_DEP_1) | instskip(NEXT) | instid1(VALU_DEP_1)
	v_mul_f32_e32 v7, v8, v6
	v_fma_f32 v9, -v5, v7, v8
	s_delay_alu instid0(VALU_DEP_1) | instskip(NEXT) | instid1(VALU_DEP_1)
	v_fmac_f32_e32 v7, v9, v6
	v_fma_f32 v5, -v5, v7, v8
	s_delay_alu instid0(VALU_DEP_1) | instskip(NEXT) | instid1(VALU_DEP_1)
	v_div_fmas_f32 v5, v5, v6, v7
	v_div_fixup_f32 v4, v5, v4, 1.0
	s_delay_alu instid0(VALU_DEP_1) | instskip(SKIP_3) | instid1(VALU_DEP_4)
	v_mul_f32_e32 v0, v4, v0
	v_mul_f32_e32 v1, v4, v1
	;; [unrolled: 1-line block ×4, first 2 shown]
	v_cmp_class_f32_e64 vcc_lo, v0, 0x1f8
	v_cndmask_b32_e32 v0, 0, v0, vcc_lo
	v_cmp_class_f32_e64 vcc_lo, v1, 0x1f8
	v_cndmask_b32_e32 v1, 0, v1, vcc_lo
	;; [unrolled: 2-line block ×4, first 2 shown]
	s_cbranch_scc1 .LBB28_10
; %bb.4:
	s_load_b128 s[4:7], s[2:3], 0x0
	s_waitcnt lgkmcnt(0)
	v_dual_add_f32 v4, s4, v0 :: v_dual_add_f32 v5, s5, v1
	v_dual_add_f32 v6, s6, v2 :: v_dual_add_f32 v7, s7, v3
	s_cbranch_execnz .LBB28_6
.LBB28_5:
	v_dual_mov_b32 v7, v3 :: v_dual_mov_b32 v6, v2
	v_dual_mov_b32 v5, v1 :: v_dual_mov_b32 v4, v0
.LBB28_6:
	s_load_b128 s[4:7], s[0:1], 0x30
	s_waitcnt lgkmcnt(0)
	s_bitcmp1_b32 s7, 0
	s_mov_b32 s7, 0
	s_cselect_b32 vcc_lo, -1, 0
	s_cmp_gt_i32 s4, 0
	s_cselect_b32 s3, -1, 0
	s_cmp_lt_i32 s4, 1
	s_cbranch_scc1 .LBB28_11
; %bb.7:
	v_mul_lo_u32 v8, v14, s4
	s_load_b128 s[12:15], s[0:1], 0x20
	v_dual_mov_b32 v15, 0 :: v_dual_mov_b32 v16, v14
	s_delay_alu instid0(VALU_DEP_2) | instskip(NEXT) | instid1(VALU_DEP_1)
	v_ashrrev_i32_e32 v9, 31, v8
	v_lshlrev_b64 v[12:13], 2, v[8:9]
	s_delay_alu instid0(VALU_DEP_1) | instskip(NEXT) | instid1(VALU_DEP_1)
	v_add_co_u32 v8, s0, s8, v12
	v_add_co_ci_u32_e64 v9, s0, s9, v13, s0
	s_waitcnt lgkmcnt(0)
	v_add_co_u32 v10, s0, s12, v12
	s_delay_alu instid0(VALU_DEP_1) | instskip(SKIP_1) | instid1(VALU_DEP_1)
	v_add_co_ci_u32_e64 v11, s0, s13, v13, s0
	v_add_co_u32 v12, s0, s14, v12
	v_add_co_ci_u32_e64 v13, s0, s15, v13, s0
.LBB28_8:                               ; =>This Inner Loop Header: Depth=1
	v_cmp_gt_f32_e64 s0, v5, v4
	s_add_i32 s7, s7, 1
	s_delay_alu instid0(VALU_DEP_1) | instskip(SKIP_2) | instid1(VALU_DEP_3)
	v_cndmask_b32_e64 v17, v4, v5, s0
	v_cndmask_b32_e64 v18, v0, v1, s0
	;; [unrolled: 1-line block ×3, first 2 shown]
	v_cmp_gt_f32_e64 s1, v6, v17
	s_delay_alu instid0(VALU_DEP_1) | instskip(NEXT) | instid1(VALU_DEP_4)
	v_cndmask_b32_e64 v17, v17, v6, s1
	v_cndmask_b32_e64 v18, v18, v2, s1
	s_delay_alu instid0(VALU_DEP_4) | instskip(NEXT) | instid1(VALU_DEP_3)
	v_cndmask_b32_e64 v19, v19, 2, s1
	v_cmp_gt_f32_e64 s0, v7, v17
	s_delay_alu instid0(VALU_DEP_1) | instskip(NEXT) | instid1(VALU_DEP_3)
	v_cndmask_b32_e64 v17, v18, v3, s0
	v_cndmask_b32_e64 v18, v19, 3, s0
	global_store_b32 v[8:9], v17, off
	v_cmp_le_i32_e64 s0, s5, v18
	v_cmp_gt_i32_e64 s1, s6, v18
	v_subrev_nc_u32_e32 v19, s5, v18
	v_cmp_ne_u32_e64 s2, 0, v18
	v_add_f32_e32 v17, v15, v17
	s_delay_alu instid0(VALU_DEP_4) | instskip(SKIP_1) | instid1(VALU_DEP_3)
	s_and_b32 s1, s0, s1
	v_cmp_ne_u32_e64 s0, 2, v18
	v_cndmask_b32_e64 v20, 0xc61c4000, v4, s2
	v_cmp_ne_u32_e64 s2, 1, v18
	s_delay_alu instid0(VALU_DEP_3) | instskip(SKIP_1) | instid1(VALU_DEP_2)
	v_cndmask_b32_e64 v22, 0xc61c4000, v6, s0
	s_and_b32 s0, s11, s1
	v_cndmask_b32_e64 v21, 0xc61c4000, v5, s2
	v_cndmask_b32_e64 v19, 4, v19, s0
	v_cmp_ne_u32_e64 s0, 3, v18
	s_cmp_lt_i32 s7, s4
	global_store_b32 v[10:11], v19, off
	global_store_b32 v[12:13], v16, off
	v_add_nc_u32_e32 v16, s10, v16
	v_cndmask_b32_e64 v18, 0xc61c4000, v7, s0
	s_cselect_b32 s0, -1, 0
	v_cndmask_b32_e32 v15, v15, v17, vcc_lo
	v_cndmask_b32_e64 v6, v6, v22, s0
	v_cndmask_b32_e64 v5, v5, v21, s0
	;; [unrolled: 1-line block ×4, first 2 shown]
	v_add_co_u32 v8, s0, v8, 4
	s_delay_alu instid0(VALU_DEP_1) | instskip(SKIP_1) | instid1(VALU_DEP_1)
	v_add_co_ci_u32_e64 v9, s0, 0, v9, s0
	v_add_co_u32 v10, s0, v10, 4
	v_add_co_ci_u32_e64 v11, s0, 0, v11, s0
	v_add_co_u32 v12, s0, v12, 4
	s_delay_alu instid0(VALU_DEP_1)
	v_add_co_ci_u32_e64 v13, s0, 0, v13, s0
	s_cmp_eq_u32 s4, s7
	s_cbranch_scc0 .LBB28_8
; %bb.9:
	s_and_b32 vcc_lo, exec_lo, vcc_lo
	s_cbranch_vccnz .LBB28_12
	s_branch .LBB28_15
.LBB28_10:
                                        ; implicit-def: $vgpr4_vgpr5_vgpr6_vgpr7
	s_and_not1_b32 vcc_lo, exec_lo, s12
	s_cbranch_vccz .LBB28_5
	s_branch .LBB28_6
.LBB28_11:
	v_mov_b32_e32 v15, 0
	s_and_b32 vcc_lo, exec_lo, vcc_lo
	s_cbranch_vccz .LBB28_15
.LBB28_12:
	s_and_not1_b32 vcc_lo, exec_lo, s3
	s_cbranch_vccnz .LBB28_15
; %bb.13:
	v_mul_lo_u32 v0, v14, s4
	v_cmp_lt_f32_e32 vcc_lo, 0, v15
	v_cndmask_b32_e32 v2, 1.0, v15, vcc_lo
	s_delay_alu instid0(VALU_DEP_3) | instskip(NEXT) | instid1(VALU_DEP_1)
	v_ashrrev_i32_e32 v1, 31, v0
	v_lshlrev_b64 v[0:1], 2, v[0:1]
	s_delay_alu instid0(VALU_DEP_1) | instskip(NEXT) | instid1(VALU_DEP_2)
	v_add_co_u32 v0, vcc_lo, s8, v0
	v_add_co_ci_u32_e32 v1, vcc_lo, s9, v1, vcc_lo
	.p2align	6
.LBB28_14:                              ; =>This Inner Loop Header: Depth=1
	global_load_b32 v3, v[0:1], off
	s_add_i32 s4, s4, -1
	s_delay_alu instid0(SALU_CYCLE_1) | instskip(SKIP_3) | instid1(VALU_DEP_2)
	s_cmp_lg_u32 s4, 0
	s_waitcnt vmcnt(0)
	v_div_scale_f32 v4, null, v2, v2, v3
	v_div_scale_f32 v7, vcc_lo, v3, v2, v3
	v_rcp_f32_e32 v5, v4
	s_waitcnt_depctr 0xfff
	v_fma_f32 v6, -v4, v5, 1.0
	s_delay_alu instid0(VALU_DEP_1) | instskip(NEXT) | instid1(VALU_DEP_1)
	v_fmac_f32_e32 v5, v6, v5
	v_mul_f32_e32 v6, v7, v5
	s_delay_alu instid0(VALU_DEP_1) | instskip(NEXT) | instid1(VALU_DEP_1)
	v_fma_f32 v8, -v4, v6, v7
	v_fmac_f32_e32 v6, v8, v5
	s_delay_alu instid0(VALU_DEP_1) | instskip(NEXT) | instid1(VALU_DEP_1)
	v_fma_f32 v4, -v4, v6, v7
	v_div_fmas_f32 v4, v4, v5, v6
	s_delay_alu instid0(VALU_DEP_1)
	v_div_fixup_f32 v3, v4, v2, v3
	global_store_b32 v[0:1], v3, off
	v_add_co_u32 v0, vcc_lo, v0, 4
	v_add_co_ci_u32_e32 v1, vcc_lo, 0, v1, vcc_lo
	s_cbranch_scc1 .LBB28_14
.LBB28_15:
	s_nop 0
	s_sendmsg sendmsg(MSG_DEALLOC_VGPRS)
	s_endpgm
	.section	.rodata,"a",@progbits
	.p2align	6, 0x0
	.amdhsa_kernel _ZN4vllm3moe10topkGatingILi4ELi4ELi4ELi16ELi64EjfLNS0_11ScoringFuncE0EEEvPKT5_PKbPfiPT4_PiiiibPKf
		.amdhsa_group_segment_fixed_size 0
		.amdhsa_private_segment_fixed_size 0
		.amdhsa_kernarg_size 72
		.amdhsa_user_sgpr_count 15
		.amdhsa_user_sgpr_dispatch_ptr 0
		.amdhsa_user_sgpr_queue_ptr 0
		.amdhsa_user_sgpr_kernarg_segment_ptr 1
		.amdhsa_user_sgpr_dispatch_id 0
		.amdhsa_user_sgpr_private_segment_size 0
		.amdhsa_wavefront_size32 1
		.amdhsa_uses_dynamic_stack 0
		.amdhsa_enable_private_segment 0
		.amdhsa_system_sgpr_workgroup_id_x 1
		.amdhsa_system_sgpr_workgroup_id_y 0
		.amdhsa_system_sgpr_workgroup_id_z 0
		.amdhsa_system_sgpr_workgroup_info 0
		.amdhsa_system_vgpr_workitem_id 1
		.amdhsa_next_free_vgpr 23
		.amdhsa_next_free_sgpr 16
		.amdhsa_reserve_vcc 1
		.amdhsa_float_round_mode_32 0
		.amdhsa_float_round_mode_16_64 0
		.amdhsa_float_denorm_mode_32 3
		.amdhsa_float_denorm_mode_16_64 3
		.amdhsa_dx10_clamp 1
		.amdhsa_ieee_mode 1
		.amdhsa_fp16_overflow 0
		.amdhsa_workgroup_processor_mode 1
		.amdhsa_memory_ordered 1
		.amdhsa_forward_progress 0
		.amdhsa_shared_vgpr_count 0
		.amdhsa_exception_fp_ieee_invalid_op 0
		.amdhsa_exception_fp_denorm_src 0
		.amdhsa_exception_fp_ieee_div_zero 0
		.amdhsa_exception_fp_ieee_overflow 0
		.amdhsa_exception_fp_ieee_underflow 0
		.amdhsa_exception_fp_ieee_inexact 0
		.amdhsa_exception_int_div_zero 0
	.end_amdhsa_kernel
	.section	.text._ZN4vllm3moe10topkGatingILi4ELi4ELi4ELi16ELi64EjfLNS0_11ScoringFuncE0EEEvPKT5_PKbPfiPT4_PiiiibPKf,"axG",@progbits,_ZN4vllm3moe10topkGatingILi4ELi4ELi4ELi16ELi64EjfLNS0_11ScoringFuncE0EEEvPKT5_PKbPfiPT4_PiiiibPKf,comdat
.Lfunc_end28:
	.size	_ZN4vllm3moe10topkGatingILi4ELi4ELi4ELi16ELi64EjfLNS0_11ScoringFuncE0EEEvPKT5_PKbPfiPT4_PiiiibPKf, .Lfunc_end28-_ZN4vllm3moe10topkGatingILi4ELi4ELi4ELi16ELi64EjfLNS0_11ScoringFuncE0EEEvPKT5_PKbPfiPT4_PiiiibPKf
                                        ; -- End function
	.section	.AMDGPU.csdata,"",@progbits
; Kernel info:
; codeLenInByte = 1652
; NumSgprs: 18
; NumVgprs: 23
; ScratchSize: 0
; MemoryBound: 0
; FloatMode: 240
; IeeeMode: 1
; LDSByteSize: 0 bytes/workgroup (compile time only)
; SGPRBlocks: 2
; VGPRBlocks: 2
; NumSGPRsForWavesPerEU: 18
; NumVGPRsForWavesPerEU: 23
; Occupancy: 16
; WaveLimiterHint : 0
; COMPUTE_PGM_RSRC2:SCRATCH_EN: 0
; COMPUTE_PGM_RSRC2:USER_SGPR: 15
; COMPUTE_PGM_RSRC2:TRAP_HANDLER: 0
; COMPUTE_PGM_RSRC2:TGID_X_EN: 1
; COMPUTE_PGM_RSRC2:TGID_Y_EN: 0
; COMPUTE_PGM_RSRC2:TGID_Z_EN: 0
; COMPUTE_PGM_RSRC2:TIDIG_COMP_CNT: 1
	.section	.text._ZN4vllm3moe10topkGatingILi4ELi4ELi4ELi16ELi32EjfLNS0_11ScoringFuncE0EEEvPKT5_PKbPfiPT4_PiiiibPKf,"axG",@progbits,_ZN4vllm3moe10topkGatingILi4ELi4ELi4ELi16ELi32EjfLNS0_11ScoringFuncE0EEEvPKT5_PKbPfiPT4_PiiiibPKf,comdat
	.protected	_ZN4vllm3moe10topkGatingILi4ELi4ELi4ELi16ELi32EjfLNS0_11ScoringFuncE0EEEvPKT5_PKbPfiPT4_PiiiibPKf ; -- Begin function _ZN4vllm3moe10topkGatingILi4ELi4ELi4ELi16ELi32EjfLNS0_11ScoringFuncE0EEEvPKT5_PKbPfiPT4_PiiiibPKf
	.globl	_ZN4vllm3moe10topkGatingILi4ELi4ELi4ELi16ELi32EjfLNS0_11ScoringFuncE0EEEvPKT5_PKbPfiPT4_PiiiibPKf
	.p2align	8
	.type	_ZN4vllm3moe10topkGatingILi4ELi4ELi4ELi16ELi32EjfLNS0_11ScoringFuncE0EEEvPKT5_PKbPfiPT4_PiiiibPKf,@function
_ZN4vllm3moe10topkGatingILi4ELi4ELi4ELi16ELi32EjfLNS0_11ScoringFuncE0EEEvPKT5_PKbPfiPT4_PiiiibPKf: ; @_ZN4vllm3moe10topkGatingILi4ELi4ELi4ELi16ELi32EjfLNS0_11ScoringFuncE0EEEvPKT5_PKbPfiPT4_PiiiibPKf
; %bb.0:
	s_load_b32 s10, s[0:1], 0x18
	v_bfe_u32 v1, v0, 10, 10
	v_and_b32_e32 v0, 0x3ff, v0
	s_lshl_b32 s2, s15, 7
	s_delay_alu instid0(VALU_DEP_2) | instskip(NEXT) | instid1(VALU_DEP_1)
	v_lshlrev_b32_e32 v1, 5, v1
	v_add3_u32 v14, v1, v0, s2
	s_mov_b32 s2, exec_lo
	s_waitcnt lgkmcnt(0)
	s_delay_alu instid0(VALU_DEP_1)
	v_cmpx_gt_i32_e64 s10, v14
	s_cbranch_execz .LBB29_15
; %bb.1:
	s_clause 0x1
	s_load_b128 s[4:7], s[0:1], 0x0
	s_load_b64 s[8:9], s[0:1], 0x10
	s_mov_b32 s12, -1
	s_mov_b32 s11, -1
	s_waitcnt lgkmcnt(0)
	s_cmp_eq_u64 s[6:7], 0
	s_cbranch_scc1 .LBB29_3
; %bb.2:
	v_ashrrev_i32_e32 v1, 31, v14
	v_add_co_u32 v0, vcc_lo, s6, v14
	s_delay_alu instid0(VALU_DEP_2) | instskip(SKIP_3) | instid1(VALU_DEP_1)
	v_add_co_ci_u32_e32 v1, vcc_lo, s7, v1, vcc_lo
	global_load_u8 v0, v[0:1], off
	s_waitcnt vmcnt(0)
	v_and_b32_e32 v0, 1, v0
	v_cmp_eq_u32_e32 vcc_lo, 1, v0
	s_xor_b32 s2, vcc_lo, -1
	s_delay_alu instid0(SALU_CYCLE_1)
	s_or_not1_b32 s11, s2, exec_lo
.LBB29_3:
	v_lshlrev_b32_e32 v0, 2, v14
	s_load_b64 s[2:3], s[0:1], 0x40
	s_delay_alu instid0(VALU_DEP_1) | instskip(NEXT) | instid1(VALU_DEP_1)
	v_ashrrev_i32_e32 v1, 31, v0
	v_lshlrev_b64 v[0:1], 2, v[0:1]
	s_delay_alu instid0(VALU_DEP_1) | instskip(NEXT) | instid1(VALU_DEP_2)
	v_add_co_u32 v0, vcc_lo, s4, v0
	v_add_co_ci_u32_e32 v1, vcc_lo, s5, v1, vcc_lo
	s_waitcnt lgkmcnt(0)
	s_cmp_eq_u64 s[2:3], 0
	global_load_b128 v[0:3], v[0:1], off
	s_waitcnt vmcnt(0)
	v_dual_max_f32 v4, v1, v1 :: v_dual_max_f32 v5, v0, v0
	s_delay_alu instid0(VALU_DEP_1) | instskip(NEXT) | instid1(VALU_DEP_1)
	v_max_f32_e32 v4, v5, v4
	v_max3_f32 v4, v4, v2, v3
	s_delay_alu instid0(VALU_DEP_1) | instskip(NEXT) | instid1(VALU_DEP_1)
	v_sub_f32_e32 v1, v1, v4
	v_mul_f32_e32 v5, 0x3fb8aa3b, v1
	s_delay_alu instid0(VALU_DEP_1) | instskip(SKIP_2) | instid1(VALU_DEP_3)
	v_rndne_f32_e32 v11, v5
	v_sub_f32_e32 v2, v2, v4
	v_fma_f32 v10, 0x3fb8aa3b, v1, -v5
	v_sub_f32_e32 v5, v5, v11
	s_delay_alu instid0(VALU_DEP_3) | instskip(SKIP_1) | instid1(VALU_DEP_4)
	v_dual_sub_f32 v3, v3, v4 :: v_dual_mul_f32 v6, 0x3fb8aa3b, v2
	v_sub_f32_e32 v0, v0, v4
	v_fmac_f32_e32 v10, 0x32a5705f, v1
	s_delay_alu instid0(VALU_DEP_3) | instskip(NEXT) | instid1(VALU_DEP_4)
	v_mul_f32_e32 v7, 0x3fb8aa3b, v3
	v_fma_f32 v12, 0x3fb8aa3b, v2, -v6
	s_delay_alu instid0(VALU_DEP_3) | instskip(SKIP_1) | instid1(VALU_DEP_4)
	v_dual_mul_f32 v4, 0x3fb8aa3b, v0 :: v_dual_add_f32 v5, v5, v10
	v_rndne_f32_e32 v13, v6
	v_fma_f32 v15, 0x3fb8aa3b, v3, -v7
	v_rndne_f32_e32 v16, v7
	s_delay_alu instid0(VALU_DEP_4)
	v_fma_f32 v8, 0x3fb8aa3b, v0, -v4
	v_rndne_f32_e32 v9, v4
	v_exp_f32_e32 v5, v5
	v_fmac_f32_e32 v15, 0x32a5705f, v3
	v_sub_f32_e32 v7, v7, v16
	v_fmac_f32_e32 v8, 0x32a5705f, v0
	v_sub_f32_e32 v4, v4, v9
	v_cmp_ngt_f32_e32 vcc_lo, 0xc2ce8ed0, v0
	v_sub_f32_e32 v6, v6, v13
	v_cvt_i32_f32_e32 v10, v13
	s_delay_alu instid0(VALU_DEP_4) | instskip(SKIP_3) | instid1(VALU_DEP_4)
	v_dual_add_f32 v7, v7, v15 :: v_dual_add_f32 v4, v4, v8
	v_cvt_i32_f32_e32 v8, v9
	v_cvt_i32_f32_e32 v9, v11
	;; [unrolled: 1-line block ×3, first 2 shown]
	v_exp_f32_e32 v7, v7
	v_exp_f32_e32 v4, v4
	s_delay_alu instid0(VALU_DEP_2) | instskip(SKIP_3) | instid1(VALU_DEP_1)
	v_ldexp_f32 v5, v5, v9
	s_waitcnt_depctr 0xfff
	v_ldexp_f32 v7, v7, v11
	v_ldexp_f32 v4, v4, v8
	v_cndmask_b32_e32 v4, 0, v4, vcc_lo
	v_cmp_ngt_f32_e32 vcc_lo, 0xc2ce8ed0, v1
	v_dual_fmac_f32 v12, 0x32a5705f, v2 :: v_dual_cndmask_b32 v5, 0, v5
	s_delay_alu instid0(VALU_DEP_1) | instskip(SKIP_1) | instid1(VALU_DEP_2)
	v_add_f32_e32 v6, v6, v12
	v_cmp_ngt_f32_e32 vcc_lo, 0xc2ce8ed0, v2
	v_exp_f32_e32 v6, v6
	s_waitcnt_depctr 0xfff
	v_ldexp_f32 v6, v6, v10
	s_delay_alu instid0(VALU_DEP_1)
	v_cndmask_b32_e32 v6, 0, v6, vcc_lo
	v_cmp_nlt_f32_e32 vcc_lo, 0x42b17218, v0
	v_cndmask_b32_e32 v0, 0x7f800000, v4, vcc_lo
	v_cmp_nlt_f32_e32 vcc_lo, 0x42b17218, v1
	v_cndmask_b32_e32 v1, 0x7f800000, v5, vcc_lo
	v_cmp_ngt_f32_e32 vcc_lo, 0xc2ce8ed0, v3
	s_delay_alu instid0(VALU_DEP_2) | instskip(SKIP_3) | instid1(VALU_DEP_2)
	v_dual_add_f32 v5, v0, v1 :: v_dual_cndmask_b32 v4, 0, v7
	v_cmp_nlt_f32_e32 vcc_lo, 0x42b17218, v2
	v_cndmask_b32_e32 v2, 0x7f800000, v6, vcc_lo
	v_cmp_nlt_f32_e32 vcc_lo, 0x42b17218, v3
	v_dual_cndmask_b32 v3, 0x7f800000, v4 :: v_dual_add_f32 v4, v5, v2
	s_delay_alu instid0(VALU_DEP_1) | instskip(NEXT) | instid1(VALU_DEP_1)
	v_add_f32_e32 v4, v4, v3
	v_div_scale_f32 v5, null, v4, v4, 1.0
	v_div_scale_f32 v8, vcc_lo, 1.0, v4, 1.0
	s_delay_alu instid0(VALU_DEP_2) | instskip(SKIP_2) | instid1(VALU_DEP_1)
	v_rcp_f32_e32 v6, v5
	s_waitcnt_depctr 0xfff
	v_fma_f32 v7, -v5, v6, 1.0
	v_fmac_f32_e32 v6, v7, v6
	s_delay_alu instid0(VALU_DEP_1) | instskip(NEXT) | instid1(VALU_DEP_1)
	v_mul_f32_e32 v7, v8, v6
	v_fma_f32 v9, -v5, v7, v8
	s_delay_alu instid0(VALU_DEP_1) | instskip(NEXT) | instid1(VALU_DEP_1)
	v_fmac_f32_e32 v7, v9, v6
	v_fma_f32 v5, -v5, v7, v8
	s_delay_alu instid0(VALU_DEP_1) | instskip(NEXT) | instid1(VALU_DEP_1)
	v_div_fmas_f32 v5, v5, v6, v7
	v_div_fixup_f32 v4, v5, v4, 1.0
	s_delay_alu instid0(VALU_DEP_1) | instskip(SKIP_3) | instid1(VALU_DEP_4)
	v_mul_f32_e32 v0, v4, v0
	v_mul_f32_e32 v1, v4, v1
	v_mul_f32_e32 v3, v4, v3
	v_mul_f32_e32 v2, v4, v2
	v_cmp_class_f32_e64 vcc_lo, v0, 0x1f8
	v_cndmask_b32_e32 v0, 0, v0, vcc_lo
	v_cmp_class_f32_e64 vcc_lo, v1, 0x1f8
	v_cndmask_b32_e32 v1, 0, v1, vcc_lo
	;; [unrolled: 2-line block ×4, first 2 shown]
	s_cbranch_scc1 .LBB29_10
; %bb.4:
	s_load_b128 s[4:7], s[2:3], 0x0
	s_waitcnt lgkmcnt(0)
	v_dual_add_f32 v4, s4, v0 :: v_dual_add_f32 v5, s5, v1
	v_dual_add_f32 v6, s6, v2 :: v_dual_add_f32 v7, s7, v3
	s_cbranch_execnz .LBB29_6
.LBB29_5:
	v_dual_mov_b32 v7, v3 :: v_dual_mov_b32 v6, v2
	v_dual_mov_b32 v5, v1 :: v_dual_mov_b32 v4, v0
.LBB29_6:
	s_load_b128 s[4:7], s[0:1], 0x30
	s_waitcnt lgkmcnt(0)
	s_bitcmp1_b32 s7, 0
	s_mov_b32 s7, 0
	s_cselect_b32 vcc_lo, -1, 0
	s_cmp_gt_i32 s4, 0
	s_cselect_b32 s3, -1, 0
	s_cmp_lt_i32 s4, 1
	s_cbranch_scc1 .LBB29_11
; %bb.7:
	v_mul_lo_u32 v8, v14, s4
	s_load_b128 s[12:15], s[0:1], 0x20
	v_dual_mov_b32 v15, 0 :: v_dual_mov_b32 v16, v14
	s_delay_alu instid0(VALU_DEP_2) | instskip(NEXT) | instid1(VALU_DEP_1)
	v_ashrrev_i32_e32 v9, 31, v8
	v_lshlrev_b64 v[12:13], 2, v[8:9]
	s_delay_alu instid0(VALU_DEP_1) | instskip(NEXT) | instid1(VALU_DEP_1)
	v_add_co_u32 v8, s0, s8, v12
	v_add_co_ci_u32_e64 v9, s0, s9, v13, s0
	s_waitcnt lgkmcnt(0)
	v_add_co_u32 v10, s0, s12, v12
	s_delay_alu instid0(VALU_DEP_1) | instskip(SKIP_1) | instid1(VALU_DEP_1)
	v_add_co_ci_u32_e64 v11, s0, s13, v13, s0
	v_add_co_u32 v12, s0, s14, v12
	v_add_co_ci_u32_e64 v13, s0, s15, v13, s0
.LBB29_8:                               ; =>This Inner Loop Header: Depth=1
	v_cmp_gt_f32_e64 s0, v5, v4
	s_add_i32 s7, s7, 1
	s_delay_alu instid0(VALU_DEP_1) | instskip(SKIP_2) | instid1(VALU_DEP_3)
	v_cndmask_b32_e64 v17, v4, v5, s0
	v_cndmask_b32_e64 v18, v0, v1, s0
	;; [unrolled: 1-line block ×3, first 2 shown]
	v_cmp_gt_f32_e64 s1, v6, v17
	s_delay_alu instid0(VALU_DEP_1) | instskip(NEXT) | instid1(VALU_DEP_4)
	v_cndmask_b32_e64 v17, v17, v6, s1
	v_cndmask_b32_e64 v18, v18, v2, s1
	s_delay_alu instid0(VALU_DEP_4) | instskip(NEXT) | instid1(VALU_DEP_3)
	v_cndmask_b32_e64 v19, v19, 2, s1
	v_cmp_gt_f32_e64 s0, v7, v17
	s_delay_alu instid0(VALU_DEP_1) | instskip(NEXT) | instid1(VALU_DEP_3)
	v_cndmask_b32_e64 v17, v18, v3, s0
	v_cndmask_b32_e64 v18, v19, 3, s0
	global_store_b32 v[8:9], v17, off
	v_cmp_le_i32_e64 s0, s5, v18
	v_cmp_gt_i32_e64 s1, s6, v18
	v_subrev_nc_u32_e32 v19, s5, v18
	v_cmp_ne_u32_e64 s2, 0, v18
	v_add_f32_e32 v17, v15, v17
	s_delay_alu instid0(VALU_DEP_4) | instskip(SKIP_1) | instid1(VALU_DEP_3)
	s_and_b32 s1, s0, s1
	v_cmp_ne_u32_e64 s0, 2, v18
	v_cndmask_b32_e64 v20, 0xc61c4000, v4, s2
	v_cmp_ne_u32_e64 s2, 1, v18
	s_delay_alu instid0(VALU_DEP_3) | instskip(SKIP_1) | instid1(VALU_DEP_2)
	v_cndmask_b32_e64 v22, 0xc61c4000, v6, s0
	s_and_b32 s0, s11, s1
	v_cndmask_b32_e64 v21, 0xc61c4000, v5, s2
	v_cndmask_b32_e64 v19, 4, v19, s0
	v_cmp_ne_u32_e64 s0, 3, v18
	s_cmp_lt_i32 s7, s4
	global_store_b32 v[10:11], v19, off
	global_store_b32 v[12:13], v16, off
	v_add_nc_u32_e32 v16, s10, v16
	v_cndmask_b32_e64 v18, 0xc61c4000, v7, s0
	s_cselect_b32 s0, -1, 0
	v_cndmask_b32_e32 v15, v15, v17, vcc_lo
	v_cndmask_b32_e64 v6, v6, v22, s0
	v_cndmask_b32_e64 v5, v5, v21, s0
	;; [unrolled: 1-line block ×4, first 2 shown]
	v_add_co_u32 v8, s0, v8, 4
	s_delay_alu instid0(VALU_DEP_1) | instskip(SKIP_1) | instid1(VALU_DEP_1)
	v_add_co_ci_u32_e64 v9, s0, 0, v9, s0
	v_add_co_u32 v10, s0, v10, 4
	v_add_co_ci_u32_e64 v11, s0, 0, v11, s0
	v_add_co_u32 v12, s0, v12, 4
	s_delay_alu instid0(VALU_DEP_1)
	v_add_co_ci_u32_e64 v13, s0, 0, v13, s0
	s_cmp_eq_u32 s4, s7
	s_cbranch_scc0 .LBB29_8
; %bb.9:
	s_and_b32 vcc_lo, exec_lo, vcc_lo
	s_cbranch_vccnz .LBB29_12
	s_branch .LBB29_15
.LBB29_10:
                                        ; implicit-def: $vgpr4_vgpr5_vgpr6_vgpr7
	s_and_not1_b32 vcc_lo, exec_lo, s12
	s_cbranch_vccz .LBB29_5
	s_branch .LBB29_6
.LBB29_11:
	v_mov_b32_e32 v15, 0
	s_and_b32 vcc_lo, exec_lo, vcc_lo
	s_cbranch_vccz .LBB29_15
.LBB29_12:
	s_and_not1_b32 vcc_lo, exec_lo, s3
	s_cbranch_vccnz .LBB29_15
; %bb.13:
	v_mul_lo_u32 v0, v14, s4
	v_cmp_lt_f32_e32 vcc_lo, 0, v15
	v_cndmask_b32_e32 v2, 1.0, v15, vcc_lo
	s_delay_alu instid0(VALU_DEP_3) | instskip(NEXT) | instid1(VALU_DEP_1)
	v_ashrrev_i32_e32 v1, 31, v0
	v_lshlrev_b64 v[0:1], 2, v[0:1]
	s_delay_alu instid0(VALU_DEP_1) | instskip(NEXT) | instid1(VALU_DEP_2)
	v_add_co_u32 v0, vcc_lo, s8, v0
	v_add_co_ci_u32_e32 v1, vcc_lo, s9, v1, vcc_lo
	.p2align	6
.LBB29_14:                              ; =>This Inner Loop Header: Depth=1
	global_load_b32 v3, v[0:1], off
	s_add_i32 s4, s4, -1
	s_delay_alu instid0(SALU_CYCLE_1) | instskip(SKIP_3) | instid1(VALU_DEP_2)
	s_cmp_lg_u32 s4, 0
	s_waitcnt vmcnt(0)
	v_div_scale_f32 v4, null, v2, v2, v3
	v_div_scale_f32 v7, vcc_lo, v3, v2, v3
	v_rcp_f32_e32 v5, v4
	s_waitcnt_depctr 0xfff
	v_fma_f32 v6, -v4, v5, 1.0
	s_delay_alu instid0(VALU_DEP_1) | instskip(NEXT) | instid1(VALU_DEP_1)
	v_fmac_f32_e32 v5, v6, v5
	v_mul_f32_e32 v6, v7, v5
	s_delay_alu instid0(VALU_DEP_1) | instskip(NEXT) | instid1(VALU_DEP_1)
	v_fma_f32 v8, -v4, v6, v7
	v_fmac_f32_e32 v6, v8, v5
	s_delay_alu instid0(VALU_DEP_1) | instskip(NEXT) | instid1(VALU_DEP_1)
	v_fma_f32 v4, -v4, v6, v7
	v_div_fmas_f32 v4, v4, v5, v6
	s_delay_alu instid0(VALU_DEP_1)
	v_div_fixup_f32 v3, v4, v2, v3
	global_store_b32 v[0:1], v3, off
	v_add_co_u32 v0, vcc_lo, v0, 4
	v_add_co_ci_u32_e32 v1, vcc_lo, 0, v1, vcc_lo
	s_cbranch_scc1 .LBB29_14
.LBB29_15:
	s_nop 0
	s_sendmsg sendmsg(MSG_DEALLOC_VGPRS)
	s_endpgm
	.section	.rodata,"a",@progbits
	.p2align	6, 0x0
	.amdhsa_kernel _ZN4vllm3moe10topkGatingILi4ELi4ELi4ELi16ELi32EjfLNS0_11ScoringFuncE0EEEvPKT5_PKbPfiPT4_PiiiibPKf
		.amdhsa_group_segment_fixed_size 0
		.amdhsa_private_segment_fixed_size 0
		.amdhsa_kernarg_size 72
		.amdhsa_user_sgpr_count 15
		.amdhsa_user_sgpr_dispatch_ptr 0
		.amdhsa_user_sgpr_queue_ptr 0
		.amdhsa_user_sgpr_kernarg_segment_ptr 1
		.amdhsa_user_sgpr_dispatch_id 0
		.amdhsa_user_sgpr_private_segment_size 0
		.amdhsa_wavefront_size32 1
		.amdhsa_uses_dynamic_stack 0
		.amdhsa_enable_private_segment 0
		.amdhsa_system_sgpr_workgroup_id_x 1
		.amdhsa_system_sgpr_workgroup_id_y 0
		.amdhsa_system_sgpr_workgroup_id_z 0
		.amdhsa_system_sgpr_workgroup_info 0
		.amdhsa_system_vgpr_workitem_id 1
		.amdhsa_next_free_vgpr 23
		.amdhsa_next_free_sgpr 16
		.amdhsa_reserve_vcc 1
		.amdhsa_float_round_mode_32 0
		.amdhsa_float_round_mode_16_64 0
		.amdhsa_float_denorm_mode_32 3
		.amdhsa_float_denorm_mode_16_64 3
		.amdhsa_dx10_clamp 1
		.amdhsa_ieee_mode 1
		.amdhsa_fp16_overflow 0
		.amdhsa_workgroup_processor_mode 1
		.amdhsa_memory_ordered 1
		.amdhsa_forward_progress 0
		.amdhsa_shared_vgpr_count 0
		.amdhsa_exception_fp_ieee_invalid_op 0
		.amdhsa_exception_fp_denorm_src 0
		.amdhsa_exception_fp_ieee_div_zero 0
		.amdhsa_exception_fp_ieee_overflow 0
		.amdhsa_exception_fp_ieee_underflow 0
		.amdhsa_exception_fp_ieee_inexact 0
		.amdhsa_exception_int_div_zero 0
	.end_amdhsa_kernel
	.section	.text._ZN4vllm3moe10topkGatingILi4ELi4ELi4ELi16ELi32EjfLNS0_11ScoringFuncE0EEEvPKT5_PKbPfiPT4_PiiiibPKf,"axG",@progbits,_ZN4vllm3moe10topkGatingILi4ELi4ELi4ELi16ELi32EjfLNS0_11ScoringFuncE0EEEvPKT5_PKbPfiPT4_PiiiibPKf,comdat
.Lfunc_end29:
	.size	_ZN4vllm3moe10topkGatingILi4ELi4ELi4ELi16ELi32EjfLNS0_11ScoringFuncE0EEEvPKT5_PKbPfiPT4_PiiiibPKf, .Lfunc_end29-_ZN4vllm3moe10topkGatingILi4ELi4ELi4ELi16ELi32EjfLNS0_11ScoringFuncE0EEEvPKT5_PKbPfiPT4_PiiiibPKf
                                        ; -- End function
	.section	.AMDGPU.csdata,"",@progbits
; Kernel info:
; codeLenInByte = 1652
; NumSgprs: 18
; NumVgprs: 23
; ScratchSize: 0
; MemoryBound: 0
; FloatMode: 240
; IeeeMode: 1
; LDSByteSize: 0 bytes/workgroup (compile time only)
; SGPRBlocks: 2
; VGPRBlocks: 2
; NumSGPRsForWavesPerEU: 18
; NumVGPRsForWavesPerEU: 23
; Occupancy: 16
; WaveLimiterHint : 0
; COMPUTE_PGM_RSRC2:SCRATCH_EN: 0
; COMPUTE_PGM_RSRC2:USER_SGPR: 15
; COMPUTE_PGM_RSRC2:TRAP_HANDLER: 0
; COMPUTE_PGM_RSRC2:TGID_X_EN: 1
; COMPUTE_PGM_RSRC2:TGID_Y_EN: 0
; COMPUTE_PGM_RSRC2:TGID_Z_EN: 0
; COMPUTE_PGM_RSRC2:TIDIG_COMP_CNT: 1
	.section	.text._ZN4vllm3moe10topkGatingILi4ELi8ELi4ELi16ELi64EjfLNS0_11ScoringFuncE0EEEvPKT5_PKbPfiPT4_PiiiibPKf,"axG",@progbits,_ZN4vllm3moe10topkGatingILi4ELi8ELi4ELi16ELi64EjfLNS0_11ScoringFuncE0EEEvPKT5_PKbPfiPT4_PiiiibPKf,comdat
	.protected	_ZN4vllm3moe10topkGatingILi4ELi8ELi4ELi16ELi64EjfLNS0_11ScoringFuncE0EEEvPKT5_PKbPfiPT4_PiiiibPKf ; -- Begin function _ZN4vllm3moe10topkGatingILi4ELi8ELi4ELi16ELi64EjfLNS0_11ScoringFuncE0EEEvPKT5_PKbPfiPT4_PiiiibPKf
	.globl	_ZN4vllm3moe10topkGatingILi4ELi8ELi4ELi16ELi64EjfLNS0_11ScoringFuncE0EEEvPKT5_PKbPfiPT4_PiiiibPKf
	.p2align	8
	.type	_ZN4vllm3moe10topkGatingILi4ELi8ELi4ELi16ELi64EjfLNS0_11ScoringFuncE0EEEvPKT5_PKbPfiPT4_PiiiibPKf,@function
_ZN4vllm3moe10topkGatingILi4ELi8ELi4ELi16ELi64EjfLNS0_11ScoringFuncE0EEEvPKT5_PKbPfiPT4_PiiiibPKf: ; @_ZN4vllm3moe10topkGatingILi4ELi8ELi4ELi16ELi64EjfLNS0_11ScoringFuncE0EEEvPKT5_PKbPfiPT4_PiiiibPKf
; %bb.0:
	s_load_b32 s14, s[0:1], 0x18
	v_bfe_u32 v1, v0, 10, 10
	v_and_b32_e32 v0, 0x3ff, v0
	s_lshl_b32 s2, s15, 7
	s_delay_alu instid0(VALU_DEP_2) | instskip(NEXT) | instid1(VALU_DEP_2)
	v_lshlrev_b32_e32 v1, 5, v1
	v_lshrrev_b32_e32 v2, 1, v0
	s_delay_alu instid0(VALU_DEP_1) | instskip(SKIP_2) | instid1(VALU_DEP_1)
	v_add3_u32 v8, s2, v1, v2
	s_mov_b32 s2, exec_lo
	s_waitcnt lgkmcnt(0)
	v_cmpx_gt_i32_e64 s14, v8
	s_cbranch_execz .LBB30_25
; %bb.1:
	s_clause 0x1
	s_load_b128 s[4:7], s[0:1], 0x0
	s_load_b64 s[12:13], s[0:1], 0x10
	s_mov_b32 s8, -1
	s_mov_b32 s15, -1
	s_waitcnt lgkmcnt(0)
	s_cmp_eq_u64 s[6:7], 0
	s_cbranch_scc1 .LBB30_3
; %bb.2:
	v_ashrrev_i32_e32 v2, 31, v8
	v_add_co_u32 v1, vcc_lo, s6, v8
	s_delay_alu instid0(VALU_DEP_2) | instskip(SKIP_3) | instid1(VALU_DEP_1)
	v_add_co_ci_u32_e32 v2, vcc_lo, s7, v2, vcc_lo
	global_load_u8 v1, v[1:2], off
	s_waitcnt vmcnt(0)
	v_and_b32_e32 v1, 1, v1
	v_cmp_eq_u32_e32 vcc_lo, 1, v1
	s_xor_b32 s2, vcc_lo, -1
	s_delay_alu instid0(SALU_CYCLE_1)
	s_or_not1_b32 s15, s2, exec_lo
.LBB30_3:
	v_mbcnt_lo_u32_b32 v4, -1, 0
	v_and_b32_e32 v9, 1, v0
	s_load_b64 s[2:3], s[0:1], 0x40
	s_delay_alu instid0(VALU_DEP_2) | instskip(SKIP_2) | instid1(VALU_DEP_2)
	v_xor_b32_e32 v6, 1, v4
	v_lshlrev_b32_e32 v1, 3, v8
	v_and_b32_e32 v5, 30, v4
	v_ashrrev_i32_e32 v2, 31, v1
	s_delay_alu instid0(VALU_DEP_1) | instskip(SKIP_3) | instid1(VALU_DEP_2)
	v_lshlrev_b64 v[0:1], 2, v[1:2]
	v_lshlrev_b32_e32 v2, 4, v9
	s_waitcnt lgkmcnt(0)
	s_cmp_eq_u64 s[2:3], 0
	v_add_co_u32 v0, vcc_lo, s4, v0
	s_delay_alu instid0(VALU_DEP_3) | instskip(NEXT) | instid1(VALU_DEP_2)
	v_add_co_ci_u32_e32 v1, vcc_lo, s5, v1, vcc_lo
	v_add_co_u32 v0, vcc_lo, v0, v2
	s_delay_alu instid0(VALU_DEP_2) | instskip(SKIP_3) | instid1(VALU_DEP_1)
	v_add_co_ci_u32_e32 v1, vcc_lo, 0, v1, vcc_lo
	global_load_b128 v[0:3], v[0:1], off
	s_waitcnt vmcnt(0)
	v_dual_max_f32 v10, v0, v0 :: v_dual_add_nc_u32 v5, 2, v5
	v_cmp_lt_i32_e32 vcc_lo, v6, v5
	v_dual_cndmask_b32 v4, v4, v6 :: v_dual_max_f32 v7, v1, v1
	s_delay_alu instid0(VALU_DEP_1) | instskip(NEXT) | instid1(VALU_DEP_1)
	v_dual_max_f32 v5, v10, v7 :: v_dual_lshlrev_b32 v10, 2, v4
	v_max3_f32 v4, v5, v2, v3
	ds_bpermute_b32 v5, v10, v4
	s_waitcnt lgkmcnt(0)
	v_max_f32_e32 v5, v5, v5
	s_delay_alu instid0(VALU_DEP_1) | instskip(NEXT) | instid1(VALU_DEP_1)
	v_max_f32_e32 v4, v4, v5
	v_sub_f32_e32 v0, v0, v4
	v_sub_f32_e32 v1, v1, v4
	v_sub_f32_e32 v2, v2, v4
	v_sub_f32_e32 v3, v3, v4
	s_delay_alu instid0(VALU_DEP_4) | instskip(SKIP_1) | instid1(VALU_DEP_2)
	v_mul_f32_e32 v4, 0x3fb8aa3b, v0
	v_cmp_ngt_f32_e32 vcc_lo, 0xc2ce8ed0, v0
	v_fma_f32 v11, 0x3fb8aa3b, v0, -v4
	v_rndne_f32_e32 v12, v4
	s_delay_alu instid0(VALU_DEP_2) | instskip(NEXT) | instid1(VALU_DEP_2)
	v_fmac_f32_e32 v11, 0x32a5705f, v0
	v_sub_f32_e32 v4, v4, v12
	s_delay_alu instid0(VALU_DEP_1) | instskip(SKIP_2) | instid1(VALU_DEP_3)
	v_dual_add_f32 v4, v4, v11 :: v_dual_mul_f32 v5, 0x3fb8aa3b, v1
	v_mul_f32_e32 v6, 0x3fb8aa3b, v2
	v_cvt_i32_f32_e32 v11, v12
	v_exp_f32_e32 v4, v4
	s_delay_alu instid0(VALU_DEP_3) | instskip(SKIP_3) | instid1(VALU_DEP_4)
	v_fma_f32 v13, 0x3fb8aa3b, v1, -v5
	v_rndne_f32_e32 v14, v5
	v_fma_f32 v15, 0x3fb8aa3b, v2, -v6
	v_rndne_f32_e32 v16, v6
	v_fmac_f32_e32 v13, 0x32a5705f, v1
	s_delay_alu instid0(VALU_DEP_4) | instskip(SKIP_1) | instid1(VALU_DEP_4)
	v_sub_f32_e32 v5, v5, v14
	v_cvt_i32_f32_e32 v12, v14
	v_sub_f32_e32 v6, v6, v16
	s_delay_alu instid0(TRANS32_DEP_1) | instskip(SKIP_3) | instid1(VALU_DEP_4)
	v_ldexp_f32 v4, v4, v11
	v_fmac_f32_e32 v15, 0x32a5705f, v2
	v_add_f32_e32 v5, v5, v13
	v_cvt_i32_f32_e32 v13, v16
	v_cndmask_b32_e32 v4, 0, v4, vcc_lo
	s_delay_alu instid0(VALU_DEP_4) | instskip(NEXT) | instid1(VALU_DEP_4)
	v_add_f32_e32 v6, v6, v15
	v_exp_f32_e32 v5, v5
	v_cmp_ngt_f32_e32 vcc_lo, 0xc2ce8ed0, v1
	v_mul_f32_e32 v7, 0x3fb8aa3b, v3
	s_delay_alu instid0(VALU_DEP_3) | instskip(NEXT) | instid1(VALU_DEP_1)
	v_exp_f32_e32 v6, v6
	v_rndne_f32_e32 v18, v7
	v_fma_f32 v17, 0x3fb8aa3b, v3, -v7
	s_waitcnt_depctr 0xfff
	v_ldexp_f32 v5, v5, v12
	v_cvt_i32_f32_e32 v14, v18
	v_ldexp_f32 v6, v6, v13
	s_delay_alu instid0(VALU_DEP_3) | instskip(SKIP_1) | instid1(VALU_DEP_3)
	v_cndmask_b32_e32 v5, 0, v5, vcc_lo
	v_cmp_ngt_f32_e32 vcc_lo, 0xc2ce8ed0, v2
	v_cndmask_b32_e32 v6, 0, v6, vcc_lo
	v_cmp_nlt_f32_e32 vcc_lo, 0x42b17218, v0
	v_dual_sub_f32 v7, v7, v18 :: v_dual_cndmask_b32 v0, 0x7f800000, v4
	v_cmp_nlt_f32_e32 vcc_lo, 0x42b17218, v1
	v_cndmask_b32_e32 v1, 0x7f800000, v5, vcc_lo
	v_cmp_ngt_f32_e32 vcc_lo, 0xc2ce8ed0, v3
	s_delay_alu instid0(VALU_DEP_2) | instskip(SKIP_1) | instid1(VALU_DEP_1)
	v_add_f32_e32 v5, v0, v1
	v_fmac_f32_e32 v17, 0x32a5705f, v3
	v_add_f32_e32 v7, v7, v17
	s_delay_alu instid0(VALU_DEP_1) | instskip(SKIP_2) | instid1(VALU_DEP_1)
	v_exp_f32_e32 v7, v7
	s_waitcnt_depctr 0xfff
	v_ldexp_f32 v7, v7, v14
	v_cndmask_b32_e32 v4, 0, v7, vcc_lo
	v_cmp_nlt_f32_e32 vcc_lo, 0x42b17218, v2
	v_cndmask_b32_e32 v2, 0x7f800000, v6, vcc_lo
	v_cmp_nlt_f32_e32 vcc_lo, 0x42b17218, v3
	s_delay_alu instid0(VALU_DEP_2) | instskip(NEXT) | instid1(VALU_DEP_1)
	v_dual_cndmask_b32 v3, 0x7f800000, v4 :: v_dual_add_f32 v4, v5, v2
	v_add_f32_e32 v4, v4, v3
	ds_bpermute_b32 v5, v10, v4
	s_waitcnt lgkmcnt(0)
	v_add_f32_e32 v4, v4, v5
	s_delay_alu instid0(VALU_DEP_1) | instskip(SKIP_1) | instid1(VALU_DEP_2)
	v_div_scale_f32 v5, null, v4, v4, 1.0
	v_div_scale_f32 v11, vcc_lo, 1.0, v4, 1.0
	v_rcp_f32_e32 v6, v5
	s_waitcnt_depctr 0xfff
	v_fma_f32 v7, -v5, v6, 1.0
	s_delay_alu instid0(VALU_DEP_1) | instskip(NEXT) | instid1(VALU_DEP_1)
	v_fmac_f32_e32 v6, v7, v6
	v_mul_f32_e32 v7, v11, v6
	s_delay_alu instid0(VALU_DEP_1) | instskip(NEXT) | instid1(VALU_DEP_1)
	v_fma_f32 v12, -v5, v7, v11
	v_fmac_f32_e32 v7, v12, v6
	s_delay_alu instid0(VALU_DEP_1) | instskip(NEXT) | instid1(VALU_DEP_1)
	v_fma_f32 v5, -v5, v7, v11
	v_div_fmas_f32 v5, v5, v6, v7
	s_delay_alu instid0(VALU_DEP_1) | instskip(NEXT) | instid1(VALU_DEP_1)
	v_div_fixup_f32 v4, v5, v4, 1.0
	v_dual_mul_f32 v2, v4, v2 :: v_dual_lshlrev_b32 v11, 2, v9
	v_mul_f32_e32 v0, v4, v0
	v_mul_f32_e32 v1, v4, v1
	;; [unrolled: 1-line block ×3, first 2 shown]
	s_delay_alu instid0(VALU_DEP_3) | instskip(SKIP_1) | instid1(VALU_DEP_4)
	v_cmp_class_f32_e64 vcc_lo, v0, 0x1f8
	v_cndmask_b32_e32 v0, 0, v0, vcc_lo
	v_cmp_class_f32_e64 vcc_lo, v1, 0x1f8
	v_cndmask_b32_e32 v1, 0, v1, vcc_lo
	;; [unrolled: 2-line block ×4, first 2 shown]
	s_cbranch_scc1 .LBB30_19
; %bb.4:
	v_lshlrev_b32_e32 v4, 2, v11
	global_load_b128 v[4:7], v4, s[2:3]
	s_waitcnt vmcnt(0)
	v_dual_add_f32 v5, v5, v1 :: v_dual_add_f32 v4, v4, v0
	v_dual_add_f32 v7, v7, v3 :: v_dual_add_f32 v6, v6, v2
	s_cbranch_execnz .LBB30_6
.LBB30_5:
	v_dual_mov_b32 v7, v3 :: v_dual_mov_b32 v6, v2
	v_dual_mov_b32 v5, v1 :: v_dual_mov_b32 v4, v0
.LBB30_6:
	s_load_b128 s[4:7], s[0:1], 0x30
	v_cmp_eq_u32_e64 s2, 0, v9
	s_waitcnt lgkmcnt(0)
	s_bitcmp1_b32 s7, 0
	s_mov_b32 s7, 0
	s_cselect_b32 vcc_lo, -1, 0
	s_cmp_gt_i32 s4, 0
	s_cselect_b32 s3, -1, 0
	s_cmp_lt_i32 s4, 1
	s_cbranch_scc1 .LBB30_20
; %bb.7:
	s_load_b128 s[8:11], s[0:1], 0x20
	v_mul_lo_u32 v13, v8, s4
	v_mov_b32_e32 v12, 0
	v_mov_b32_e32 v14, v8
	s_branch .LBB30_10
.LBB30_8:                               ;   in Loop: Header=BB30_10 Depth=1
	s_or_b32 exec_lo, exec_lo, s1
.LBB30_9:                               ;   in Loop: Header=BB30_10 Depth=1
	v_add_nc_u32_e32 v14, s14, v14
	s_cmp_eq_u32 s4, s7
	s_cbranch_scc1 .LBB30_21
.LBB30_10:                              ; =>This Inner Loop Header: Depth=1
	v_cmp_gt_f32_e64 s0, v5, v4
	s_mov_b32 s17, exec_lo
	s_delay_alu instid0(VALU_DEP_1) | instskip(SKIP_2) | instid1(VALU_DEP_3)
	v_cndmask_b32_e64 v15, v4, v5, s0
	v_cndmask_b32_e64 v16, 0, 1, s0
	;; [unrolled: 1-line block ×3, first 2 shown]
	v_cmp_gt_f32_e64 s1, v6, v15
	s_delay_alu instid0(VALU_DEP_1) | instskip(NEXT) | instid1(VALU_DEP_4)
	v_cndmask_b32_e64 v15, v15, v6, s1
	v_cndmask_b32_e64 v16, v16, 2, s1
	s_delay_alu instid0(VALU_DEP_4) | instskip(NEXT) | instid1(VALU_DEP_3)
	v_cndmask_b32_e64 v17, v17, v2, s1
	v_cmp_gt_f32_e64 s0, v7, v15
	s_delay_alu instid0(VALU_DEP_1) | instskip(NEXT) | instid1(VALU_DEP_4)
	v_cndmask_b32_e64 v19, v15, v7, s0
	v_cndmask_b32_e64 v15, v16, 3, s0
	s_delay_alu instid0(VALU_DEP_4)
	v_cndmask_b32_e64 v16, v17, v3, s0
	ds_bpermute_b32 v20, v10, v19
	v_or_b32_e32 v15, v11, v15
	ds_bpermute_b32 v18, v10, v16
	ds_bpermute_b32 v17, v10, v15
	s_waitcnt lgkmcnt(0)
	v_cmp_lt_f32_e64 s16, v19, v20
	v_cmpx_nlt_f32_e32 v19, v20
	s_cbranch_execnz .LBB30_14
; %bb.11:                               ;   in Loop: Header=BB30_10 Depth=1
	s_or_b32 exec_lo, exec_lo, s17
	s_delay_alu instid0(VALU_DEP_2)
	s_and_saveexec_b32 s0, s16
	s_cbranch_execnz .LBB30_15
.LBB30_12:                              ;   in Loop: Header=BB30_10 Depth=1
	s_or_b32 exec_lo, exec_lo, s0
	s_and_saveexec_b32 s16, s2
	s_cbranch_execnz .LBB30_16
.LBB30_13:                              ;   in Loop: Header=BB30_10 Depth=1
	s_or_b32 exec_lo, exec_lo, s16
	s_add_i32 s7, s7, 1
	s_delay_alu instid0(SALU_CYCLE_1)
	s_cmp_ge_i32 s7, s4
	s_cbranch_scc1 .LBB30_9
	s_branch .LBB30_17
.LBB30_14:                              ;   in Loop: Header=BB30_10 Depth=1
	v_cmp_eq_f32_e64 s0, v19, v20
	v_cmp_lt_i32_e64 s1, v17, v15
	s_delay_alu instid0(VALU_DEP_1) | instskip(SKIP_2) | instid1(SALU_CYCLE_1)
	s_and_b32 s0, s0, s1
	s_and_not1_b32 s1, s16, exec_lo
	s_and_b32 s0, s0, exec_lo
	s_or_b32 s16, s1, s0
	s_or_b32 exec_lo, exec_lo, s17
	s_and_saveexec_b32 s0, s16
	s_cbranch_execz .LBB30_12
.LBB30_15:                              ;   in Loop: Header=BB30_10 Depth=1
	v_dual_mov_b32 v16, v18 :: v_dual_mov_b32 v15, v17
	s_or_b32 exec_lo, exec_lo, s0
	s_and_saveexec_b32 s16, s2
	s_cbranch_execz .LBB30_13
.LBB30_16:                              ;   in Loop: Header=BB30_10 Depth=1
	s_delay_alu instid0(VALU_DEP_1) | instskip(SKIP_3) | instid1(VALU_DEP_4)
	v_dual_add_f32 v24, v12, v16 :: v_dual_add_nc_u32 v17, s7, v13
	v_cmp_le_i32_e64 s0, s5, v15
	v_cmp_gt_i32_e64 s1, s6, v15
	v_subrev_nc_u32_e32 v19, s5, v15
	v_ashrrev_i32_e32 v18, 31, v17
	v_cndmask_b32_e32 v12, v12, v24, vcc_lo
	s_delay_alu instid0(VALU_DEP_4) | instskip(NEXT) | instid1(SALU_CYCLE_1)
	s_and_b32 s0, s0, s1
	s_and_b32 s0, s15, s0
	s_delay_alu instid0(VALU_DEP_2) | instskip(SKIP_1) | instid1(VALU_DEP_2)
	v_lshlrev_b64 v[17:18], 2, v[17:18]
	v_cndmask_b32_e64 v23, 8, v19, s0
	v_add_co_u32 v19, s0, s12, v17
	s_delay_alu instid0(VALU_DEP_1) | instskip(SKIP_1) | instid1(VALU_DEP_1)
	v_add_co_ci_u32_e64 v20, s0, s13, v18, s0
	v_add_co_u32 v21, s0, s8, v17
	v_add_co_ci_u32_e64 v22, s0, s9, v18, s0
	v_add_co_u32 v17, s0, s10, v17
	s_delay_alu instid0(VALU_DEP_1)
	v_add_co_ci_u32_e64 v18, s0, s11, v18, s0
	global_store_b32 v[19:20], v16, off
	global_store_b32 v[21:22], v23, off
	;; [unrolled: 1-line block ×3, first 2 shown]
	s_or_b32 exec_lo, exec_lo, s16
	s_add_i32 s7, s7, 1
	s_delay_alu instid0(SALU_CYCLE_1)
	s_cmp_ge_i32 s7, s4
	s_cbranch_scc1 .LBB30_9
.LBB30_17:                              ;   in Loop: Header=BB30_10 Depth=1
	v_ashrrev_i32_e32 v17, 31, v15
	s_mov_b32 s1, exec_lo
	s_delay_alu instid0(VALU_DEP_1) | instskip(NEXT) | instid1(VALU_DEP_1)
	v_lshrrev_b32_e32 v16, 30, v17
	v_add_nc_u32_e32 v18, v15, v16
	s_delay_alu instid0(VALU_DEP_1) | instskip(SKIP_1) | instid1(VALU_DEP_1)
	v_ashrrev_i32_e32 v16, 2, v18
	v_lshrrev_b32_e32 v18, 31, v18
	v_add_nc_u32_e32 v18, v16, v18
	s_delay_alu instid0(VALU_DEP_1) | instskip(NEXT) | instid1(VALU_DEP_1)
	v_and_b32_e32 v18, -2, v18
	v_sub_nc_u32_e32 v18, v16, v18
	s_delay_alu instid0(VALU_DEP_1)
	v_cmpx_eq_u32_e64 v9, v18
	s_cbranch_execz .LBB30_8
; %bb.18:                               ;   in Loop: Header=BB30_10 Depth=1
	v_lshrrev_b32_e32 v17, 29, v17
	v_lshlrev_b32_e32 v16, 2, v16
	s_delay_alu instid0(VALU_DEP_2) | instskip(NEXT) | instid1(VALU_DEP_2)
	v_add_nc_u32_e32 v17, v15, v17
	v_sub_nc_u32_e32 v15, v15, v16
	s_delay_alu instid0(VALU_DEP_2) | instskip(NEXT) | instid1(VALU_DEP_1)
	v_ashrrev_i32_e32 v16, 3, v17
	v_lshl_add_u32 v15, v16, 2, v15
	s_delay_alu instid0(VALU_DEP_1) | instskip(NEXT) | instid1(VALU_DEP_1)
	v_cmp_ne_u32_e64 s0, 3, v15
	v_cndmask_b32_e64 v7, 0xc61c4000, v7, s0
	v_cmp_ne_u32_e64 s0, 2, v15
	s_delay_alu instid0(VALU_DEP_1) | instskip(SKIP_1) | instid1(VALU_DEP_1)
	v_cndmask_b32_e64 v6, 0xc61c4000, v6, s0
	v_cmp_ne_u32_e64 s0, 1, v15
	v_cndmask_b32_e64 v5, 0xc61c4000, v5, s0
	v_cmp_ne_u32_e64 s0, 0, v15
	s_delay_alu instid0(VALU_DEP_1)
	v_cndmask_b32_e64 v4, 0xc61c4000, v4, s0
	s_branch .LBB30_8
.LBB30_19:
                                        ; implicit-def: $vgpr4_vgpr5_vgpr6_vgpr7
	s_and_not1_b32 vcc_lo, exec_lo, s8
	s_cbranch_vccz .LBB30_5
	s_branch .LBB30_6
.LBB30_20:
	v_mov_b32_e32 v12, 0
.LBB30_21:
	v_cmp_eq_u32_e64 s0, 0, v9
	s_delay_alu instid0(VALU_DEP_1) | instskip(NEXT) | instid1(SALU_CYCLE_1)
	s_and_b32 s0, s0, vcc_lo
	s_and_b32 exec_lo, exec_lo, s0
	s_cbranch_execz .LBB30_25
; %bb.22:
	s_and_not1_b32 vcc_lo, exec_lo, s3
	s_cbranch_vccnz .LBB30_25
; %bb.23:
	v_mul_lo_u32 v0, v8, s4
	v_cmp_lt_f32_e32 vcc_lo, 0, v12
	v_cndmask_b32_e32 v2, 1.0, v12, vcc_lo
	s_delay_alu instid0(VALU_DEP_3) | instskip(NEXT) | instid1(VALU_DEP_1)
	v_ashrrev_i32_e32 v1, 31, v0
	v_lshlrev_b64 v[0:1], 2, v[0:1]
	s_delay_alu instid0(VALU_DEP_1) | instskip(NEXT) | instid1(VALU_DEP_2)
	v_add_co_u32 v0, vcc_lo, s12, v0
	v_add_co_ci_u32_e32 v1, vcc_lo, s13, v1, vcc_lo
	.p2align	6
.LBB30_24:                              ; =>This Inner Loop Header: Depth=1
	global_load_b32 v3, v[0:1], off
	s_add_i32 s4, s4, -1
	s_delay_alu instid0(SALU_CYCLE_1) | instskip(SKIP_3) | instid1(VALU_DEP_2)
	s_cmp_lg_u32 s4, 0
	s_waitcnt vmcnt(0)
	v_div_scale_f32 v4, null, v2, v2, v3
	v_div_scale_f32 v7, vcc_lo, v3, v2, v3
	v_rcp_f32_e32 v5, v4
	s_waitcnt_depctr 0xfff
	v_fma_f32 v6, -v4, v5, 1.0
	s_delay_alu instid0(VALU_DEP_1) | instskip(NEXT) | instid1(VALU_DEP_1)
	v_fmac_f32_e32 v5, v6, v5
	v_mul_f32_e32 v6, v7, v5
	s_delay_alu instid0(VALU_DEP_1) | instskip(NEXT) | instid1(VALU_DEP_1)
	v_fma_f32 v8, -v4, v6, v7
	v_fmac_f32_e32 v6, v8, v5
	s_delay_alu instid0(VALU_DEP_1) | instskip(NEXT) | instid1(VALU_DEP_1)
	v_fma_f32 v4, -v4, v6, v7
	v_div_fmas_f32 v4, v4, v5, v6
	s_delay_alu instid0(VALU_DEP_1)
	v_div_fixup_f32 v3, v4, v2, v3
	global_store_b32 v[0:1], v3, off
	v_add_co_u32 v0, vcc_lo, v0, 4
	v_add_co_ci_u32_e32 v1, vcc_lo, 0, v1, vcc_lo
	s_cbranch_scc1 .LBB30_24
.LBB30_25:
	s_nop 0
	s_sendmsg sendmsg(MSG_DEALLOC_VGPRS)
	s_endpgm
	.section	.rodata,"a",@progbits
	.p2align	6, 0x0
	.amdhsa_kernel _ZN4vllm3moe10topkGatingILi4ELi8ELi4ELi16ELi64EjfLNS0_11ScoringFuncE0EEEvPKT5_PKbPfiPT4_PiiiibPKf
		.amdhsa_group_segment_fixed_size 0
		.amdhsa_private_segment_fixed_size 0
		.amdhsa_kernarg_size 72
		.amdhsa_user_sgpr_count 15
		.amdhsa_user_sgpr_dispatch_ptr 0
		.amdhsa_user_sgpr_queue_ptr 0
		.amdhsa_user_sgpr_kernarg_segment_ptr 1
		.amdhsa_user_sgpr_dispatch_id 0
		.amdhsa_user_sgpr_private_segment_size 0
		.amdhsa_wavefront_size32 1
		.amdhsa_uses_dynamic_stack 0
		.amdhsa_enable_private_segment 0
		.amdhsa_system_sgpr_workgroup_id_x 1
		.amdhsa_system_sgpr_workgroup_id_y 0
		.amdhsa_system_sgpr_workgroup_id_z 0
		.amdhsa_system_sgpr_workgroup_info 0
		.amdhsa_system_vgpr_workitem_id 1
		.amdhsa_next_free_vgpr 25
		.amdhsa_next_free_sgpr 18
		.amdhsa_reserve_vcc 1
		.amdhsa_float_round_mode_32 0
		.amdhsa_float_round_mode_16_64 0
		.amdhsa_float_denorm_mode_32 3
		.amdhsa_float_denorm_mode_16_64 3
		.amdhsa_dx10_clamp 1
		.amdhsa_ieee_mode 1
		.amdhsa_fp16_overflow 0
		.amdhsa_workgroup_processor_mode 1
		.amdhsa_memory_ordered 1
		.amdhsa_forward_progress 0
		.amdhsa_shared_vgpr_count 0
		.amdhsa_exception_fp_ieee_invalid_op 0
		.amdhsa_exception_fp_denorm_src 0
		.amdhsa_exception_fp_ieee_div_zero 0
		.amdhsa_exception_fp_ieee_overflow 0
		.amdhsa_exception_fp_ieee_underflow 0
		.amdhsa_exception_fp_ieee_inexact 0
		.amdhsa_exception_int_div_zero 0
	.end_amdhsa_kernel
	.section	.text._ZN4vllm3moe10topkGatingILi4ELi8ELi4ELi16ELi64EjfLNS0_11ScoringFuncE0EEEvPKT5_PKbPfiPT4_PiiiibPKf,"axG",@progbits,_ZN4vllm3moe10topkGatingILi4ELi8ELi4ELi16ELi64EjfLNS0_11ScoringFuncE0EEEvPKT5_PKbPfiPT4_PiiiibPKf,comdat
.Lfunc_end30:
	.size	_ZN4vllm3moe10topkGatingILi4ELi8ELi4ELi16ELi64EjfLNS0_11ScoringFuncE0EEEvPKT5_PKbPfiPT4_PiiiibPKf, .Lfunc_end30-_ZN4vllm3moe10topkGatingILi4ELi8ELi4ELi16ELi64EjfLNS0_11ScoringFuncE0EEEvPKT5_PKbPfiPT4_PiiiibPKf
                                        ; -- End function
	.section	.AMDGPU.csdata,"",@progbits
; Kernel info:
; codeLenInByte = 2008
; NumSgprs: 20
; NumVgprs: 25
; ScratchSize: 0
; MemoryBound: 0
; FloatMode: 240
; IeeeMode: 1
; LDSByteSize: 0 bytes/workgroup (compile time only)
; SGPRBlocks: 2
; VGPRBlocks: 3
; NumSGPRsForWavesPerEU: 20
; NumVGPRsForWavesPerEU: 25
; Occupancy: 16
; WaveLimiterHint : 0
; COMPUTE_PGM_RSRC2:SCRATCH_EN: 0
; COMPUTE_PGM_RSRC2:USER_SGPR: 15
; COMPUTE_PGM_RSRC2:TRAP_HANDLER: 0
; COMPUTE_PGM_RSRC2:TGID_X_EN: 1
; COMPUTE_PGM_RSRC2:TGID_Y_EN: 0
; COMPUTE_PGM_RSRC2:TGID_Z_EN: 0
; COMPUTE_PGM_RSRC2:TIDIG_COMP_CNT: 1
	.section	.text._ZN4vllm3moe10topkGatingILi4ELi8ELi4ELi16ELi32EjfLNS0_11ScoringFuncE0EEEvPKT5_PKbPfiPT4_PiiiibPKf,"axG",@progbits,_ZN4vllm3moe10topkGatingILi4ELi8ELi4ELi16ELi32EjfLNS0_11ScoringFuncE0EEEvPKT5_PKbPfiPT4_PiiiibPKf,comdat
	.protected	_ZN4vllm3moe10topkGatingILi4ELi8ELi4ELi16ELi32EjfLNS0_11ScoringFuncE0EEEvPKT5_PKbPfiPT4_PiiiibPKf ; -- Begin function _ZN4vllm3moe10topkGatingILi4ELi8ELi4ELi16ELi32EjfLNS0_11ScoringFuncE0EEEvPKT5_PKbPfiPT4_PiiiibPKf
	.globl	_ZN4vllm3moe10topkGatingILi4ELi8ELi4ELi16ELi32EjfLNS0_11ScoringFuncE0EEEvPKT5_PKbPfiPT4_PiiiibPKf
	.p2align	8
	.type	_ZN4vllm3moe10topkGatingILi4ELi8ELi4ELi16ELi32EjfLNS0_11ScoringFuncE0EEEvPKT5_PKbPfiPT4_PiiiibPKf,@function
_ZN4vllm3moe10topkGatingILi4ELi8ELi4ELi16ELi32EjfLNS0_11ScoringFuncE0EEEvPKT5_PKbPfiPT4_PiiiibPKf: ; @_ZN4vllm3moe10topkGatingILi4ELi8ELi4ELi16ELi32EjfLNS0_11ScoringFuncE0EEEvPKT5_PKbPfiPT4_PiiiibPKf
; %bb.0:
	s_load_b32 s14, s[0:1], 0x18
	v_bfe_u32 v1, v0, 10, 10
	v_and_b32_e32 v0, 0x3ff, v0
	s_lshl_b32 s2, s15, 6
	s_delay_alu instid0(VALU_DEP_2) | instskip(NEXT) | instid1(VALU_DEP_2)
	v_lshlrev_b32_e32 v1, 4, v1
	v_lshrrev_b32_e32 v2, 1, v0
	s_delay_alu instid0(VALU_DEP_1) | instskip(SKIP_2) | instid1(VALU_DEP_1)
	v_add3_u32 v8, s2, v1, v2
	s_mov_b32 s2, exec_lo
	s_waitcnt lgkmcnt(0)
	v_cmpx_gt_i32_e64 s14, v8
	s_cbranch_execz .LBB31_25
; %bb.1:
	s_clause 0x1
	s_load_b128 s[4:7], s[0:1], 0x0
	s_load_b64 s[12:13], s[0:1], 0x10
	s_mov_b32 s8, -1
	s_mov_b32 s15, -1
	s_waitcnt lgkmcnt(0)
	s_cmp_eq_u64 s[6:7], 0
	s_cbranch_scc1 .LBB31_3
; %bb.2:
	v_ashrrev_i32_e32 v2, 31, v8
	v_add_co_u32 v1, vcc_lo, s6, v8
	s_delay_alu instid0(VALU_DEP_2) | instskip(SKIP_3) | instid1(VALU_DEP_1)
	v_add_co_ci_u32_e32 v2, vcc_lo, s7, v2, vcc_lo
	global_load_u8 v1, v[1:2], off
	s_waitcnt vmcnt(0)
	v_and_b32_e32 v1, 1, v1
	v_cmp_eq_u32_e32 vcc_lo, 1, v1
	s_xor_b32 s2, vcc_lo, -1
	s_delay_alu instid0(SALU_CYCLE_1)
	s_or_not1_b32 s15, s2, exec_lo
.LBB31_3:
	v_mbcnt_lo_u32_b32 v4, -1, 0
	v_and_b32_e32 v9, 1, v0
	s_load_b64 s[2:3], s[0:1], 0x40
	s_delay_alu instid0(VALU_DEP_2) | instskip(SKIP_2) | instid1(VALU_DEP_2)
	v_xor_b32_e32 v6, 1, v4
	v_lshlrev_b32_e32 v1, 3, v8
	v_and_b32_e32 v5, 30, v4
	v_ashrrev_i32_e32 v2, 31, v1
	s_delay_alu instid0(VALU_DEP_1) | instskip(SKIP_3) | instid1(VALU_DEP_2)
	v_lshlrev_b64 v[0:1], 2, v[1:2]
	v_lshlrev_b32_e32 v2, 4, v9
	s_waitcnt lgkmcnt(0)
	s_cmp_eq_u64 s[2:3], 0
	v_add_co_u32 v0, vcc_lo, s4, v0
	s_delay_alu instid0(VALU_DEP_3) | instskip(NEXT) | instid1(VALU_DEP_2)
	v_add_co_ci_u32_e32 v1, vcc_lo, s5, v1, vcc_lo
	v_add_co_u32 v0, vcc_lo, v0, v2
	s_delay_alu instid0(VALU_DEP_2) | instskip(SKIP_3) | instid1(VALU_DEP_1)
	v_add_co_ci_u32_e32 v1, vcc_lo, 0, v1, vcc_lo
	global_load_b128 v[0:3], v[0:1], off
	s_waitcnt vmcnt(0)
	v_dual_max_f32 v10, v0, v0 :: v_dual_add_nc_u32 v5, 2, v5
	v_cmp_lt_i32_e32 vcc_lo, v6, v5
	v_dual_cndmask_b32 v4, v4, v6 :: v_dual_max_f32 v7, v1, v1
	s_delay_alu instid0(VALU_DEP_1) | instskip(NEXT) | instid1(VALU_DEP_1)
	v_dual_max_f32 v5, v10, v7 :: v_dual_lshlrev_b32 v10, 2, v4
	v_max3_f32 v4, v5, v2, v3
	ds_bpermute_b32 v5, v10, v4
	s_waitcnt lgkmcnt(0)
	v_max_f32_e32 v5, v5, v5
	s_delay_alu instid0(VALU_DEP_1) | instskip(NEXT) | instid1(VALU_DEP_1)
	v_max_f32_e32 v4, v4, v5
	v_sub_f32_e32 v0, v0, v4
	v_sub_f32_e32 v1, v1, v4
	;; [unrolled: 1-line block ×4, first 2 shown]
	s_delay_alu instid0(VALU_DEP_4) | instskip(SKIP_1) | instid1(VALU_DEP_2)
	v_mul_f32_e32 v4, 0x3fb8aa3b, v0
	v_cmp_ngt_f32_e32 vcc_lo, 0xc2ce8ed0, v0
	v_fma_f32 v11, 0x3fb8aa3b, v0, -v4
	v_rndne_f32_e32 v12, v4
	s_delay_alu instid0(VALU_DEP_2) | instskip(NEXT) | instid1(VALU_DEP_2)
	v_fmac_f32_e32 v11, 0x32a5705f, v0
	v_sub_f32_e32 v4, v4, v12
	s_delay_alu instid0(VALU_DEP_1) | instskip(SKIP_2) | instid1(VALU_DEP_3)
	v_dual_add_f32 v4, v4, v11 :: v_dual_mul_f32 v5, 0x3fb8aa3b, v1
	v_mul_f32_e32 v6, 0x3fb8aa3b, v2
	v_cvt_i32_f32_e32 v11, v12
	v_exp_f32_e32 v4, v4
	s_delay_alu instid0(VALU_DEP_3) | instskip(SKIP_3) | instid1(VALU_DEP_4)
	v_fma_f32 v13, 0x3fb8aa3b, v1, -v5
	v_rndne_f32_e32 v14, v5
	v_fma_f32 v15, 0x3fb8aa3b, v2, -v6
	v_rndne_f32_e32 v16, v6
	v_fmac_f32_e32 v13, 0x32a5705f, v1
	s_delay_alu instid0(VALU_DEP_4) | instskip(SKIP_1) | instid1(VALU_DEP_4)
	v_sub_f32_e32 v5, v5, v14
	v_cvt_i32_f32_e32 v12, v14
	v_sub_f32_e32 v6, v6, v16
	s_delay_alu instid0(TRANS32_DEP_1) | instskip(SKIP_3) | instid1(VALU_DEP_4)
	v_ldexp_f32 v4, v4, v11
	v_fmac_f32_e32 v15, 0x32a5705f, v2
	v_add_f32_e32 v5, v5, v13
	v_cvt_i32_f32_e32 v13, v16
	v_cndmask_b32_e32 v4, 0, v4, vcc_lo
	s_delay_alu instid0(VALU_DEP_4) | instskip(NEXT) | instid1(VALU_DEP_4)
	v_add_f32_e32 v6, v6, v15
	v_exp_f32_e32 v5, v5
	v_cmp_ngt_f32_e32 vcc_lo, 0xc2ce8ed0, v1
	v_mul_f32_e32 v7, 0x3fb8aa3b, v3
	s_delay_alu instid0(VALU_DEP_3) | instskip(NEXT) | instid1(VALU_DEP_1)
	v_exp_f32_e32 v6, v6
	v_rndne_f32_e32 v18, v7
	v_fma_f32 v17, 0x3fb8aa3b, v3, -v7
	s_waitcnt_depctr 0xfff
	v_ldexp_f32 v5, v5, v12
	v_cvt_i32_f32_e32 v14, v18
	v_ldexp_f32 v6, v6, v13
	s_delay_alu instid0(VALU_DEP_3) | instskip(SKIP_1) | instid1(VALU_DEP_3)
	v_cndmask_b32_e32 v5, 0, v5, vcc_lo
	v_cmp_ngt_f32_e32 vcc_lo, 0xc2ce8ed0, v2
	v_cndmask_b32_e32 v6, 0, v6, vcc_lo
	v_cmp_nlt_f32_e32 vcc_lo, 0x42b17218, v0
	v_dual_sub_f32 v7, v7, v18 :: v_dual_cndmask_b32 v0, 0x7f800000, v4
	v_cmp_nlt_f32_e32 vcc_lo, 0x42b17218, v1
	v_cndmask_b32_e32 v1, 0x7f800000, v5, vcc_lo
	v_cmp_ngt_f32_e32 vcc_lo, 0xc2ce8ed0, v3
	s_delay_alu instid0(VALU_DEP_2) | instskip(SKIP_1) | instid1(VALU_DEP_1)
	v_add_f32_e32 v5, v0, v1
	v_fmac_f32_e32 v17, 0x32a5705f, v3
	v_add_f32_e32 v7, v7, v17
	s_delay_alu instid0(VALU_DEP_1) | instskip(SKIP_2) | instid1(VALU_DEP_1)
	v_exp_f32_e32 v7, v7
	s_waitcnt_depctr 0xfff
	v_ldexp_f32 v7, v7, v14
	v_cndmask_b32_e32 v4, 0, v7, vcc_lo
	v_cmp_nlt_f32_e32 vcc_lo, 0x42b17218, v2
	v_cndmask_b32_e32 v2, 0x7f800000, v6, vcc_lo
	v_cmp_nlt_f32_e32 vcc_lo, 0x42b17218, v3
	s_delay_alu instid0(VALU_DEP_2) | instskip(NEXT) | instid1(VALU_DEP_1)
	v_dual_cndmask_b32 v3, 0x7f800000, v4 :: v_dual_add_f32 v4, v5, v2
	v_add_f32_e32 v4, v4, v3
	ds_bpermute_b32 v5, v10, v4
	s_waitcnt lgkmcnt(0)
	v_add_f32_e32 v4, v4, v5
	s_delay_alu instid0(VALU_DEP_1) | instskip(SKIP_1) | instid1(VALU_DEP_2)
	v_div_scale_f32 v5, null, v4, v4, 1.0
	v_div_scale_f32 v11, vcc_lo, 1.0, v4, 1.0
	v_rcp_f32_e32 v6, v5
	s_waitcnt_depctr 0xfff
	v_fma_f32 v7, -v5, v6, 1.0
	s_delay_alu instid0(VALU_DEP_1) | instskip(NEXT) | instid1(VALU_DEP_1)
	v_fmac_f32_e32 v6, v7, v6
	v_mul_f32_e32 v7, v11, v6
	s_delay_alu instid0(VALU_DEP_1) | instskip(NEXT) | instid1(VALU_DEP_1)
	v_fma_f32 v12, -v5, v7, v11
	v_fmac_f32_e32 v7, v12, v6
	s_delay_alu instid0(VALU_DEP_1) | instskip(NEXT) | instid1(VALU_DEP_1)
	v_fma_f32 v5, -v5, v7, v11
	v_div_fmas_f32 v5, v5, v6, v7
	s_delay_alu instid0(VALU_DEP_1) | instskip(NEXT) | instid1(VALU_DEP_1)
	v_div_fixup_f32 v4, v5, v4, 1.0
	v_dual_mul_f32 v2, v4, v2 :: v_dual_lshlrev_b32 v11, 2, v9
	v_mul_f32_e32 v0, v4, v0
	v_mul_f32_e32 v1, v4, v1
	;; [unrolled: 1-line block ×3, first 2 shown]
	s_delay_alu instid0(VALU_DEP_3) | instskip(SKIP_1) | instid1(VALU_DEP_4)
	v_cmp_class_f32_e64 vcc_lo, v0, 0x1f8
	v_cndmask_b32_e32 v0, 0, v0, vcc_lo
	v_cmp_class_f32_e64 vcc_lo, v1, 0x1f8
	v_cndmask_b32_e32 v1, 0, v1, vcc_lo
	;; [unrolled: 2-line block ×4, first 2 shown]
	s_cbranch_scc1 .LBB31_19
; %bb.4:
	v_lshlrev_b32_e32 v4, 2, v11
	global_load_b128 v[4:7], v4, s[2:3]
	s_waitcnt vmcnt(0)
	v_dual_add_f32 v5, v5, v1 :: v_dual_add_f32 v4, v4, v0
	v_dual_add_f32 v7, v7, v3 :: v_dual_add_f32 v6, v6, v2
	s_cbranch_execnz .LBB31_6
.LBB31_5:
	v_dual_mov_b32 v7, v3 :: v_dual_mov_b32 v6, v2
	v_dual_mov_b32 v5, v1 :: v_dual_mov_b32 v4, v0
.LBB31_6:
	s_load_b128 s[4:7], s[0:1], 0x30
	v_cmp_eq_u32_e64 s2, 0, v9
	s_waitcnt lgkmcnt(0)
	s_bitcmp1_b32 s7, 0
	s_mov_b32 s7, 0
	s_cselect_b32 vcc_lo, -1, 0
	s_cmp_gt_i32 s4, 0
	s_cselect_b32 s3, -1, 0
	s_cmp_lt_i32 s4, 1
	s_cbranch_scc1 .LBB31_20
; %bb.7:
	s_load_b128 s[8:11], s[0:1], 0x20
	v_mul_lo_u32 v13, v8, s4
	v_mov_b32_e32 v12, 0
	v_mov_b32_e32 v14, v8
	s_branch .LBB31_10
.LBB31_8:                               ;   in Loop: Header=BB31_10 Depth=1
	s_or_b32 exec_lo, exec_lo, s1
.LBB31_9:                               ;   in Loop: Header=BB31_10 Depth=1
	v_add_nc_u32_e32 v14, s14, v14
	s_cmp_eq_u32 s4, s7
	s_cbranch_scc1 .LBB31_21
.LBB31_10:                              ; =>This Inner Loop Header: Depth=1
	v_cmp_gt_f32_e64 s0, v5, v4
	s_mov_b32 s17, exec_lo
	s_delay_alu instid0(VALU_DEP_1) | instskip(SKIP_2) | instid1(VALU_DEP_3)
	v_cndmask_b32_e64 v15, v4, v5, s0
	v_cndmask_b32_e64 v16, 0, 1, s0
	;; [unrolled: 1-line block ×3, first 2 shown]
	v_cmp_gt_f32_e64 s1, v6, v15
	s_delay_alu instid0(VALU_DEP_1) | instskip(NEXT) | instid1(VALU_DEP_4)
	v_cndmask_b32_e64 v15, v15, v6, s1
	v_cndmask_b32_e64 v16, v16, 2, s1
	s_delay_alu instid0(VALU_DEP_4) | instskip(NEXT) | instid1(VALU_DEP_3)
	v_cndmask_b32_e64 v17, v17, v2, s1
	v_cmp_gt_f32_e64 s0, v7, v15
	s_delay_alu instid0(VALU_DEP_1) | instskip(NEXT) | instid1(VALU_DEP_4)
	v_cndmask_b32_e64 v19, v15, v7, s0
	v_cndmask_b32_e64 v15, v16, 3, s0
	s_delay_alu instid0(VALU_DEP_4)
	v_cndmask_b32_e64 v16, v17, v3, s0
	ds_bpermute_b32 v20, v10, v19
	v_or_b32_e32 v15, v11, v15
	ds_bpermute_b32 v18, v10, v16
	ds_bpermute_b32 v17, v10, v15
	s_waitcnt lgkmcnt(0)
	v_cmp_lt_f32_e64 s16, v19, v20
	v_cmpx_nlt_f32_e32 v19, v20
	s_cbranch_execnz .LBB31_14
; %bb.11:                               ;   in Loop: Header=BB31_10 Depth=1
	s_or_b32 exec_lo, exec_lo, s17
	s_delay_alu instid0(VALU_DEP_2)
	s_and_saveexec_b32 s0, s16
	s_cbranch_execnz .LBB31_15
.LBB31_12:                              ;   in Loop: Header=BB31_10 Depth=1
	s_or_b32 exec_lo, exec_lo, s0
	s_and_saveexec_b32 s16, s2
	s_cbranch_execnz .LBB31_16
.LBB31_13:                              ;   in Loop: Header=BB31_10 Depth=1
	s_or_b32 exec_lo, exec_lo, s16
	s_add_i32 s7, s7, 1
	s_delay_alu instid0(SALU_CYCLE_1)
	s_cmp_ge_i32 s7, s4
	s_cbranch_scc1 .LBB31_9
	s_branch .LBB31_17
.LBB31_14:                              ;   in Loop: Header=BB31_10 Depth=1
	v_cmp_eq_f32_e64 s0, v19, v20
	v_cmp_lt_i32_e64 s1, v17, v15
	s_delay_alu instid0(VALU_DEP_1) | instskip(SKIP_2) | instid1(SALU_CYCLE_1)
	s_and_b32 s0, s0, s1
	s_and_not1_b32 s1, s16, exec_lo
	s_and_b32 s0, s0, exec_lo
	s_or_b32 s16, s1, s0
	s_or_b32 exec_lo, exec_lo, s17
	s_and_saveexec_b32 s0, s16
	s_cbranch_execz .LBB31_12
.LBB31_15:                              ;   in Loop: Header=BB31_10 Depth=1
	v_dual_mov_b32 v16, v18 :: v_dual_mov_b32 v15, v17
	s_or_b32 exec_lo, exec_lo, s0
	s_and_saveexec_b32 s16, s2
	s_cbranch_execz .LBB31_13
.LBB31_16:                              ;   in Loop: Header=BB31_10 Depth=1
	s_delay_alu instid0(VALU_DEP_1) | instskip(SKIP_3) | instid1(VALU_DEP_4)
	v_dual_add_f32 v24, v12, v16 :: v_dual_add_nc_u32 v17, s7, v13
	v_cmp_le_i32_e64 s0, s5, v15
	v_cmp_gt_i32_e64 s1, s6, v15
	v_subrev_nc_u32_e32 v19, s5, v15
	v_ashrrev_i32_e32 v18, 31, v17
	v_cndmask_b32_e32 v12, v12, v24, vcc_lo
	s_delay_alu instid0(VALU_DEP_4) | instskip(NEXT) | instid1(SALU_CYCLE_1)
	s_and_b32 s0, s0, s1
	s_and_b32 s0, s15, s0
	s_delay_alu instid0(VALU_DEP_2) | instskip(SKIP_1) | instid1(VALU_DEP_2)
	v_lshlrev_b64 v[17:18], 2, v[17:18]
	v_cndmask_b32_e64 v23, 8, v19, s0
	v_add_co_u32 v19, s0, s12, v17
	s_delay_alu instid0(VALU_DEP_1) | instskip(SKIP_1) | instid1(VALU_DEP_1)
	v_add_co_ci_u32_e64 v20, s0, s13, v18, s0
	v_add_co_u32 v21, s0, s8, v17
	v_add_co_ci_u32_e64 v22, s0, s9, v18, s0
	v_add_co_u32 v17, s0, s10, v17
	s_delay_alu instid0(VALU_DEP_1)
	v_add_co_ci_u32_e64 v18, s0, s11, v18, s0
	global_store_b32 v[19:20], v16, off
	global_store_b32 v[21:22], v23, off
	;; [unrolled: 1-line block ×3, first 2 shown]
	s_or_b32 exec_lo, exec_lo, s16
	s_add_i32 s7, s7, 1
	s_delay_alu instid0(SALU_CYCLE_1)
	s_cmp_ge_i32 s7, s4
	s_cbranch_scc1 .LBB31_9
.LBB31_17:                              ;   in Loop: Header=BB31_10 Depth=1
	v_ashrrev_i32_e32 v17, 31, v15
	s_mov_b32 s1, exec_lo
	s_delay_alu instid0(VALU_DEP_1) | instskip(NEXT) | instid1(VALU_DEP_1)
	v_lshrrev_b32_e32 v16, 30, v17
	v_add_nc_u32_e32 v18, v15, v16
	s_delay_alu instid0(VALU_DEP_1) | instskip(SKIP_1) | instid1(VALU_DEP_1)
	v_ashrrev_i32_e32 v16, 2, v18
	v_lshrrev_b32_e32 v18, 31, v18
	v_add_nc_u32_e32 v18, v16, v18
	s_delay_alu instid0(VALU_DEP_1) | instskip(NEXT) | instid1(VALU_DEP_1)
	v_and_b32_e32 v18, -2, v18
	v_sub_nc_u32_e32 v18, v16, v18
	s_delay_alu instid0(VALU_DEP_1)
	v_cmpx_eq_u32_e64 v9, v18
	s_cbranch_execz .LBB31_8
; %bb.18:                               ;   in Loop: Header=BB31_10 Depth=1
	v_lshrrev_b32_e32 v17, 29, v17
	v_lshlrev_b32_e32 v16, 2, v16
	s_delay_alu instid0(VALU_DEP_2) | instskip(NEXT) | instid1(VALU_DEP_2)
	v_add_nc_u32_e32 v17, v15, v17
	v_sub_nc_u32_e32 v15, v15, v16
	s_delay_alu instid0(VALU_DEP_2) | instskip(NEXT) | instid1(VALU_DEP_1)
	v_ashrrev_i32_e32 v16, 3, v17
	v_lshl_add_u32 v15, v16, 2, v15
	s_delay_alu instid0(VALU_DEP_1) | instskip(NEXT) | instid1(VALU_DEP_1)
	v_cmp_ne_u32_e64 s0, 3, v15
	v_cndmask_b32_e64 v7, 0xc61c4000, v7, s0
	v_cmp_ne_u32_e64 s0, 2, v15
	s_delay_alu instid0(VALU_DEP_1) | instskip(SKIP_1) | instid1(VALU_DEP_1)
	v_cndmask_b32_e64 v6, 0xc61c4000, v6, s0
	v_cmp_ne_u32_e64 s0, 1, v15
	v_cndmask_b32_e64 v5, 0xc61c4000, v5, s0
	v_cmp_ne_u32_e64 s0, 0, v15
	s_delay_alu instid0(VALU_DEP_1)
	v_cndmask_b32_e64 v4, 0xc61c4000, v4, s0
	s_branch .LBB31_8
.LBB31_19:
                                        ; implicit-def: $vgpr4_vgpr5_vgpr6_vgpr7
	s_and_not1_b32 vcc_lo, exec_lo, s8
	s_cbranch_vccz .LBB31_5
	s_branch .LBB31_6
.LBB31_20:
	v_mov_b32_e32 v12, 0
.LBB31_21:
	v_cmp_eq_u32_e64 s0, 0, v9
	s_delay_alu instid0(VALU_DEP_1) | instskip(NEXT) | instid1(SALU_CYCLE_1)
	s_and_b32 s0, s0, vcc_lo
	s_and_b32 exec_lo, exec_lo, s0
	s_cbranch_execz .LBB31_25
; %bb.22:
	s_and_not1_b32 vcc_lo, exec_lo, s3
	s_cbranch_vccnz .LBB31_25
; %bb.23:
	v_mul_lo_u32 v0, v8, s4
	v_cmp_lt_f32_e32 vcc_lo, 0, v12
	v_cndmask_b32_e32 v2, 1.0, v12, vcc_lo
	s_delay_alu instid0(VALU_DEP_3) | instskip(NEXT) | instid1(VALU_DEP_1)
	v_ashrrev_i32_e32 v1, 31, v0
	v_lshlrev_b64 v[0:1], 2, v[0:1]
	s_delay_alu instid0(VALU_DEP_1) | instskip(NEXT) | instid1(VALU_DEP_2)
	v_add_co_u32 v0, vcc_lo, s12, v0
	v_add_co_ci_u32_e32 v1, vcc_lo, s13, v1, vcc_lo
	.p2align	6
.LBB31_24:                              ; =>This Inner Loop Header: Depth=1
	global_load_b32 v3, v[0:1], off
	s_add_i32 s4, s4, -1
	s_delay_alu instid0(SALU_CYCLE_1) | instskip(SKIP_3) | instid1(VALU_DEP_2)
	s_cmp_lg_u32 s4, 0
	s_waitcnt vmcnt(0)
	v_div_scale_f32 v4, null, v2, v2, v3
	v_div_scale_f32 v7, vcc_lo, v3, v2, v3
	v_rcp_f32_e32 v5, v4
	s_waitcnt_depctr 0xfff
	v_fma_f32 v6, -v4, v5, 1.0
	s_delay_alu instid0(VALU_DEP_1) | instskip(NEXT) | instid1(VALU_DEP_1)
	v_fmac_f32_e32 v5, v6, v5
	v_mul_f32_e32 v6, v7, v5
	s_delay_alu instid0(VALU_DEP_1) | instskip(NEXT) | instid1(VALU_DEP_1)
	v_fma_f32 v8, -v4, v6, v7
	v_fmac_f32_e32 v6, v8, v5
	s_delay_alu instid0(VALU_DEP_1) | instskip(NEXT) | instid1(VALU_DEP_1)
	v_fma_f32 v4, -v4, v6, v7
	v_div_fmas_f32 v4, v4, v5, v6
	s_delay_alu instid0(VALU_DEP_1)
	v_div_fixup_f32 v3, v4, v2, v3
	global_store_b32 v[0:1], v3, off
	v_add_co_u32 v0, vcc_lo, v0, 4
	v_add_co_ci_u32_e32 v1, vcc_lo, 0, v1, vcc_lo
	s_cbranch_scc1 .LBB31_24
.LBB31_25:
	s_nop 0
	s_sendmsg sendmsg(MSG_DEALLOC_VGPRS)
	s_endpgm
	.section	.rodata,"a",@progbits
	.p2align	6, 0x0
	.amdhsa_kernel _ZN4vllm3moe10topkGatingILi4ELi8ELi4ELi16ELi32EjfLNS0_11ScoringFuncE0EEEvPKT5_PKbPfiPT4_PiiiibPKf
		.amdhsa_group_segment_fixed_size 0
		.amdhsa_private_segment_fixed_size 0
		.amdhsa_kernarg_size 72
		.amdhsa_user_sgpr_count 15
		.amdhsa_user_sgpr_dispatch_ptr 0
		.amdhsa_user_sgpr_queue_ptr 0
		.amdhsa_user_sgpr_kernarg_segment_ptr 1
		.amdhsa_user_sgpr_dispatch_id 0
		.amdhsa_user_sgpr_private_segment_size 0
		.amdhsa_wavefront_size32 1
		.amdhsa_uses_dynamic_stack 0
		.amdhsa_enable_private_segment 0
		.amdhsa_system_sgpr_workgroup_id_x 1
		.amdhsa_system_sgpr_workgroup_id_y 0
		.amdhsa_system_sgpr_workgroup_id_z 0
		.amdhsa_system_sgpr_workgroup_info 0
		.amdhsa_system_vgpr_workitem_id 1
		.amdhsa_next_free_vgpr 25
		.amdhsa_next_free_sgpr 18
		.amdhsa_reserve_vcc 1
		.amdhsa_float_round_mode_32 0
		.amdhsa_float_round_mode_16_64 0
		.amdhsa_float_denorm_mode_32 3
		.amdhsa_float_denorm_mode_16_64 3
		.amdhsa_dx10_clamp 1
		.amdhsa_ieee_mode 1
		.amdhsa_fp16_overflow 0
		.amdhsa_workgroup_processor_mode 1
		.amdhsa_memory_ordered 1
		.amdhsa_forward_progress 0
		.amdhsa_shared_vgpr_count 0
		.amdhsa_exception_fp_ieee_invalid_op 0
		.amdhsa_exception_fp_denorm_src 0
		.amdhsa_exception_fp_ieee_div_zero 0
		.amdhsa_exception_fp_ieee_overflow 0
		.amdhsa_exception_fp_ieee_underflow 0
		.amdhsa_exception_fp_ieee_inexact 0
		.amdhsa_exception_int_div_zero 0
	.end_amdhsa_kernel
	.section	.text._ZN4vllm3moe10topkGatingILi4ELi8ELi4ELi16ELi32EjfLNS0_11ScoringFuncE0EEEvPKT5_PKbPfiPT4_PiiiibPKf,"axG",@progbits,_ZN4vllm3moe10topkGatingILi4ELi8ELi4ELi16ELi32EjfLNS0_11ScoringFuncE0EEEvPKT5_PKbPfiPT4_PiiiibPKf,comdat
.Lfunc_end31:
	.size	_ZN4vllm3moe10topkGatingILi4ELi8ELi4ELi16ELi32EjfLNS0_11ScoringFuncE0EEEvPKT5_PKbPfiPT4_PiiiibPKf, .Lfunc_end31-_ZN4vllm3moe10topkGatingILi4ELi8ELi4ELi16ELi32EjfLNS0_11ScoringFuncE0EEEvPKT5_PKbPfiPT4_PiiiibPKf
                                        ; -- End function
	.section	.AMDGPU.csdata,"",@progbits
; Kernel info:
; codeLenInByte = 2008
; NumSgprs: 20
; NumVgprs: 25
; ScratchSize: 0
; MemoryBound: 0
; FloatMode: 240
; IeeeMode: 1
; LDSByteSize: 0 bytes/workgroup (compile time only)
; SGPRBlocks: 2
; VGPRBlocks: 3
; NumSGPRsForWavesPerEU: 20
; NumVGPRsForWavesPerEU: 25
; Occupancy: 16
; WaveLimiterHint : 0
; COMPUTE_PGM_RSRC2:SCRATCH_EN: 0
; COMPUTE_PGM_RSRC2:USER_SGPR: 15
; COMPUTE_PGM_RSRC2:TRAP_HANDLER: 0
; COMPUTE_PGM_RSRC2:TGID_X_EN: 1
; COMPUTE_PGM_RSRC2:TGID_Y_EN: 0
; COMPUTE_PGM_RSRC2:TGID_Z_EN: 0
; COMPUTE_PGM_RSRC2:TIDIG_COMP_CNT: 1
	.section	.text._ZN4vllm3moe10topkGatingILi4ELi16ELi4ELi16ELi64EjfLNS0_11ScoringFuncE0EEEvPKT5_PKbPfiPT4_PiiiibPKf,"axG",@progbits,_ZN4vllm3moe10topkGatingILi4ELi16ELi4ELi16ELi64EjfLNS0_11ScoringFuncE0EEEvPKT5_PKbPfiPT4_PiiiibPKf,comdat
	.protected	_ZN4vllm3moe10topkGatingILi4ELi16ELi4ELi16ELi64EjfLNS0_11ScoringFuncE0EEEvPKT5_PKbPfiPT4_PiiiibPKf ; -- Begin function _ZN4vllm3moe10topkGatingILi4ELi16ELi4ELi16ELi64EjfLNS0_11ScoringFuncE0EEEvPKT5_PKbPfiPT4_PiiiibPKf
	.globl	_ZN4vllm3moe10topkGatingILi4ELi16ELi4ELi16ELi64EjfLNS0_11ScoringFuncE0EEEvPKT5_PKbPfiPT4_PiiiibPKf
	.p2align	8
	.type	_ZN4vllm3moe10topkGatingILi4ELi16ELi4ELi16ELi64EjfLNS0_11ScoringFuncE0EEEvPKT5_PKbPfiPT4_PiiiibPKf,@function
_ZN4vllm3moe10topkGatingILi4ELi16ELi4ELi16ELi64EjfLNS0_11ScoringFuncE0EEEvPKT5_PKbPfiPT4_PiiiibPKf: ; @_ZN4vllm3moe10topkGatingILi4ELi16ELi4ELi16ELi64EjfLNS0_11ScoringFuncE0EEEvPKT5_PKbPfiPT4_PiiiibPKf
; %bb.0:
	s_load_b32 s14, s[0:1], 0x18
	v_bfe_u32 v1, v0, 10, 10
	v_and_b32_e32 v0, 0x3ff, v0
	s_lshl_b32 s2, s15, 6
	s_delay_alu instid0(VALU_DEP_2) | instskip(NEXT) | instid1(VALU_DEP_2)
	v_lshlrev_b32_e32 v1, 4, v1
	v_lshrrev_b32_e32 v2, 2, v0
	s_delay_alu instid0(VALU_DEP_1) | instskip(SKIP_2) | instid1(VALU_DEP_1)
	v_add3_u32 v8, s2, v1, v2
	s_mov_b32 s2, exec_lo
	s_waitcnt lgkmcnt(0)
	v_cmpx_gt_i32_e64 s14, v8
	s_cbranch_execz .LBB32_29
; %bb.1:
	s_clause 0x1
	s_load_b128 s[4:7], s[0:1], 0x0
	s_load_b64 s[12:13], s[0:1], 0x10
	s_mov_b32 s8, -1
	s_mov_b32 s15, -1
	s_waitcnt lgkmcnt(0)
	s_cmp_eq_u64 s[6:7], 0
	s_cbranch_scc1 .LBB32_3
; %bb.2:
	v_ashrrev_i32_e32 v2, 31, v8
	v_add_co_u32 v1, vcc_lo, s6, v8
	s_delay_alu instid0(VALU_DEP_2) | instskip(SKIP_3) | instid1(VALU_DEP_1)
	v_add_co_ci_u32_e32 v2, vcc_lo, s7, v2, vcc_lo
	global_load_u8 v1, v[1:2], off
	s_waitcnt vmcnt(0)
	v_and_b32_e32 v1, 1, v1
	v_cmp_eq_u32_e32 vcc_lo, 1, v1
	s_xor_b32 s2, vcc_lo, -1
	s_delay_alu instid0(SALU_CYCLE_1)
	s_or_not1_b32 s15, s2, exec_lo
.LBB32_3:
	v_mbcnt_lo_u32_b32 v4, -1, 0
	s_load_b64 s[2:3], s[0:1], 0x40
	s_delay_alu instid0(VALU_DEP_1) | instskip(SKIP_4) | instid1(VALU_DEP_4)
	v_xor_b32_e32 v6, 2, v4
	v_lshlrev_b32_e32 v1, 4, v8
	v_xor_b32_e32 v11, 1, v4
	v_and_b32_e32 v9, 3, v0
	v_and_b32_e32 v5, 28, v4
	v_ashrrev_i32_e32 v2, 31, v1
	s_delay_alu instid0(VALU_DEP_1) | instskip(NEXT) | instid1(VALU_DEP_4)
	v_lshlrev_b64 v[0:1], 2, v[1:2]
	v_lshlrev_b32_e32 v2, 4, v9
	s_waitcnt lgkmcnt(0)
	s_cmp_eq_u64 s[2:3], 0
	s_delay_alu instid0(VALU_DEP_2) | instskip(NEXT) | instid1(VALU_DEP_3)
	v_add_co_u32 v0, vcc_lo, s4, v0
	v_add_co_ci_u32_e32 v1, vcc_lo, s5, v1, vcc_lo
	s_delay_alu instid0(VALU_DEP_2) | instskip(NEXT) | instid1(VALU_DEP_2)
	v_add_co_u32 v0, vcc_lo, v0, v2
	v_add_co_ci_u32_e32 v1, vcc_lo, 0, v1, vcc_lo
	global_load_b128 v[0:3], v[0:1], off
	s_waitcnt vmcnt(0)
	v_dual_max_f32 v10, v0, v0 :: v_dual_add_nc_u32 v5, 4, v5
	s_delay_alu instid0(VALU_DEP_1) | instskip(SKIP_2) | instid1(VALU_DEP_2)
	v_cmp_lt_i32_e32 vcc_lo, v6, v5
	v_dual_cndmask_b32 v6, v4, v6 :: v_dual_max_f32 v7, v1, v1
	v_cmp_lt_i32_e32 vcc_lo, v11, v5
	v_dual_max_f32 v7, v10, v7 :: v_dual_lshlrev_b32 v10, 2, v6
	v_cndmask_b32_e32 v4, v4, v11, vcc_lo
	s_delay_alu instid0(VALU_DEP_2) | instskip(SKIP_3) | instid1(VALU_DEP_1)
	v_max3_f32 v6, v7, v2, v3
	ds_bpermute_b32 v7, v10, v6
	s_waitcnt lgkmcnt(0)
	v_max_f32_e32 v5, v7, v7
	v_dual_max_f32 v4, v6, v5 :: v_dual_lshlrev_b32 v11, 2, v4
	ds_bpermute_b32 v5, v11, v4
	s_waitcnt lgkmcnt(0)
	v_max_f32_e32 v5, v5, v5
	s_delay_alu instid0(VALU_DEP_1) | instskip(NEXT) | instid1(VALU_DEP_1)
	v_max_f32_e32 v4, v4, v5
	v_sub_f32_e32 v3, v3, v4
	s_delay_alu instid0(VALU_DEP_1) | instskip(SKIP_2) | instid1(VALU_DEP_3)
	v_dual_mul_f32 v7, 0x3fb8aa3b, v3 :: v_dual_sub_f32 v0, v0, v4
	v_sub_f32_e32 v1, v1, v4
	v_sub_f32_e32 v2, v2, v4
	v_rndne_f32_e32 v19, v7
	s_delay_alu instid0(VALU_DEP_4) | instskip(SKIP_1) | instid1(VALU_DEP_4)
	v_mul_f32_e32 v4, 0x3fb8aa3b, v0
	v_cmp_ngt_f32_e32 vcc_lo, 0xc2ce8ed0, v0
	v_mul_f32_e32 v6, 0x3fb8aa3b, v2
	s_delay_alu instid0(VALU_DEP_3) | instskip(SKIP_1) | instid1(VALU_DEP_3)
	v_rndne_f32_e32 v13, v4
	v_fma_f32 v12, 0x3fb8aa3b, v0, -v4
	v_fma_f32 v16, 0x3fb8aa3b, v2, -v6
	v_rndne_f32_e32 v17, v6
	s_delay_alu instid0(VALU_DEP_4) | instskip(SKIP_1) | instid1(VALU_DEP_4)
	v_sub_f32_e32 v4, v4, v13
	v_mul_f32_e32 v5, 0x3fb8aa3b, v1
	v_fmac_f32_e32 v16, 0x32a5705f, v2
	s_delay_alu instid0(VALU_DEP_2) | instskip(SKIP_2) | instid1(VALU_DEP_2)
	v_fma_f32 v14, 0x3fb8aa3b, v1, -v5
	v_rndne_f32_e32 v15, v5
	v_fmac_f32_e32 v12, 0x32a5705f, v0
	v_dual_fmac_f32 v14, 0x32a5705f, v1 :: v_dual_sub_f32 v5, v5, v15
	v_fma_f32 v18, 0x3fb8aa3b, v3, -v7
	s_delay_alu instid0(VALU_DEP_3) | instskip(NEXT) | instid1(VALU_DEP_3)
	v_dual_sub_f32 v7, v7, v19 :: v_dual_add_f32 v4, v4, v12
	v_dual_sub_f32 v6, v6, v17 :: v_dual_add_f32 v5, v5, v14
	v_cvt_i32_f32_e32 v12, v13
	v_cvt_i32_f32_e32 v13, v15
	s_delay_alu instid0(VALU_DEP_4)
	v_exp_f32_e32 v4, v4
	v_cvt_i32_f32_e32 v14, v17
	v_exp_f32_e32 v5, v5
	v_cvt_i32_f32_e32 v15, v19
	s_waitcnt_depctr 0xfff
	v_ldexp_f32 v4, v4, v12
	v_ldexp_f32 v5, v5, v13
	s_delay_alu instid0(VALU_DEP_2) | instskip(SKIP_1) | instid1(VALU_DEP_3)
	v_cndmask_b32_e32 v4, 0, v4, vcc_lo
	v_cmp_ngt_f32_e32 vcc_lo, 0xc2ce8ed0, v1
	v_dual_fmac_f32 v18, 0x32a5705f, v3 :: v_dual_cndmask_b32 v5, 0, v5
	s_delay_alu instid0(VALU_DEP_1) | instskip(SKIP_1) | instid1(VALU_DEP_2)
	v_dual_add_f32 v6, v6, v16 :: v_dual_add_f32 v7, v7, v18
	v_cmp_ngt_f32_e32 vcc_lo, 0xc2ce8ed0, v2
	v_exp_f32_e32 v6, v6
	s_delay_alu instid0(VALU_DEP_2) | instskip(SKIP_3) | instid1(VALU_DEP_2)
	v_exp_f32_e32 v7, v7
	s_waitcnt_depctr 0xfff
	v_ldexp_f32 v6, v6, v14
	v_ldexp_f32 v7, v7, v15
	v_cndmask_b32_e32 v6, 0, v6, vcc_lo
	v_cmp_nlt_f32_e32 vcc_lo, 0x42b17218, v0
	v_cndmask_b32_e32 v0, 0x7f800000, v4, vcc_lo
	v_cmp_nlt_f32_e32 vcc_lo, 0x42b17218, v1
	v_cndmask_b32_e32 v1, 0x7f800000, v5, vcc_lo
	v_cmp_ngt_f32_e32 vcc_lo, 0xc2ce8ed0, v3
	s_delay_alu instid0(VALU_DEP_2) | instskip(SKIP_3) | instid1(VALU_DEP_2)
	v_dual_add_f32 v5, v0, v1 :: v_dual_cndmask_b32 v4, 0, v7
	v_cmp_nlt_f32_e32 vcc_lo, 0x42b17218, v2
	v_cndmask_b32_e32 v2, 0x7f800000, v6, vcc_lo
	v_cmp_nlt_f32_e32 vcc_lo, 0x42b17218, v3
	v_dual_cndmask_b32 v3, 0x7f800000, v4 :: v_dual_add_f32 v4, v5, v2
	s_delay_alu instid0(VALU_DEP_1)
	v_add_f32_e32 v4, v4, v3
	ds_bpermute_b32 v5, v10, v4
	s_waitcnt lgkmcnt(0)
	v_add_f32_e32 v4, v4, v5
	ds_bpermute_b32 v5, v11, v4
	s_waitcnt lgkmcnt(0)
	v_add_f32_e32 v4, v4, v5
	s_delay_alu instid0(VALU_DEP_1) | instskip(SKIP_1) | instid1(VALU_DEP_2)
	v_div_scale_f32 v5, null, v4, v4, 1.0
	v_div_scale_f32 v12, vcc_lo, 1.0, v4, 1.0
	v_rcp_f32_e32 v6, v5
	s_waitcnt_depctr 0xfff
	v_fma_f32 v7, -v5, v6, 1.0
	s_delay_alu instid0(VALU_DEP_1) | instskip(NEXT) | instid1(VALU_DEP_1)
	v_fmac_f32_e32 v6, v7, v6
	v_mul_f32_e32 v7, v12, v6
	s_delay_alu instid0(VALU_DEP_1) | instskip(NEXT) | instid1(VALU_DEP_1)
	v_fma_f32 v13, -v5, v7, v12
	v_fmac_f32_e32 v7, v13, v6
	s_delay_alu instid0(VALU_DEP_1) | instskip(SKIP_1) | instid1(VALU_DEP_2)
	v_fma_f32 v5, -v5, v7, v12
	v_lshlrev_b32_e32 v12, 2, v9
	v_div_fmas_f32 v5, v5, v6, v7
	s_delay_alu instid0(VALU_DEP_1) | instskip(NEXT) | instid1(VALU_DEP_1)
	v_div_fixup_f32 v4, v5, v4, 1.0
	v_mul_f32_e32 v0, v4, v0
	v_mul_f32_e32 v1, v4, v1
	v_mul_f32_e32 v3, v4, v3
	v_mul_f32_e32 v2, v4, v2
	s_delay_alu instid0(VALU_DEP_4)
	v_cmp_class_f32_e64 vcc_lo, v0, 0x1f8
	v_cndmask_b32_e32 v0, 0, v0, vcc_lo
	v_cmp_class_f32_e64 vcc_lo, v1, 0x1f8
	v_cndmask_b32_e32 v1, 0, v1, vcc_lo
	;; [unrolled: 2-line block ×4, first 2 shown]
	s_cbranch_scc1 .LBB32_23
; %bb.4:
	v_lshlrev_b32_e32 v4, 2, v12
	global_load_b128 v[4:7], v4, s[2:3]
	s_waitcnt vmcnt(0)
	v_dual_add_f32 v5, v5, v1 :: v_dual_add_f32 v4, v4, v0
	v_dual_add_f32 v7, v7, v3 :: v_dual_add_f32 v6, v6, v2
	s_cbranch_execnz .LBB32_6
.LBB32_5:
	v_dual_mov_b32 v7, v3 :: v_dual_mov_b32 v6, v2
	v_dual_mov_b32 v5, v1 :: v_dual_mov_b32 v4, v0
.LBB32_6:
	s_load_b128 s[4:7], s[0:1], 0x30
	v_cmp_eq_u32_e64 s2, 0, v9
	s_waitcnt lgkmcnt(0)
	s_bitcmp1_b32 s7, 0
	s_mov_b32 s7, 0
	s_cselect_b32 vcc_lo, -1, 0
	s_cmp_gt_i32 s4, 0
	s_cselect_b32 s3, -1, 0
	s_cmp_lt_i32 s4, 1
	s_cbranch_scc1 .LBB32_24
; %bb.7:
	s_load_b128 s[8:11], s[0:1], 0x20
	v_mul_lo_u32 v14, v8, s4
	v_mov_b32_e32 v13, 0
	v_mov_b32_e32 v15, v8
	s_branch .LBB32_10
.LBB32_8:                               ;   in Loop: Header=BB32_10 Depth=1
	s_or_b32 exec_lo, exec_lo, s1
.LBB32_9:                               ;   in Loop: Header=BB32_10 Depth=1
	v_add_nc_u32_e32 v15, s14, v15
	s_cmp_eq_u32 s4, s7
	s_cbranch_scc1 .LBB32_25
.LBB32_10:                              ; =>This Inner Loop Header: Depth=1
	v_cmp_gt_f32_e64 s0, v5, v4
	s_mov_b32 s17, exec_lo
	s_delay_alu instid0(VALU_DEP_1) | instskip(SKIP_2) | instid1(VALU_DEP_3)
	v_cndmask_b32_e64 v16, v4, v5, s0
	v_cndmask_b32_e64 v17, 0, 1, s0
	;; [unrolled: 1-line block ×3, first 2 shown]
	v_cmp_gt_f32_e64 s1, v6, v16
	s_delay_alu instid0(VALU_DEP_1) | instskip(NEXT) | instid1(VALU_DEP_4)
	v_cndmask_b32_e64 v16, v16, v6, s1
	v_cndmask_b32_e64 v17, v17, 2, s1
	s_waitcnt lgkmcnt(0)
	v_cndmask_b32_e64 v19, v18, v2, s1
	s_delay_alu instid0(VALU_DEP_3) | instskip(NEXT) | instid1(VALU_DEP_1)
	v_cmp_gt_f32_e64 s0, v7, v16
	v_cndmask_b32_e64 v18, v16, v7, s0
	v_cndmask_b32_e64 v16, v17, 3, s0
	s_delay_alu instid0(VALU_DEP_4)
	v_cndmask_b32_e64 v17, v19, v3, s0
	ds_bpermute_b32 v19, v10, v18
	v_or_b32_e32 v16, v12, v16
	ds_bpermute_b32 v21, v10, v17
	ds_bpermute_b32 v20, v10, v16
	s_waitcnt lgkmcnt(0)
	v_cmp_lt_f32_e64 s16, v18, v19
	v_cmpx_nlt_f32_e32 v18, v19
; %bb.11:                               ;   in Loop: Header=BB32_10 Depth=1
	v_cmp_eq_f32_e64 s0, v18, v19
	v_cmp_lt_i32_e64 s1, v20, v16
	s_delay_alu instid0(VALU_DEP_1) | instskip(SKIP_2) | instid1(SALU_CYCLE_1)
	s_and_b32 s0, s0, s1
	s_and_not1_b32 s1, s16, exec_lo
	s_and_b32 s0, s0, exec_lo
	s_or_b32 s16, s1, s0
; %bb.12:                               ;   in Loop: Header=BB32_10 Depth=1
	s_or_b32 exec_lo, exec_lo, s17
	s_and_saveexec_b32 s0, s16
; %bb.13:                               ;   in Loop: Header=BB32_10 Depth=1
	v_dual_mov_b32 v17, v21 :: v_dual_mov_b32 v18, v19
	v_mov_b32_e32 v16, v20
; %bb.14:                               ;   in Loop: Header=BB32_10 Depth=1
	s_or_b32 exec_lo, exec_lo, s0
	ds_bpermute_b32 v21, v11, v18
	ds_bpermute_b32 v20, v11, v17
	;; [unrolled: 1-line block ×3, first 2 shown]
	s_mov_b32 s17, exec_lo
	s_waitcnt lgkmcnt(2)
	v_cmp_lt_f32_e64 s16, v18, v21
	v_cmpx_nlt_f32_e32 v18, v21
	s_cbranch_execnz .LBB32_18
; %bb.15:                               ;   in Loop: Header=BB32_10 Depth=1
	s_or_b32 exec_lo, exec_lo, s17
	s_delay_alu instid0(VALU_DEP_2)
	s_and_saveexec_b32 s0, s16
	s_cbranch_execnz .LBB32_19
.LBB32_16:                              ;   in Loop: Header=BB32_10 Depth=1
	s_or_b32 exec_lo, exec_lo, s0
	s_and_saveexec_b32 s16, s2
	s_cbranch_execnz .LBB32_20
.LBB32_17:                              ;   in Loop: Header=BB32_10 Depth=1
	s_or_b32 exec_lo, exec_lo, s16
	s_add_i32 s7, s7, 1
	s_delay_alu instid0(SALU_CYCLE_1)
	s_cmp_ge_i32 s7, s4
	s_cbranch_scc1 .LBB32_9
	s_branch .LBB32_21
.LBB32_18:                              ;   in Loop: Header=BB32_10 Depth=1
	v_cmp_eq_f32_e64 s0, v18, v21
	s_waitcnt lgkmcnt(0)
	v_cmp_lt_i32_e64 s1, v19, v16
	s_delay_alu instid0(VALU_DEP_1) | instskip(SKIP_2) | instid1(SALU_CYCLE_1)
	s_and_b32 s0, s0, s1
	s_and_not1_b32 s1, s16, exec_lo
	s_and_b32 s0, s0, exec_lo
	s_or_b32 s16, s1, s0
	s_or_b32 exec_lo, exec_lo, s17
	s_and_saveexec_b32 s0, s16
	s_cbranch_execz .LBB32_16
.LBB32_19:                              ;   in Loop: Header=BB32_10 Depth=1
	s_waitcnt lgkmcnt(0)
	v_dual_mov_b32 v17, v20 :: v_dual_mov_b32 v16, v19
	s_or_b32 exec_lo, exec_lo, s0
	s_and_saveexec_b32 s16, s2
	s_cbranch_execz .LBB32_17
.LBB32_20:                              ;   in Loop: Header=BB32_10 Depth=1
	s_delay_alu instid0(VALU_DEP_1)
	v_dual_add_f32 v25, v13, v17 :: v_dual_add_nc_u32 v18, s7, v14
	v_cmp_le_i32_e64 s0, s5, v16
	v_cmp_gt_i32_e64 s1, s6, v16
	s_waitcnt lgkmcnt(1)
	v_subrev_nc_u32_e32 v20, s5, v16
	s_waitcnt lgkmcnt(0)
	v_ashrrev_i32_e32 v19, 31, v18
	v_cndmask_b32_e32 v13, v13, v25, vcc_lo
	s_and_b32 s0, s0, s1
	s_delay_alu instid0(SALU_CYCLE_1) | instskip(NEXT) | instid1(VALU_DEP_2)
	s_and_b32 s0, s15, s0
	v_lshlrev_b64 v[18:19], 2, v[18:19]
	v_cndmask_b32_e64 v24, 16, v20, s0
	s_delay_alu instid0(VALU_DEP_2) | instskip(NEXT) | instid1(VALU_DEP_1)
	v_add_co_u32 v20, s0, s12, v18
	v_add_co_ci_u32_e64 v21, s0, s13, v19, s0
	v_add_co_u32 v22, s0, s8, v18
	s_delay_alu instid0(VALU_DEP_1) | instskip(SKIP_1) | instid1(VALU_DEP_1)
	v_add_co_ci_u32_e64 v23, s0, s9, v19, s0
	v_add_co_u32 v18, s0, s10, v18
	v_add_co_ci_u32_e64 v19, s0, s11, v19, s0
	global_store_b32 v[20:21], v17, off
	global_store_b32 v[22:23], v24, off
	;; [unrolled: 1-line block ×3, first 2 shown]
	s_or_b32 exec_lo, exec_lo, s16
	s_add_i32 s7, s7, 1
	s_delay_alu instid0(SALU_CYCLE_1)
	s_cmp_ge_i32 s7, s4
	s_cbranch_scc1 .LBB32_9
.LBB32_21:                              ;   in Loop: Header=BB32_10 Depth=1
	v_ashrrev_i32_e32 v18, 31, v16
	s_mov_b32 s1, exec_lo
	s_delay_alu instid0(VALU_DEP_1) | instskip(NEXT) | instid1(VALU_DEP_1)
	v_lshrrev_b32_e32 v17, 30, v18
	v_add_nc_u32_e32 v17, v16, v17
	s_delay_alu instid0(VALU_DEP_1) | instskip(SKIP_1) | instid1(VALU_DEP_1)
	v_ashrrev_i32_e32 v17, 2, v17
	s_waitcnt lgkmcnt(0)
	v_lshrrev_b32_e32 v19, 30, v17
	s_delay_alu instid0(VALU_DEP_1) | instskip(NEXT) | instid1(VALU_DEP_1)
	v_add_nc_u32_e32 v19, v17, v19
	v_and_b32_e32 v19, -4, v19
	s_delay_alu instid0(VALU_DEP_1) | instskip(NEXT) | instid1(VALU_DEP_1)
	v_sub_nc_u32_e32 v19, v17, v19
	v_cmpx_eq_u32_e64 v9, v19
	s_cbranch_execz .LBB32_8
; %bb.22:                               ;   in Loop: Header=BB32_10 Depth=1
	v_lshrrev_b32_e32 v18, 28, v18
	v_lshlrev_b32_e32 v17, 2, v17
	s_delay_alu instid0(VALU_DEP_2) | instskip(NEXT) | instid1(VALU_DEP_2)
	v_add_nc_u32_e32 v18, v16, v18
	v_sub_nc_u32_e32 v16, v16, v17
	s_delay_alu instid0(VALU_DEP_2) | instskip(NEXT) | instid1(VALU_DEP_1)
	v_ashrrev_i32_e32 v17, 4, v18
	v_lshl_add_u32 v16, v17, 2, v16
	s_delay_alu instid0(VALU_DEP_1) | instskip(NEXT) | instid1(VALU_DEP_1)
	v_cmp_ne_u32_e64 s0, 3, v16
	v_cndmask_b32_e64 v7, 0xc61c4000, v7, s0
	v_cmp_ne_u32_e64 s0, 2, v16
	s_delay_alu instid0(VALU_DEP_1) | instskip(SKIP_1) | instid1(VALU_DEP_1)
	v_cndmask_b32_e64 v6, 0xc61c4000, v6, s0
	v_cmp_ne_u32_e64 s0, 1, v16
	v_cndmask_b32_e64 v5, 0xc61c4000, v5, s0
	v_cmp_ne_u32_e64 s0, 0, v16
	s_delay_alu instid0(VALU_DEP_1)
	v_cndmask_b32_e64 v4, 0xc61c4000, v4, s0
	s_branch .LBB32_8
.LBB32_23:
                                        ; implicit-def: $vgpr4_vgpr5_vgpr6_vgpr7
	s_and_not1_b32 vcc_lo, exec_lo, s8
	s_cbranch_vccz .LBB32_5
	s_branch .LBB32_6
.LBB32_24:
	v_mov_b32_e32 v13, 0
.LBB32_25:
	v_cmp_eq_u32_e64 s0, 0, v9
	s_delay_alu instid0(VALU_DEP_1) | instskip(NEXT) | instid1(SALU_CYCLE_1)
	s_and_b32 s0, s0, vcc_lo
	s_and_b32 exec_lo, exec_lo, s0
	s_cbranch_execz .LBB32_29
; %bb.26:
	s_and_not1_b32 vcc_lo, exec_lo, s3
	s_cbranch_vccnz .LBB32_29
; %bb.27:
	v_mul_lo_u32 v0, v8, s4
	v_cmp_lt_f32_e32 vcc_lo, 0, v13
	v_cndmask_b32_e32 v2, 1.0, v13, vcc_lo
	s_delay_alu instid0(VALU_DEP_3) | instskip(NEXT) | instid1(VALU_DEP_1)
	v_ashrrev_i32_e32 v1, 31, v0
	v_lshlrev_b64 v[0:1], 2, v[0:1]
	s_delay_alu instid0(VALU_DEP_1) | instskip(NEXT) | instid1(VALU_DEP_2)
	v_add_co_u32 v0, vcc_lo, s12, v0
	v_add_co_ci_u32_e32 v1, vcc_lo, s13, v1, vcc_lo
	.p2align	6
.LBB32_28:                              ; =>This Inner Loop Header: Depth=1
	global_load_b32 v3, v[0:1], off
	s_add_i32 s4, s4, -1
	s_delay_alu instid0(SALU_CYCLE_1) | instskip(SKIP_3) | instid1(VALU_DEP_2)
	s_cmp_lg_u32 s4, 0
	s_waitcnt vmcnt(0)
	v_div_scale_f32 v4, null, v2, v2, v3
	v_div_scale_f32 v7, vcc_lo, v3, v2, v3
	v_rcp_f32_e32 v5, v4
	s_waitcnt_depctr 0xfff
	v_fma_f32 v6, -v4, v5, 1.0
	s_delay_alu instid0(VALU_DEP_1) | instskip(NEXT) | instid1(VALU_DEP_1)
	v_fmac_f32_e32 v5, v6, v5
	v_mul_f32_e32 v6, v7, v5
	s_delay_alu instid0(VALU_DEP_1) | instskip(NEXT) | instid1(VALU_DEP_1)
	v_fma_f32 v8, -v4, v6, v7
	v_fmac_f32_e32 v6, v8, v5
	s_delay_alu instid0(VALU_DEP_1) | instskip(NEXT) | instid1(VALU_DEP_1)
	v_fma_f32 v4, -v4, v6, v7
	v_div_fmas_f32 v4, v4, v5, v6
	s_delay_alu instid0(VALU_DEP_1)
	v_div_fixup_f32 v3, v4, v2, v3
	global_store_b32 v[0:1], v3, off
	v_add_co_u32 v0, vcc_lo, v0, 4
	v_add_co_ci_u32_e32 v1, vcc_lo, 0, v1, vcc_lo
	s_cbranch_scc1 .LBB32_28
.LBB32_29:
	s_nop 0
	s_sendmsg sendmsg(MSG_DEALLOC_VGPRS)
	s_endpgm
	.section	.rodata,"a",@progbits
	.p2align	6, 0x0
	.amdhsa_kernel _ZN4vllm3moe10topkGatingILi4ELi16ELi4ELi16ELi64EjfLNS0_11ScoringFuncE0EEEvPKT5_PKbPfiPT4_PiiiibPKf
		.amdhsa_group_segment_fixed_size 0
		.amdhsa_private_segment_fixed_size 0
		.amdhsa_kernarg_size 72
		.amdhsa_user_sgpr_count 15
		.amdhsa_user_sgpr_dispatch_ptr 0
		.amdhsa_user_sgpr_queue_ptr 0
		.amdhsa_user_sgpr_kernarg_segment_ptr 1
		.amdhsa_user_sgpr_dispatch_id 0
		.amdhsa_user_sgpr_private_segment_size 0
		.amdhsa_wavefront_size32 1
		.amdhsa_uses_dynamic_stack 0
		.amdhsa_enable_private_segment 0
		.amdhsa_system_sgpr_workgroup_id_x 1
		.amdhsa_system_sgpr_workgroup_id_y 0
		.amdhsa_system_sgpr_workgroup_id_z 0
		.amdhsa_system_sgpr_workgroup_info 0
		.amdhsa_system_vgpr_workitem_id 1
		.amdhsa_next_free_vgpr 26
		.amdhsa_next_free_sgpr 18
		.amdhsa_reserve_vcc 1
		.amdhsa_float_round_mode_32 0
		.amdhsa_float_round_mode_16_64 0
		.amdhsa_float_denorm_mode_32 3
		.amdhsa_float_denorm_mode_16_64 3
		.amdhsa_dx10_clamp 1
		.amdhsa_ieee_mode 1
		.amdhsa_fp16_overflow 0
		.amdhsa_workgroup_processor_mode 1
		.amdhsa_memory_ordered 1
		.amdhsa_forward_progress 0
		.amdhsa_shared_vgpr_count 0
		.amdhsa_exception_fp_ieee_invalid_op 0
		.amdhsa_exception_fp_denorm_src 0
		.amdhsa_exception_fp_ieee_div_zero 0
		.amdhsa_exception_fp_ieee_overflow 0
		.amdhsa_exception_fp_ieee_underflow 0
		.amdhsa_exception_fp_ieee_inexact 0
		.amdhsa_exception_int_div_zero 0
	.end_amdhsa_kernel
	.section	.text._ZN4vllm3moe10topkGatingILi4ELi16ELi4ELi16ELi64EjfLNS0_11ScoringFuncE0EEEvPKT5_PKbPfiPT4_PiiiibPKf,"axG",@progbits,_ZN4vllm3moe10topkGatingILi4ELi16ELi4ELi16ELi64EjfLNS0_11ScoringFuncE0EEEvPKT5_PKbPfiPT4_PiiiibPKf,comdat
.Lfunc_end32:
	.size	_ZN4vllm3moe10topkGatingILi4ELi16ELi4ELi16ELi64EjfLNS0_11ScoringFuncE0EEEvPKT5_PKbPfiPT4_PiiiibPKf, .Lfunc_end32-_ZN4vllm3moe10topkGatingILi4ELi16ELi4ELi16ELi64EjfLNS0_11ScoringFuncE0EEEvPKT5_PKbPfiPT4_PiiiibPKf
                                        ; -- End function
	.section	.AMDGPU.csdata,"",@progbits
; Kernel info:
; codeLenInByte = 2184
; NumSgprs: 20
; NumVgprs: 26
; ScratchSize: 0
; MemoryBound: 0
; FloatMode: 240
; IeeeMode: 1
; LDSByteSize: 0 bytes/workgroup (compile time only)
; SGPRBlocks: 2
; VGPRBlocks: 3
; NumSGPRsForWavesPerEU: 20
; NumVGPRsForWavesPerEU: 26
; Occupancy: 16
; WaveLimiterHint : 0
; COMPUTE_PGM_RSRC2:SCRATCH_EN: 0
; COMPUTE_PGM_RSRC2:USER_SGPR: 15
; COMPUTE_PGM_RSRC2:TRAP_HANDLER: 0
; COMPUTE_PGM_RSRC2:TGID_X_EN: 1
; COMPUTE_PGM_RSRC2:TGID_Y_EN: 0
; COMPUTE_PGM_RSRC2:TGID_Z_EN: 0
; COMPUTE_PGM_RSRC2:TIDIG_COMP_CNT: 1
	.section	.text._ZN4vllm3moe10topkGatingILi4ELi16ELi4ELi16ELi32EjfLNS0_11ScoringFuncE0EEEvPKT5_PKbPfiPT4_PiiiibPKf,"axG",@progbits,_ZN4vllm3moe10topkGatingILi4ELi16ELi4ELi16ELi32EjfLNS0_11ScoringFuncE0EEEvPKT5_PKbPfiPT4_PiiiibPKf,comdat
	.protected	_ZN4vllm3moe10topkGatingILi4ELi16ELi4ELi16ELi32EjfLNS0_11ScoringFuncE0EEEvPKT5_PKbPfiPT4_PiiiibPKf ; -- Begin function _ZN4vllm3moe10topkGatingILi4ELi16ELi4ELi16ELi32EjfLNS0_11ScoringFuncE0EEEvPKT5_PKbPfiPT4_PiiiibPKf
	.globl	_ZN4vllm3moe10topkGatingILi4ELi16ELi4ELi16ELi32EjfLNS0_11ScoringFuncE0EEEvPKT5_PKbPfiPT4_PiiiibPKf
	.p2align	8
	.type	_ZN4vllm3moe10topkGatingILi4ELi16ELi4ELi16ELi32EjfLNS0_11ScoringFuncE0EEEvPKT5_PKbPfiPT4_PiiiibPKf,@function
_ZN4vllm3moe10topkGatingILi4ELi16ELi4ELi16ELi32EjfLNS0_11ScoringFuncE0EEEvPKT5_PKbPfiPT4_PiiiibPKf: ; @_ZN4vllm3moe10topkGatingILi4ELi16ELi4ELi16ELi32EjfLNS0_11ScoringFuncE0EEEvPKT5_PKbPfiPT4_PiiiibPKf
; %bb.0:
	s_load_b32 s14, s[0:1], 0x18
	v_bfe_u32 v1, v0, 10, 10
	v_and_b32_e32 v0, 0x3ff, v0
	s_lshl_b32 s2, s15, 5
	s_delay_alu instid0(VALU_DEP_2) | instskip(NEXT) | instid1(VALU_DEP_2)
	v_lshlrev_b32_e32 v1, 3, v1
	v_lshrrev_b32_e32 v2, 2, v0
	s_delay_alu instid0(VALU_DEP_1) | instskip(SKIP_2) | instid1(VALU_DEP_1)
	v_add3_u32 v8, s2, v1, v2
	s_mov_b32 s2, exec_lo
	s_waitcnt lgkmcnt(0)
	v_cmpx_gt_i32_e64 s14, v8
	s_cbranch_execz .LBB33_29
; %bb.1:
	s_clause 0x1
	s_load_b128 s[4:7], s[0:1], 0x0
	s_load_b64 s[12:13], s[0:1], 0x10
	s_mov_b32 s8, -1
	s_mov_b32 s15, -1
	s_waitcnt lgkmcnt(0)
	s_cmp_eq_u64 s[6:7], 0
	s_cbranch_scc1 .LBB33_3
; %bb.2:
	v_ashrrev_i32_e32 v2, 31, v8
	v_add_co_u32 v1, vcc_lo, s6, v8
	s_delay_alu instid0(VALU_DEP_2) | instskip(SKIP_3) | instid1(VALU_DEP_1)
	v_add_co_ci_u32_e32 v2, vcc_lo, s7, v2, vcc_lo
	global_load_u8 v1, v[1:2], off
	s_waitcnt vmcnt(0)
	v_and_b32_e32 v1, 1, v1
	v_cmp_eq_u32_e32 vcc_lo, 1, v1
	s_xor_b32 s2, vcc_lo, -1
	s_delay_alu instid0(SALU_CYCLE_1)
	s_or_not1_b32 s15, s2, exec_lo
.LBB33_3:
	v_mbcnt_lo_u32_b32 v4, -1, 0
	s_load_b64 s[2:3], s[0:1], 0x40
	s_delay_alu instid0(VALU_DEP_1) | instskip(SKIP_4) | instid1(VALU_DEP_4)
	v_xor_b32_e32 v6, 2, v4
	v_lshlrev_b32_e32 v1, 4, v8
	v_xor_b32_e32 v11, 1, v4
	v_and_b32_e32 v9, 3, v0
	v_and_b32_e32 v5, 28, v4
	v_ashrrev_i32_e32 v2, 31, v1
	s_delay_alu instid0(VALU_DEP_1) | instskip(NEXT) | instid1(VALU_DEP_4)
	v_lshlrev_b64 v[0:1], 2, v[1:2]
	v_lshlrev_b32_e32 v2, 4, v9
	s_waitcnt lgkmcnt(0)
	s_cmp_eq_u64 s[2:3], 0
	s_delay_alu instid0(VALU_DEP_2) | instskip(NEXT) | instid1(VALU_DEP_3)
	v_add_co_u32 v0, vcc_lo, s4, v0
	v_add_co_ci_u32_e32 v1, vcc_lo, s5, v1, vcc_lo
	s_delay_alu instid0(VALU_DEP_2) | instskip(NEXT) | instid1(VALU_DEP_2)
	v_add_co_u32 v0, vcc_lo, v0, v2
	v_add_co_ci_u32_e32 v1, vcc_lo, 0, v1, vcc_lo
	global_load_b128 v[0:3], v[0:1], off
	s_waitcnt vmcnt(0)
	v_dual_max_f32 v10, v0, v0 :: v_dual_add_nc_u32 v5, 4, v5
	s_delay_alu instid0(VALU_DEP_1) | instskip(SKIP_2) | instid1(VALU_DEP_2)
	v_cmp_lt_i32_e32 vcc_lo, v6, v5
	v_dual_cndmask_b32 v6, v4, v6 :: v_dual_max_f32 v7, v1, v1
	v_cmp_lt_i32_e32 vcc_lo, v11, v5
	v_dual_max_f32 v7, v10, v7 :: v_dual_lshlrev_b32 v10, 2, v6
	v_cndmask_b32_e32 v4, v4, v11, vcc_lo
	s_delay_alu instid0(VALU_DEP_2) | instskip(SKIP_3) | instid1(VALU_DEP_1)
	v_max3_f32 v6, v7, v2, v3
	ds_bpermute_b32 v7, v10, v6
	s_waitcnt lgkmcnt(0)
	v_max_f32_e32 v5, v7, v7
	v_dual_max_f32 v4, v6, v5 :: v_dual_lshlrev_b32 v11, 2, v4
	ds_bpermute_b32 v5, v11, v4
	s_waitcnt lgkmcnt(0)
	v_max_f32_e32 v5, v5, v5
	s_delay_alu instid0(VALU_DEP_1) | instskip(NEXT) | instid1(VALU_DEP_1)
	v_max_f32_e32 v4, v4, v5
	v_sub_f32_e32 v3, v3, v4
	s_delay_alu instid0(VALU_DEP_1) | instskip(SKIP_2) | instid1(VALU_DEP_3)
	v_dual_mul_f32 v7, 0x3fb8aa3b, v3 :: v_dual_sub_f32 v0, v0, v4
	v_sub_f32_e32 v1, v1, v4
	v_sub_f32_e32 v2, v2, v4
	v_rndne_f32_e32 v19, v7
	s_delay_alu instid0(VALU_DEP_4) | instskip(SKIP_1) | instid1(VALU_DEP_4)
	v_mul_f32_e32 v4, 0x3fb8aa3b, v0
	v_cmp_ngt_f32_e32 vcc_lo, 0xc2ce8ed0, v0
	v_mul_f32_e32 v6, 0x3fb8aa3b, v2
	s_delay_alu instid0(VALU_DEP_3) | instskip(SKIP_1) | instid1(VALU_DEP_3)
	v_rndne_f32_e32 v13, v4
	v_fma_f32 v12, 0x3fb8aa3b, v0, -v4
	v_fma_f32 v16, 0x3fb8aa3b, v2, -v6
	v_rndne_f32_e32 v17, v6
	s_delay_alu instid0(VALU_DEP_4) | instskip(SKIP_1) | instid1(VALU_DEP_4)
	v_sub_f32_e32 v4, v4, v13
	v_mul_f32_e32 v5, 0x3fb8aa3b, v1
	v_fmac_f32_e32 v16, 0x32a5705f, v2
	s_delay_alu instid0(VALU_DEP_2) | instskip(SKIP_2) | instid1(VALU_DEP_2)
	v_fma_f32 v14, 0x3fb8aa3b, v1, -v5
	v_rndne_f32_e32 v15, v5
	v_fmac_f32_e32 v12, 0x32a5705f, v0
	v_dual_fmac_f32 v14, 0x32a5705f, v1 :: v_dual_sub_f32 v5, v5, v15
	v_fma_f32 v18, 0x3fb8aa3b, v3, -v7
	s_delay_alu instid0(VALU_DEP_3) | instskip(NEXT) | instid1(VALU_DEP_3)
	v_dual_sub_f32 v7, v7, v19 :: v_dual_add_f32 v4, v4, v12
	v_dual_sub_f32 v6, v6, v17 :: v_dual_add_f32 v5, v5, v14
	v_cvt_i32_f32_e32 v12, v13
	v_cvt_i32_f32_e32 v13, v15
	s_delay_alu instid0(VALU_DEP_4)
	v_exp_f32_e32 v4, v4
	v_cvt_i32_f32_e32 v14, v17
	v_exp_f32_e32 v5, v5
	v_cvt_i32_f32_e32 v15, v19
	s_waitcnt_depctr 0xfff
	v_ldexp_f32 v4, v4, v12
	v_ldexp_f32 v5, v5, v13
	s_delay_alu instid0(VALU_DEP_2) | instskip(SKIP_1) | instid1(VALU_DEP_3)
	v_cndmask_b32_e32 v4, 0, v4, vcc_lo
	v_cmp_ngt_f32_e32 vcc_lo, 0xc2ce8ed0, v1
	v_dual_fmac_f32 v18, 0x32a5705f, v3 :: v_dual_cndmask_b32 v5, 0, v5
	s_delay_alu instid0(VALU_DEP_1) | instskip(SKIP_1) | instid1(VALU_DEP_2)
	v_dual_add_f32 v6, v6, v16 :: v_dual_add_f32 v7, v7, v18
	v_cmp_ngt_f32_e32 vcc_lo, 0xc2ce8ed0, v2
	v_exp_f32_e32 v6, v6
	s_delay_alu instid0(VALU_DEP_2) | instskip(SKIP_3) | instid1(VALU_DEP_2)
	v_exp_f32_e32 v7, v7
	s_waitcnt_depctr 0xfff
	v_ldexp_f32 v6, v6, v14
	v_ldexp_f32 v7, v7, v15
	v_cndmask_b32_e32 v6, 0, v6, vcc_lo
	v_cmp_nlt_f32_e32 vcc_lo, 0x42b17218, v0
	v_cndmask_b32_e32 v0, 0x7f800000, v4, vcc_lo
	v_cmp_nlt_f32_e32 vcc_lo, 0x42b17218, v1
	v_cndmask_b32_e32 v1, 0x7f800000, v5, vcc_lo
	v_cmp_ngt_f32_e32 vcc_lo, 0xc2ce8ed0, v3
	s_delay_alu instid0(VALU_DEP_2) | instskip(SKIP_3) | instid1(VALU_DEP_2)
	v_dual_add_f32 v5, v0, v1 :: v_dual_cndmask_b32 v4, 0, v7
	v_cmp_nlt_f32_e32 vcc_lo, 0x42b17218, v2
	v_cndmask_b32_e32 v2, 0x7f800000, v6, vcc_lo
	v_cmp_nlt_f32_e32 vcc_lo, 0x42b17218, v3
	v_dual_cndmask_b32 v3, 0x7f800000, v4 :: v_dual_add_f32 v4, v5, v2
	s_delay_alu instid0(VALU_DEP_1)
	v_add_f32_e32 v4, v4, v3
	ds_bpermute_b32 v5, v10, v4
	s_waitcnt lgkmcnt(0)
	v_add_f32_e32 v4, v4, v5
	ds_bpermute_b32 v5, v11, v4
	s_waitcnt lgkmcnt(0)
	v_add_f32_e32 v4, v4, v5
	s_delay_alu instid0(VALU_DEP_1) | instskip(SKIP_1) | instid1(VALU_DEP_2)
	v_div_scale_f32 v5, null, v4, v4, 1.0
	v_div_scale_f32 v12, vcc_lo, 1.0, v4, 1.0
	v_rcp_f32_e32 v6, v5
	s_waitcnt_depctr 0xfff
	v_fma_f32 v7, -v5, v6, 1.0
	s_delay_alu instid0(VALU_DEP_1) | instskip(NEXT) | instid1(VALU_DEP_1)
	v_fmac_f32_e32 v6, v7, v6
	v_mul_f32_e32 v7, v12, v6
	s_delay_alu instid0(VALU_DEP_1) | instskip(NEXT) | instid1(VALU_DEP_1)
	v_fma_f32 v13, -v5, v7, v12
	v_fmac_f32_e32 v7, v13, v6
	s_delay_alu instid0(VALU_DEP_1) | instskip(SKIP_1) | instid1(VALU_DEP_2)
	v_fma_f32 v5, -v5, v7, v12
	v_lshlrev_b32_e32 v12, 2, v9
	v_div_fmas_f32 v5, v5, v6, v7
	s_delay_alu instid0(VALU_DEP_1) | instskip(NEXT) | instid1(VALU_DEP_1)
	v_div_fixup_f32 v4, v5, v4, 1.0
	v_mul_f32_e32 v0, v4, v0
	v_mul_f32_e32 v1, v4, v1
	v_mul_f32_e32 v3, v4, v3
	v_mul_f32_e32 v2, v4, v2
	s_delay_alu instid0(VALU_DEP_4)
	v_cmp_class_f32_e64 vcc_lo, v0, 0x1f8
	v_cndmask_b32_e32 v0, 0, v0, vcc_lo
	v_cmp_class_f32_e64 vcc_lo, v1, 0x1f8
	v_cndmask_b32_e32 v1, 0, v1, vcc_lo
	;; [unrolled: 2-line block ×4, first 2 shown]
	s_cbranch_scc1 .LBB33_23
; %bb.4:
	v_lshlrev_b32_e32 v4, 2, v12
	global_load_b128 v[4:7], v4, s[2:3]
	s_waitcnt vmcnt(0)
	v_dual_add_f32 v5, v5, v1 :: v_dual_add_f32 v4, v4, v0
	v_dual_add_f32 v7, v7, v3 :: v_dual_add_f32 v6, v6, v2
	s_cbranch_execnz .LBB33_6
.LBB33_5:
	v_dual_mov_b32 v7, v3 :: v_dual_mov_b32 v6, v2
	v_dual_mov_b32 v5, v1 :: v_dual_mov_b32 v4, v0
.LBB33_6:
	s_load_b128 s[4:7], s[0:1], 0x30
	v_cmp_eq_u32_e64 s2, 0, v9
	s_waitcnt lgkmcnt(0)
	s_bitcmp1_b32 s7, 0
	s_mov_b32 s7, 0
	s_cselect_b32 vcc_lo, -1, 0
	s_cmp_gt_i32 s4, 0
	s_cselect_b32 s3, -1, 0
	s_cmp_lt_i32 s4, 1
	s_cbranch_scc1 .LBB33_24
; %bb.7:
	s_load_b128 s[8:11], s[0:1], 0x20
	v_mul_lo_u32 v14, v8, s4
	v_mov_b32_e32 v13, 0
	v_mov_b32_e32 v15, v8
	s_branch .LBB33_10
.LBB33_8:                               ;   in Loop: Header=BB33_10 Depth=1
	s_or_b32 exec_lo, exec_lo, s1
.LBB33_9:                               ;   in Loop: Header=BB33_10 Depth=1
	v_add_nc_u32_e32 v15, s14, v15
	s_cmp_eq_u32 s4, s7
	s_cbranch_scc1 .LBB33_25
.LBB33_10:                              ; =>This Inner Loop Header: Depth=1
	v_cmp_gt_f32_e64 s0, v5, v4
	s_mov_b32 s17, exec_lo
	s_delay_alu instid0(VALU_DEP_1) | instskip(SKIP_2) | instid1(VALU_DEP_3)
	v_cndmask_b32_e64 v16, v4, v5, s0
	v_cndmask_b32_e64 v17, 0, 1, s0
	;; [unrolled: 1-line block ×3, first 2 shown]
	v_cmp_gt_f32_e64 s1, v6, v16
	s_delay_alu instid0(VALU_DEP_1) | instskip(NEXT) | instid1(VALU_DEP_4)
	v_cndmask_b32_e64 v16, v16, v6, s1
	v_cndmask_b32_e64 v17, v17, 2, s1
	s_waitcnt lgkmcnt(0)
	v_cndmask_b32_e64 v19, v18, v2, s1
	s_delay_alu instid0(VALU_DEP_3) | instskip(NEXT) | instid1(VALU_DEP_1)
	v_cmp_gt_f32_e64 s0, v7, v16
	v_cndmask_b32_e64 v18, v16, v7, s0
	v_cndmask_b32_e64 v16, v17, 3, s0
	s_delay_alu instid0(VALU_DEP_4)
	v_cndmask_b32_e64 v17, v19, v3, s0
	ds_bpermute_b32 v19, v10, v18
	v_or_b32_e32 v16, v12, v16
	ds_bpermute_b32 v21, v10, v17
	ds_bpermute_b32 v20, v10, v16
	s_waitcnt lgkmcnt(0)
	v_cmp_lt_f32_e64 s16, v18, v19
	v_cmpx_nlt_f32_e32 v18, v19
; %bb.11:                               ;   in Loop: Header=BB33_10 Depth=1
	v_cmp_eq_f32_e64 s0, v18, v19
	v_cmp_lt_i32_e64 s1, v20, v16
	s_delay_alu instid0(VALU_DEP_1) | instskip(SKIP_2) | instid1(SALU_CYCLE_1)
	s_and_b32 s0, s0, s1
	s_and_not1_b32 s1, s16, exec_lo
	s_and_b32 s0, s0, exec_lo
	s_or_b32 s16, s1, s0
; %bb.12:                               ;   in Loop: Header=BB33_10 Depth=1
	s_or_b32 exec_lo, exec_lo, s17
	s_and_saveexec_b32 s0, s16
; %bb.13:                               ;   in Loop: Header=BB33_10 Depth=1
	v_dual_mov_b32 v17, v21 :: v_dual_mov_b32 v18, v19
	v_mov_b32_e32 v16, v20
; %bb.14:                               ;   in Loop: Header=BB33_10 Depth=1
	s_or_b32 exec_lo, exec_lo, s0
	ds_bpermute_b32 v21, v11, v18
	ds_bpermute_b32 v20, v11, v17
	;; [unrolled: 1-line block ×3, first 2 shown]
	s_mov_b32 s17, exec_lo
	s_waitcnt lgkmcnt(2)
	v_cmp_lt_f32_e64 s16, v18, v21
	v_cmpx_nlt_f32_e32 v18, v21
	s_cbranch_execnz .LBB33_18
; %bb.15:                               ;   in Loop: Header=BB33_10 Depth=1
	s_or_b32 exec_lo, exec_lo, s17
	s_delay_alu instid0(VALU_DEP_2)
	s_and_saveexec_b32 s0, s16
	s_cbranch_execnz .LBB33_19
.LBB33_16:                              ;   in Loop: Header=BB33_10 Depth=1
	s_or_b32 exec_lo, exec_lo, s0
	s_and_saveexec_b32 s16, s2
	s_cbranch_execnz .LBB33_20
.LBB33_17:                              ;   in Loop: Header=BB33_10 Depth=1
	s_or_b32 exec_lo, exec_lo, s16
	s_add_i32 s7, s7, 1
	s_delay_alu instid0(SALU_CYCLE_1)
	s_cmp_ge_i32 s7, s4
	s_cbranch_scc1 .LBB33_9
	s_branch .LBB33_21
.LBB33_18:                              ;   in Loop: Header=BB33_10 Depth=1
	v_cmp_eq_f32_e64 s0, v18, v21
	s_waitcnt lgkmcnt(0)
	v_cmp_lt_i32_e64 s1, v19, v16
	s_delay_alu instid0(VALU_DEP_1) | instskip(SKIP_2) | instid1(SALU_CYCLE_1)
	s_and_b32 s0, s0, s1
	s_and_not1_b32 s1, s16, exec_lo
	s_and_b32 s0, s0, exec_lo
	s_or_b32 s16, s1, s0
	s_or_b32 exec_lo, exec_lo, s17
	s_and_saveexec_b32 s0, s16
	s_cbranch_execz .LBB33_16
.LBB33_19:                              ;   in Loop: Header=BB33_10 Depth=1
	s_waitcnt lgkmcnt(0)
	v_dual_mov_b32 v17, v20 :: v_dual_mov_b32 v16, v19
	s_or_b32 exec_lo, exec_lo, s0
	s_and_saveexec_b32 s16, s2
	s_cbranch_execz .LBB33_17
.LBB33_20:                              ;   in Loop: Header=BB33_10 Depth=1
	s_delay_alu instid0(VALU_DEP_1)
	v_dual_add_f32 v25, v13, v17 :: v_dual_add_nc_u32 v18, s7, v14
	v_cmp_le_i32_e64 s0, s5, v16
	v_cmp_gt_i32_e64 s1, s6, v16
	s_waitcnt lgkmcnt(1)
	v_subrev_nc_u32_e32 v20, s5, v16
	s_waitcnt lgkmcnt(0)
	v_ashrrev_i32_e32 v19, 31, v18
	v_cndmask_b32_e32 v13, v13, v25, vcc_lo
	s_and_b32 s0, s0, s1
	s_delay_alu instid0(SALU_CYCLE_1) | instskip(NEXT) | instid1(VALU_DEP_2)
	s_and_b32 s0, s15, s0
	v_lshlrev_b64 v[18:19], 2, v[18:19]
	v_cndmask_b32_e64 v24, 16, v20, s0
	s_delay_alu instid0(VALU_DEP_2) | instskip(NEXT) | instid1(VALU_DEP_1)
	v_add_co_u32 v20, s0, s12, v18
	v_add_co_ci_u32_e64 v21, s0, s13, v19, s0
	v_add_co_u32 v22, s0, s8, v18
	s_delay_alu instid0(VALU_DEP_1) | instskip(SKIP_1) | instid1(VALU_DEP_1)
	v_add_co_ci_u32_e64 v23, s0, s9, v19, s0
	v_add_co_u32 v18, s0, s10, v18
	v_add_co_ci_u32_e64 v19, s0, s11, v19, s0
	global_store_b32 v[20:21], v17, off
	global_store_b32 v[22:23], v24, off
	;; [unrolled: 1-line block ×3, first 2 shown]
	s_or_b32 exec_lo, exec_lo, s16
	s_add_i32 s7, s7, 1
	s_delay_alu instid0(SALU_CYCLE_1)
	s_cmp_ge_i32 s7, s4
	s_cbranch_scc1 .LBB33_9
.LBB33_21:                              ;   in Loop: Header=BB33_10 Depth=1
	v_ashrrev_i32_e32 v18, 31, v16
	s_mov_b32 s1, exec_lo
	s_delay_alu instid0(VALU_DEP_1) | instskip(NEXT) | instid1(VALU_DEP_1)
	v_lshrrev_b32_e32 v17, 30, v18
	v_add_nc_u32_e32 v17, v16, v17
	s_delay_alu instid0(VALU_DEP_1) | instskip(SKIP_1) | instid1(VALU_DEP_1)
	v_ashrrev_i32_e32 v17, 2, v17
	s_waitcnt lgkmcnt(0)
	v_lshrrev_b32_e32 v19, 30, v17
	s_delay_alu instid0(VALU_DEP_1) | instskip(NEXT) | instid1(VALU_DEP_1)
	v_add_nc_u32_e32 v19, v17, v19
	v_and_b32_e32 v19, -4, v19
	s_delay_alu instid0(VALU_DEP_1) | instskip(NEXT) | instid1(VALU_DEP_1)
	v_sub_nc_u32_e32 v19, v17, v19
	v_cmpx_eq_u32_e64 v9, v19
	s_cbranch_execz .LBB33_8
; %bb.22:                               ;   in Loop: Header=BB33_10 Depth=1
	v_lshrrev_b32_e32 v18, 28, v18
	v_lshlrev_b32_e32 v17, 2, v17
	s_delay_alu instid0(VALU_DEP_2) | instskip(NEXT) | instid1(VALU_DEP_2)
	v_add_nc_u32_e32 v18, v16, v18
	v_sub_nc_u32_e32 v16, v16, v17
	s_delay_alu instid0(VALU_DEP_2) | instskip(NEXT) | instid1(VALU_DEP_1)
	v_ashrrev_i32_e32 v17, 4, v18
	v_lshl_add_u32 v16, v17, 2, v16
	s_delay_alu instid0(VALU_DEP_1) | instskip(NEXT) | instid1(VALU_DEP_1)
	v_cmp_ne_u32_e64 s0, 3, v16
	v_cndmask_b32_e64 v7, 0xc61c4000, v7, s0
	v_cmp_ne_u32_e64 s0, 2, v16
	s_delay_alu instid0(VALU_DEP_1) | instskip(SKIP_1) | instid1(VALU_DEP_1)
	v_cndmask_b32_e64 v6, 0xc61c4000, v6, s0
	v_cmp_ne_u32_e64 s0, 1, v16
	v_cndmask_b32_e64 v5, 0xc61c4000, v5, s0
	v_cmp_ne_u32_e64 s0, 0, v16
	s_delay_alu instid0(VALU_DEP_1)
	v_cndmask_b32_e64 v4, 0xc61c4000, v4, s0
	s_branch .LBB33_8
.LBB33_23:
                                        ; implicit-def: $vgpr4_vgpr5_vgpr6_vgpr7
	s_and_not1_b32 vcc_lo, exec_lo, s8
	s_cbranch_vccz .LBB33_5
	s_branch .LBB33_6
.LBB33_24:
	v_mov_b32_e32 v13, 0
.LBB33_25:
	v_cmp_eq_u32_e64 s0, 0, v9
	s_delay_alu instid0(VALU_DEP_1) | instskip(NEXT) | instid1(SALU_CYCLE_1)
	s_and_b32 s0, s0, vcc_lo
	s_and_b32 exec_lo, exec_lo, s0
	s_cbranch_execz .LBB33_29
; %bb.26:
	s_and_not1_b32 vcc_lo, exec_lo, s3
	s_cbranch_vccnz .LBB33_29
; %bb.27:
	v_mul_lo_u32 v0, v8, s4
	v_cmp_lt_f32_e32 vcc_lo, 0, v13
	v_cndmask_b32_e32 v2, 1.0, v13, vcc_lo
	s_delay_alu instid0(VALU_DEP_3) | instskip(NEXT) | instid1(VALU_DEP_1)
	v_ashrrev_i32_e32 v1, 31, v0
	v_lshlrev_b64 v[0:1], 2, v[0:1]
	s_delay_alu instid0(VALU_DEP_1) | instskip(NEXT) | instid1(VALU_DEP_2)
	v_add_co_u32 v0, vcc_lo, s12, v0
	v_add_co_ci_u32_e32 v1, vcc_lo, s13, v1, vcc_lo
	.p2align	6
.LBB33_28:                              ; =>This Inner Loop Header: Depth=1
	global_load_b32 v3, v[0:1], off
	s_add_i32 s4, s4, -1
	s_delay_alu instid0(SALU_CYCLE_1) | instskip(SKIP_3) | instid1(VALU_DEP_2)
	s_cmp_lg_u32 s4, 0
	s_waitcnt vmcnt(0)
	v_div_scale_f32 v4, null, v2, v2, v3
	v_div_scale_f32 v7, vcc_lo, v3, v2, v3
	v_rcp_f32_e32 v5, v4
	s_waitcnt_depctr 0xfff
	v_fma_f32 v6, -v4, v5, 1.0
	s_delay_alu instid0(VALU_DEP_1) | instskip(NEXT) | instid1(VALU_DEP_1)
	v_fmac_f32_e32 v5, v6, v5
	v_mul_f32_e32 v6, v7, v5
	s_delay_alu instid0(VALU_DEP_1) | instskip(NEXT) | instid1(VALU_DEP_1)
	v_fma_f32 v8, -v4, v6, v7
	v_fmac_f32_e32 v6, v8, v5
	s_delay_alu instid0(VALU_DEP_1) | instskip(NEXT) | instid1(VALU_DEP_1)
	v_fma_f32 v4, -v4, v6, v7
	v_div_fmas_f32 v4, v4, v5, v6
	s_delay_alu instid0(VALU_DEP_1)
	v_div_fixup_f32 v3, v4, v2, v3
	global_store_b32 v[0:1], v3, off
	v_add_co_u32 v0, vcc_lo, v0, 4
	v_add_co_ci_u32_e32 v1, vcc_lo, 0, v1, vcc_lo
	s_cbranch_scc1 .LBB33_28
.LBB33_29:
	s_nop 0
	s_sendmsg sendmsg(MSG_DEALLOC_VGPRS)
	s_endpgm
	.section	.rodata,"a",@progbits
	.p2align	6, 0x0
	.amdhsa_kernel _ZN4vllm3moe10topkGatingILi4ELi16ELi4ELi16ELi32EjfLNS0_11ScoringFuncE0EEEvPKT5_PKbPfiPT4_PiiiibPKf
		.amdhsa_group_segment_fixed_size 0
		.amdhsa_private_segment_fixed_size 0
		.amdhsa_kernarg_size 72
		.amdhsa_user_sgpr_count 15
		.amdhsa_user_sgpr_dispatch_ptr 0
		.amdhsa_user_sgpr_queue_ptr 0
		.amdhsa_user_sgpr_kernarg_segment_ptr 1
		.amdhsa_user_sgpr_dispatch_id 0
		.amdhsa_user_sgpr_private_segment_size 0
		.amdhsa_wavefront_size32 1
		.amdhsa_uses_dynamic_stack 0
		.amdhsa_enable_private_segment 0
		.amdhsa_system_sgpr_workgroup_id_x 1
		.amdhsa_system_sgpr_workgroup_id_y 0
		.amdhsa_system_sgpr_workgroup_id_z 0
		.amdhsa_system_sgpr_workgroup_info 0
		.amdhsa_system_vgpr_workitem_id 1
		.amdhsa_next_free_vgpr 26
		.amdhsa_next_free_sgpr 18
		.amdhsa_reserve_vcc 1
		.amdhsa_float_round_mode_32 0
		.amdhsa_float_round_mode_16_64 0
		.amdhsa_float_denorm_mode_32 3
		.amdhsa_float_denorm_mode_16_64 3
		.amdhsa_dx10_clamp 1
		.amdhsa_ieee_mode 1
		.amdhsa_fp16_overflow 0
		.amdhsa_workgroup_processor_mode 1
		.amdhsa_memory_ordered 1
		.amdhsa_forward_progress 0
		.amdhsa_shared_vgpr_count 0
		.amdhsa_exception_fp_ieee_invalid_op 0
		.amdhsa_exception_fp_denorm_src 0
		.amdhsa_exception_fp_ieee_div_zero 0
		.amdhsa_exception_fp_ieee_overflow 0
		.amdhsa_exception_fp_ieee_underflow 0
		.amdhsa_exception_fp_ieee_inexact 0
		.amdhsa_exception_int_div_zero 0
	.end_amdhsa_kernel
	.section	.text._ZN4vllm3moe10topkGatingILi4ELi16ELi4ELi16ELi32EjfLNS0_11ScoringFuncE0EEEvPKT5_PKbPfiPT4_PiiiibPKf,"axG",@progbits,_ZN4vllm3moe10topkGatingILi4ELi16ELi4ELi16ELi32EjfLNS0_11ScoringFuncE0EEEvPKT5_PKbPfiPT4_PiiiibPKf,comdat
.Lfunc_end33:
	.size	_ZN4vllm3moe10topkGatingILi4ELi16ELi4ELi16ELi32EjfLNS0_11ScoringFuncE0EEEvPKT5_PKbPfiPT4_PiiiibPKf, .Lfunc_end33-_ZN4vllm3moe10topkGatingILi4ELi16ELi4ELi16ELi32EjfLNS0_11ScoringFuncE0EEEvPKT5_PKbPfiPT4_PiiiibPKf
                                        ; -- End function
	.section	.AMDGPU.csdata,"",@progbits
; Kernel info:
; codeLenInByte = 2184
; NumSgprs: 20
; NumVgprs: 26
; ScratchSize: 0
; MemoryBound: 0
; FloatMode: 240
; IeeeMode: 1
; LDSByteSize: 0 bytes/workgroup (compile time only)
; SGPRBlocks: 2
; VGPRBlocks: 3
; NumSGPRsForWavesPerEU: 20
; NumVGPRsForWavesPerEU: 26
; Occupancy: 16
; WaveLimiterHint : 0
; COMPUTE_PGM_RSRC2:SCRATCH_EN: 0
; COMPUTE_PGM_RSRC2:USER_SGPR: 15
; COMPUTE_PGM_RSRC2:TRAP_HANDLER: 0
; COMPUTE_PGM_RSRC2:TGID_X_EN: 1
; COMPUTE_PGM_RSRC2:TGID_Y_EN: 0
; COMPUTE_PGM_RSRC2:TGID_Z_EN: 0
; COMPUTE_PGM_RSRC2:TIDIG_COMP_CNT: 1
	.section	.text._ZN4vllm3moe10topkGatingILi4ELi32ELi4ELi16ELi64EjfLNS0_11ScoringFuncE0EEEvPKT5_PKbPfiPT4_PiiiibPKf,"axG",@progbits,_ZN4vllm3moe10topkGatingILi4ELi32ELi4ELi16ELi64EjfLNS0_11ScoringFuncE0EEEvPKT5_PKbPfiPT4_PiiiibPKf,comdat
	.protected	_ZN4vllm3moe10topkGatingILi4ELi32ELi4ELi16ELi64EjfLNS0_11ScoringFuncE0EEEvPKT5_PKbPfiPT4_PiiiibPKf ; -- Begin function _ZN4vllm3moe10topkGatingILi4ELi32ELi4ELi16ELi64EjfLNS0_11ScoringFuncE0EEEvPKT5_PKbPfiPT4_PiiiibPKf
	.globl	_ZN4vllm3moe10topkGatingILi4ELi32ELi4ELi16ELi64EjfLNS0_11ScoringFuncE0EEEvPKT5_PKbPfiPT4_PiiiibPKf
	.p2align	8
	.type	_ZN4vllm3moe10topkGatingILi4ELi32ELi4ELi16ELi64EjfLNS0_11ScoringFuncE0EEEvPKT5_PKbPfiPT4_PiiiibPKf,@function
_ZN4vllm3moe10topkGatingILi4ELi32ELi4ELi16ELi64EjfLNS0_11ScoringFuncE0EEEvPKT5_PKbPfiPT4_PiiiibPKf: ; @_ZN4vllm3moe10topkGatingILi4ELi32ELi4ELi16ELi64EjfLNS0_11ScoringFuncE0EEEvPKT5_PKbPfiPT4_PiiiibPKf
; %bb.0:
	s_load_b32 s14, s[0:1], 0x18
	v_bfe_u32 v1, v0, 10, 10
	v_and_b32_e32 v0, 0x3ff, v0
	s_lshl_b32 s2, s15, 5
	s_delay_alu instid0(VALU_DEP_2) | instskip(NEXT) | instid1(VALU_DEP_2)
	v_lshlrev_b32_e32 v1, 3, v1
	v_lshrrev_b32_e32 v2, 3, v0
	s_delay_alu instid0(VALU_DEP_1) | instskip(SKIP_2) | instid1(VALU_DEP_1)
	v_add3_u32 v8, s2, v1, v2
	s_mov_b32 s2, exec_lo
	s_waitcnt lgkmcnt(0)
	v_cmpx_gt_i32_e64 s14, v8
	s_cbranch_execz .LBB34_33
; %bb.1:
	s_clause 0x1
	s_load_b128 s[4:7], s[0:1], 0x0
	s_load_b64 s[12:13], s[0:1], 0x10
	s_mov_b32 s8, -1
	s_mov_b32 s15, -1
	s_waitcnt lgkmcnt(0)
	s_cmp_eq_u64 s[6:7], 0
	s_cbranch_scc1 .LBB34_3
; %bb.2:
	v_ashrrev_i32_e32 v2, 31, v8
	v_add_co_u32 v1, vcc_lo, s6, v8
	s_delay_alu instid0(VALU_DEP_2) | instskip(SKIP_3) | instid1(VALU_DEP_1)
	v_add_co_ci_u32_e32 v2, vcc_lo, s7, v2, vcc_lo
	global_load_u8 v1, v[1:2], off
	s_waitcnt vmcnt(0)
	v_and_b32_e32 v1, 1, v1
	v_cmp_eq_u32_e32 vcc_lo, 1, v1
	s_xor_b32 s2, vcc_lo, -1
	s_delay_alu instid0(SALU_CYCLE_1)
	s_or_not1_b32 s15, s2, exec_lo
.LBB34_3:
	v_mbcnt_lo_u32_b32 v4, -1, 0
	v_and_b32_e32 v9, 7, v0
	s_load_b64 s[2:3], s[0:1], 0x40
	s_delay_alu instid0(VALU_DEP_2) | instskip(SKIP_4) | instid1(VALU_DEP_4)
	v_xor_b32_e32 v6, 4, v4
	v_lshlrev_b32_e32 v1, 5, v8
	v_and_b32_e32 v5, 24, v4
	v_xor_b32_e32 v11, 2, v4
	v_xor_b32_e32 v12, 1, v4
	v_ashrrev_i32_e32 v2, 31, v1
	s_delay_alu instid0(VALU_DEP_1) | instskip(SKIP_3) | instid1(VALU_DEP_2)
	v_lshlrev_b64 v[0:1], 2, v[1:2]
	v_lshlrev_b32_e32 v2, 4, v9
	s_waitcnt lgkmcnt(0)
	s_cmp_eq_u64 s[2:3], 0
	v_add_co_u32 v0, vcc_lo, s4, v0
	s_delay_alu instid0(VALU_DEP_3) | instskip(NEXT) | instid1(VALU_DEP_2)
	v_add_co_ci_u32_e32 v1, vcc_lo, s5, v1, vcc_lo
	v_add_co_u32 v0, vcc_lo, v0, v2
	s_delay_alu instid0(VALU_DEP_2) | instskip(SKIP_3) | instid1(VALU_DEP_1)
	v_add_co_ci_u32_e32 v1, vcc_lo, 0, v1, vcc_lo
	global_load_b128 v[0:3], v[0:1], off
	s_waitcnt vmcnt(0)
	v_dual_max_f32 v10, v0, v0 :: v_dual_add_nc_u32 v5, 8, v5
	v_cmp_lt_i32_e32 vcc_lo, v6, v5
	v_dual_cndmask_b32 v6, v4, v6 :: v_dual_max_f32 v7, v1, v1
	v_cmp_lt_i32_e32 vcc_lo, v11, v5
	s_delay_alu instid0(VALU_DEP_2) | instskip(SKIP_2) | instid1(VALU_DEP_3)
	v_dual_max_f32 v7, v10, v7 :: v_dual_lshlrev_b32 v10, 2, v6
	v_cndmask_b32_e32 v11, v4, v11, vcc_lo
	v_cmp_lt_i32_e32 vcc_lo, v12, v5
	v_max3_f32 v6, v7, v2, v3
	v_cndmask_b32_e32 v4, v4, v12, vcc_lo
	ds_bpermute_b32 v7, v10, v6
	s_waitcnt lgkmcnt(0)
	v_dual_max_f32 v7, v7, v7 :: v_dual_lshlrev_b32 v12, 2, v4
	s_delay_alu instid0(VALU_DEP_1) | instskip(SKIP_4) | instid1(VALU_DEP_1)
	v_max_f32_e32 v6, v6, v7
	v_lshlrev_b32_e32 v11, 2, v11
	ds_bpermute_b32 v7, v11, v6
	s_waitcnt lgkmcnt(0)
	v_max_f32_e32 v5, v7, v7
	v_max_f32_e32 v4, v6, v5
	ds_bpermute_b32 v5, v12, v4
	s_waitcnt lgkmcnt(0)
	v_max_f32_e32 v5, v5, v5
	s_delay_alu instid0(VALU_DEP_1) | instskip(NEXT) | instid1(VALU_DEP_1)
	v_max_f32_e32 v4, v4, v5
	v_sub_f32_e32 v3, v3, v4
	s_delay_alu instid0(VALU_DEP_1) | instskip(SKIP_2) | instid1(VALU_DEP_3)
	v_dual_mul_f32 v7, 0x3fb8aa3b, v3 :: v_dual_sub_f32 v0, v0, v4
	v_sub_f32_e32 v1, v1, v4
	v_sub_f32_e32 v2, v2, v4
	v_rndne_f32_e32 v20, v7
	s_delay_alu instid0(VALU_DEP_4) | instskip(SKIP_1) | instid1(VALU_DEP_4)
	v_mul_f32_e32 v4, 0x3fb8aa3b, v0
	v_cmp_ngt_f32_e32 vcc_lo, 0xc2ce8ed0, v0
	v_mul_f32_e32 v6, 0x3fb8aa3b, v2
	s_delay_alu instid0(VALU_DEP_3) | instskip(SKIP_1) | instid1(VALU_DEP_3)
	v_rndne_f32_e32 v14, v4
	v_fma_f32 v13, 0x3fb8aa3b, v0, -v4
	v_fma_f32 v17, 0x3fb8aa3b, v2, -v6
	v_rndne_f32_e32 v18, v6
	s_delay_alu instid0(VALU_DEP_4) | instskip(NEXT) | instid1(VALU_DEP_3)
	v_dual_sub_f32 v4, v4, v14 :: v_dual_mul_f32 v5, 0x3fb8aa3b, v1
	v_fmac_f32_e32 v17, 0x32a5705f, v2
	s_delay_alu instid0(VALU_DEP_3) | instskip(SKIP_1) | instid1(VALU_DEP_4)
	v_dual_sub_f32 v6, v6, v18 :: v_dual_fmac_f32 v13, 0x32a5705f, v0
	v_fma_f32 v19, 0x3fb8aa3b, v3, -v7
	v_rndne_f32_e32 v16, v5
	v_fma_f32 v15, 0x3fb8aa3b, v1, -v5
	s_delay_alu instid0(VALU_DEP_4)
	v_add_f32_e32 v6, v6, v17
	v_add_f32_e32 v4, v4, v13
	v_cvt_i32_f32_e32 v13, v14
	v_sub_f32_e32 v5, v5, v16
	v_cvt_i32_f32_e32 v14, v16
	v_exp_f32_e32 v6, v6
	v_exp_f32_e32 v4, v4
	v_cvt_i32_f32_e32 v16, v20
	s_waitcnt_depctr 0xfff
	v_ldexp_f32 v4, v4, v13
	s_delay_alu instid0(VALU_DEP_1) | instskip(NEXT) | instid1(VALU_DEP_1)
	v_dual_fmac_f32 v15, 0x32a5705f, v1 :: v_dual_cndmask_b32 v4, 0, v4
	v_add_f32_e32 v5, v5, v15
	v_cvt_i32_f32_e32 v15, v18
	v_cmp_ngt_f32_e32 vcc_lo, 0xc2ce8ed0, v1
	s_delay_alu instid0(VALU_DEP_3) | instskip(NEXT) | instid1(VALU_DEP_2)
	v_exp_f32_e32 v5, v5
	v_ldexp_f32 v6, v6, v15
	s_waitcnt_depctr 0xfff
	v_ldexp_f32 v5, v5, v14
	s_delay_alu instid0(VALU_DEP_1)
	v_cndmask_b32_e32 v5, 0, v5, vcc_lo
	v_cmp_ngt_f32_e32 vcc_lo, 0xc2ce8ed0, v2
	v_dual_fmac_f32 v19, 0x32a5705f, v3 :: v_dual_cndmask_b32 v6, 0, v6
	v_cmp_nlt_f32_e32 vcc_lo, 0x42b17218, v0
	v_sub_f32_e32 v7, v7, v20
	v_cndmask_b32_e32 v0, 0x7f800000, v4, vcc_lo
	v_cmp_nlt_f32_e32 vcc_lo, 0x42b17218, v1
	v_cndmask_b32_e32 v1, 0x7f800000, v5, vcc_lo
	v_cmp_ngt_f32_e32 vcc_lo, 0xc2ce8ed0, v3
	s_delay_alu instid0(VALU_DEP_2) | instskip(SKIP_1) | instid1(VALU_DEP_1)
	v_add_f32_e32 v5, v0, v1
	v_add_f32_e32 v7, v7, v19
	v_exp_f32_e32 v7, v7
	s_waitcnt_depctr 0xfff
	v_ldexp_f32 v7, v7, v16
	s_delay_alu instid0(VALU_DEP_1) | instskip(SKIP_3) | instid1(VALU_DEP_2)
	v_cndmask_b32_e32 v4, 0, v7, vcc_lo
	v_cmp_nlt_f32_e32 vcc_lo, 0x42b17218, v2
	v_cndmask_b32_e32 v2, 0x7f800000, v6, vcc_lo
	v_cmp_nlt_f32_e32 vcc_lo, 0x42b17218, v3
	v_dual_cndmask_b32 v3, 0x7f800000, v4 :: v_dual_add_f32 v4, v5, v2
	s_delay_alu instid0(VALU_DEP_1)
	v_add_f32_e32 v4, v4, v3
	ds_bpermute_b32 v5, v10, v4
	s_waitcnt lgkmcnt(0)
	v_add_f32_e32 v4, v4, v5
	ds_bpermute_b32 v5, v11, v4
	s_waitcnt lgkmcnt(0)
	;; [unrolled: 3-line block ×3, first 2 shown]
	v_add_f32_e32 v4, v4, v5
	s_delay_alu instid0(VALU_DEP_1) | instskip(SKIP_1) | instid1(VALU_DEP_2)
	v_div_scale_f32 v5, null, v4, v4, 1.0
	v_div_scale_f32 v13, vcc_lo, 1.0, v4, 1.0
	v_rcp_f32_e32 v6, v5
	s_waitcnt_depctr 0xfff
	v_fma_f32 v7, -v5, v6, 1.0
	s_delay_alu instid0(VALU_DEP_1) | instskip(NEXT) | instid1(VALU_DEP_1)
	v_fmac_f32_e32 v6, v7, v6
	v_mul_f32_e32 v7, v13, v6
	s_delay_alu instid0(VALU_DEP_1) | instskip(NEXT) | instid1(VALU_DEP_1)
	v_fma_f32 v14, -v5, v7, v13
	v_fmac_f32_e32 v7, v14, v6
	s_delay_alu instid0(VALU_DEP_1) | instskip(SKIP_1) | instid1(VALU_DEP_2)
	v_fma_f32 v5, -v5, v7, v13
	v_lshlrev_b32_e32 v13, 2, v9
	v_div_fmas_f32 v5, v5, v6, v7
	s_delay_alu instid0(VALU_DEP_1) | instskip(NEXT) | instid1(VALU_DEP_1)
	v_div_fixup_f32 v4, v5, v4, 1.0
	v_mul_f32_e32 v0, v4, v0
	v_mul_f32_e32 v2, v4, v2
	;; [unrolled: 1-line block ×4, first 2 shown]
	s_delay_alu instid0(VALU_DEP_4) | instskip(SKIP_1) | instid1(VALU_DEP_4)
	v_cmp_class_f32_e64 vcc_lo, v0, 0x1f8
	v_cndmask_b32_e32 v0, 0, v0, vcc_lo
	v_cmp_class_f32_e64 vcc_lo, v1, 0x1f8
	v_cndmask_b32_e32 v1, 0, v1, vcc_lo
	;; [unrolled: 2-line block ×4, first 2 shown]
	s_cbranch_scc1 .LBB34_27
; %bb.4:
	v_lshlrev_b32_e32 v4, 2, v13
	global_load_b128 v[4:7], v4, s[2:3]
	s_waitcnt vmcnt(0)
	v_dual_add_f32 v7, v7, v3 :: v_dual_add_f32 v4, v4, v0
	v_dual_add_f32 v5, v5, v1 :: v_dual_add_f32 v6, v6, v2
	s_cbranch_execnz .LBB34_6
.LBB34_5:
	v_dual_mov_b32 v7, v3 :: v_dual_mov_b32 v6, v2
	v_dual_mov_b32 v5, v1 :: v_dual_mov_b32 v4, v0
.LBB34_6:
	s_load_b128 s[4:7], s[0:1], 0x30
	v_cmp_eq_u32_e64 s2, 0, v9
	s_waitcnt lgkmcnt(0)
	s_bitcmp1_b32 s7, 0
	s_mov_b32 s7, 0
	s_cselect_b32 vcc_lo, -1, 0
	s_cmp_gt_i32 s4, 0
	s_cselect_b32 s3, -1, 0
	s_cmp_lt_i32 s4, 1
	s_cbranch_scc1 .LBB34_28
; %bb.7:
	s_load_b128 s[8:11], s[0:1], 0x20
	v_mul_lo_u32 v15, v8, s4
	v_mov_b32_e32 v14, 0
	v_mov_b32_e32 v16, v8
	s_branch .LBB34_10
.LBB34_8:                               ;   in Loop: Header=BB34_10 Depth=1
	s_or_b32 exec_lo, exec_lo, s1
.LBB34_9:                               ;   in Loop: Header=BB34_10 Depth=1
	v_add_nc_u32_e32 v16, s14, v16
	s_cmp_eq_u32 s4, s7
	s_cbranch_scc1 .LBB34_29
.LBB34_10:                              ; =>This Inner Loop Header: Depth=1
	v_cmp_gt_f32_e64 s0, v5, v4
	s_mov_b32 s17, exec_lo
	s_delay_alu instid0(VALU_DEP_1) | instskip(SKIP_2) | instid1(VALU_DEP_3)
	v_cndmask_b32_e64 v17, v4, v5, s0
	v_cndmask_b32_e64 v18, 0, 1, s0
	;; [unrolled: 1-line block ×3, first 2 shown]
	v_cmp_gt_f32_e64 s1, v6, v17
	s_delay_alu instid0(VALU_DEP_1) | instskip(NEXT) | instid1(VALU_DEP_4)
	v_cndmask_b32_e64 v17, v17, v6, s1
	v_cndmask_b32_e64 v18, v18, 2, s1
	s_waitcnt lgkmcnt(0)
	v_cndmask_b32_e64 v20, v19, v2, s1
	s_delay_alu instid0(VALU_DEP_3) | instskip(NEXT) | instid1(VALU_DEP_1)
	v_cmp_gt_f32_e64 s0, v7, v17
	v_cndmask_b32_e64 v19, v17, v7, s0
	v_cndmask_b32_e64 v17, v18, 3, s0
	s_delay_alu instid0(VALU_DEP_4)
	v_cndmask_b32_e64 v18, v20, v3, s0
	ds_bpermute_b32 v20, v10, v19
	v_or_b32_e32 v17, v13, v17
	ds_bpermute_b32 v22, v10, v18
	ds_bpermute_b32 v21, v10, v17
	s_waitcnt lgkmcnt(0)
	v_cmp_lt_f32_e64 s16, v19, v20
	v_cmpx_nlt_f32_e32 v19, v20
; %bb.11:                               ;   in Loop: Header=BB34_10 Depth=1
	v_cmp_eq_f32_e64 s0, v19, v20
	v_cmp_lt_i32_e64 s1, v21, v17
	s_delay_alu instid0(VALU_DEP_1) | instskip(SKIP_2) | instid1(SALU_CYCLE_1)
	s_and_b32 s0, s0, s1
	s_and_not1_b32 s1, s16, exec_lo
	s_and_b32 s0, s0, exec_lo
	s_or_b32 s16, s1, s0
; %bb.12:                               ;   in Loop: Header=BB34_10 Depth=1
	s_or_b32 exec_lo, exec_lo, s17
	s_and_saveexec_b32 s0, s16
; %bb.13:                               ;   in Loop: Header=BB34_10 Depth=1
	v_dual_mov_b32 v18, v22 :: v_dual_mov_b32 v19, v20
	v_mov_b32_e32 v17, v21
; %bb.14:                               ;   in Loop: Header=BB34_10 Depth=1
	s_or_b32 exec_lo, exec_lo, s0
	ds_bpermute_b32 v21, v11, v19
	ds_bpermute_b32 v22, v11, v18
	;; [unrolled: 1-line block ×3, first 2 shown]
	s_mov_b32 s17, exec_lo
	s_waitcnt lgkmcnt(2)
	v_cmp_lt_f32_e64 s16, v19, v21
	v_cmpx_nlt_f32_e32 v19, v21
	s_cbranch_execz .LBB34_16
; %bb.15:                               ;   in Loop: Header=BB34_10 Depth=1
	v_cmp_eq_f32_e64 s0, v19, v21
	s_waitcnt lgkmcnt(0)
	v_cmp_lt_i32_e64 s1, v20, v17
	s_delay_alu instid0(VALU_DEP_1) | instskip(SKIP_2) | instid1(SALU_CYCLE_1)
	s_and_b32 s0, s0, s1
	s_and_not1_b32 s1, s16, exec_lo
	s_and_b32 s0, s0, exec_lo
	s_or_b32 s16, s1, s0
.LBB34_16:                              ;   in Loop: Header=BB34_10 Depth=1
	s_or_b32 exec_lo, exec_lo, s17
	s_delay_alu instid0(VALU_DEP_2)
	s_and_saveexec_b32 s0, s16
	s_cbranch_execz .LBB34_18
; %bb.17:                               ;   in Loop: Header=BB34_10 Depth=1
	s_waitcnt lgkmcnt(1)
	v_dual_mov_b32 v18, v22 :: v_dual_mov_b32 v19, v21
	s_waitcnt lgkmcnt(0)
	v_mov_b32_e32 v17, v20
.LBB34_18:                              ;   in Loop: Header=BB34_10 Depth=1
	s_or_b32 exec_lo, exec_lo, s0
	s_waitcnt lgkmcnt(1)
	ds_bpermute_b32 v22, v12, v19
	ds_bpermute_b32 v21, v12, v18
	s_waitcnt lgkmcnt(2)
	ds_bpermute_b32 v20, v12, v17
	s_mov_b32 s17, exec_lo
	s_waitcnt lgkmcnt(2)
	v_cmp_lt_f32_e64 s16, v19, v22
	v_cmpx_nlt_f32_e32 v19, v22
	s_cbranch_execnz .LBB34_22
; %bb.19:                               ;   in Loop: Header=BB34_10 Depth=1
	s_or_b32 exec_lo, exec_lo, s17
	s_delay_alu instid0(VALU_DEP_2)
	s_and_saveexec_b32 s0, s16
	s_cbranch_execnz .LBB34_23
.LBB34_20:                              ;   in Loop: Header=BB34_10 Depth=1
	s_or_b32 exec_lo, exec_lo, s0
	s_and_saveexec_b32 s16, s2
	s_cbranch_execnz .LBB34_24
.LBB34_21:                              ;   in Loop: Header=BB34_10 Depth=1
	s_or_b32 exec_lo, exec_lo, s16
	s_add_i32 s7, s7, 1
	s_delay_alu instid0(SALU_CYCLE_1)
	s_cmp_ge_i32 s7, s4
	s_cbranch_scc1 .LBB34_9
	s_branch .LBB34_25
.LBB34_22:                              ;   in Loop: Header=BB34_10 Depth=1
	v_cmp_eq_f32_e64 s0, v19, v22
	s_waitcnt lgkmcnt(0)
	v_cmp_lt_i32_e64 s1, v20, v17
	s_delay_alu instid0(VALU_DEP_1) | instskip(SKIP_2) | instid1(SALU_CYCLE_1)
	s_and_b32 s0, s0, s1
	s_and_not1_b32 s1, s16, exec_lo
	s_and_b32 s0, s0, exec_lo
	s_or_b32 s16, s1, s0
	s_or_b32 exec_lo, exec_lo, s17
	s_and_saveexec_b32 s0, s16
	s_cbranch_execz .LBB34_20
.LBB34_23:                              ;   in Loop: Header=BB34_10 Depth=1
	s_waitcnt lgkmcnt(0)
	v_dual_mov_b32 v18, v21 :: v_dual_mov_b32 v17, v20
	s_or_b32 exec_lo, exec_lo, s0
	s_and_saveexec_b32 s16, s2
	s_cbranch_execz .LBB34_21
.LBB34_24:                              ;   in Loop: Header=BB34_10 Depth=1
	s_delay_alu instid0(VALU_DEP_1)
	v_dual_add_f32 v26, v14, v18 :: v_dual_add_nc_u32 v19, s7, v15
	v_cmp_le_i32_e64 s0, s5, v17
	v_cmp_gt_i32_e64 s1, s6, v17
	s_waitcnt lgkmcnt(1)
	v_subrev_nc_u32_e32 v21, s5, v17
	s_waitcnt lgkmcnt(0)
	v_ashrrev_i32_e32 v20, 31, v19
	v_cndmask_b32_e32 v14, v14, v26, vcc_lo
	s_and_b32 s0, s0, s1
	s_delay_alu instid0(SALU_CYCLE_1) | instskip(NEXT) | instid1(VALU_DEP_2)
	s_and_b32 s0, s15, s0
	v_lshlrev_b64 v[19:20], 2, v[19:20]
	v_cndmask_b32_e64 v25, 32, v21, s0
	s_delay_alu instid0(VALU_DEP_2) | instskip(NEXT) | instid1(VALU_DEP_1)
	v_add_co_u32 v21, s0, s12, v19
	v_add_co_ci_u32_e64 v22, s0, s13, v20, s0
	v_add_co_u32 v23, s0, s8, v19
	s_delay_alu instid0(VALU_DEP_1) | instskip(SKIP_1) | instid1(VALU_DEP_1)
	v_add_co_ci_u32_e64 v24, s0, s9, v20, s0
	v_add_co_u32 v19, s0, s10, v19
	v_add_co_ci_u32_e64 v20, s0, s11, v20, s0
	global_store_b32 v[21:22], v18, off
	global_store_b32 v[23:24], v25, off
	;; [unrolled: 1-line block ×3, first 2 shown]
	s_or_b32 exec_lo, exec_lo, s16
	s_add_i32 s7, s7, 1
	s_delay_alu instid0(SALU_CYCLE_1)
	s_cmp_ge_i32 s7, s4
	s_cbranch_scc1 .LBB34_9
.LBB34_25:                              ;   in Loop: Header=BB34_10 Depth=1
	v_ashrrev_i32_e32 v19, 31, v17
	s_mov_b32 s1, exec_lo
	s_delay_alu instid0(VALU_DEP_1) | instskip(NEXT) | instid1(VALU_DEP_1)
	v_lshrrev_b32_e32 v18, 30, v19
	v_add_nc_u32_e32 v18, v17, v18
	s_delay_alu instid0(VALU_DEP_1) | instskip(SKIP_1) | instid1(VALU_DEP_1)
	v_ashrrev_i32_e32 v18, 2, v18
	s_waitcnt lgkmcnt(0)
	v_lshrrev_b32_e32 v20, 29, v18
	s_delay_alu instid0(VALU_DEP_1) | instskip(NEXT) | instid1(VALU_DEP_1)
	v_add_nc_u32_e32 v20, v18, v20
	v_and_b32_e32 v20, -8, v20
	s_delay_alu instid0(VALU_DEP_1) | instskip(NEXT) | instid1(VALU_DEP_1)
	v_sub_nc_u32_e32 v20, v18, v20
	v_cmpx_eq_u32_e64 v9, v20
	s_cbranch_execz .LBB34_8
; %bb.26:                               ;   in Loop: Header=BB34_10 Depth=1
	v_lshrrev_b32_e32 v19, 27, v19
	v_lshlrev_b32_e32 v18, 2, v18
	s_delay_alu instid0(VALU_DEP_2) | instskip(NEXT) | instid1(VALU_DEP_2)
	v_add_nc_u32_e32 v19, v17, v19
	v_sub_nc_u32_e32 v17, v17, v18
	s_delay_alu instid0(VALU_DEP_2) | instskip(NEXT) | instid1(VALU_DEP_1)
	v_ashrrev_i32_e32 v18, 5, v19
	v_lshl_add_u32 v17, v18, 2, v17
	s_delay_alu instid0(VALU_DEP_1) | instskip(NEXT) | instid1(VALU_DEP_1)
	v_cmp_ne_u32_e64 s0, 3, v17
	v_cndmask_b32_e64 v7, 0xc61c4000, v7, s0
	v_cmp_ne_u32_e64 s0, 2, v17
	s_delay_alu instid0(VALU_DEP_1) | instskip(SKIP_1) | instid1(VALU_DEP_1)
	v_cndmask_b32_e64 v6, 0xc61c4000, v6, s0
	v_cmp_ne_u32_e64 s0, 1, v17
	v_cndmask_b32_e64 v5, 0xc61c4000, v5, s0
	v_cmp_ne_u32_e64 s0, 0, v17
	s_delay_alu instid0(VALU_DEP_1)
	v_cndmask_b32_e64 v4, 0xc61c4000, v4, s0
	s_branch .LBB34_8
.LBB34_27:
                                        ; implicit-def: $vgpr4_vgpr5_vgpr6_vgpr7
	s_and_not1_b32 vcc_lo, exec_lo, s8
	s_cbranch_vccz .LBB34_5
	s_branch .LBB34_6
.LBB34_28:
	v_mov_b32_e32 v14, 0
.LBB34_29:
	v_cmp_eq_u32_e64 s0, 0, v9
	s_delay_alu instid0(VALU_DEP_1) | instskip(NEXT) | instid1(SALU_CYCLE_1)
	s_and_b32 s0, s0, vcc_lo
	s_and_b32 exec_lo, exec_lo, s0
	s_cbranch_execz .LBB34_33
; %bb.30:
	s_and_not1_b32 vcc_lo, exec_lo, s3
	s_cbranch_vccnz .LBB34_33
; %bb.31:
	v_mul_lo_u32 v0, v8, s4
	v_cmp_lt_f32_e32 vcc_lo, 0, v14
	v_cndmask_b32_e32 v2, 1.0, v14, vcc_lo
	s_delay_alu instid0(VALU_DEP_3) | instskip(NEXT) | instid1(VALU_DEP_1)
	v_ashrrev_i32_e32 v1, 31, v0
	v_lshlrev_b64 v[0:1], 2, v[0:1]
	s_delay_alu instid0(VALU_DEP_1) | instskip(NEXT) | instid1(VALU_DEP_2)
	v_add_co_u32 v0, vcc_lo, s12, v0
	v_add_co_ci_u32_e32 v1, vcc_lo, s13, v1, vcc_lo
	.p2align	6
.LBB34_32:                              ; =>This Inner Loop Header: Depth=1
	global_load_b32 v3, v[0:1], off
	s_add_i32 s4, s4, -1
	s_delay_alu instid0(SALU_CYCLE_1) | instskip(SKIP_3) | instid1(VALU_DEP_2)
	s_cmp_lg_u32 s4, 0
	s_waitcnt vmcnt(0)
	v_div_scale_f32 v4, null, v2, v2, v3
	v_div_scale_f32 v7, vcc_lo, v3, v2, v3
	v_rcp_f32_e32 v5, v4
	s_waitcnt_depctr 0xfff
	v_fma_f32 v6, -v4, v5, 1.0
	s_delay_alu instid0(VALU_DEP_1) | instskip(NEXT) | instid1(VALU_DEP_1)
	v_fmac_f32_e32 v5, v6, v5
	v_mul_f32_e32 v6, v7, v5
	s_delay_alu instid0(VALU_DEP_1) | instskip(NEXT) | instid1(VALU_DEP_1)
	v_fma_f32 v8, -v4, v6, v7
	v_fmac_f32_e32 v6, v8, v5
	s_delay_alu instid0(VALU_DEP_1) | instskip(NEXT) | instid1(VALU_DEP_1)
	v_fma_f32 v4, -v4, v6, v7
	v_div_fmas_f32 v4, v4, v5, v6
	s_delay_alu instid0(VALU_DEP_1)
	v_div_fixup_f32 v3, v4, v2, v3
	global_store_b32 v[0:1], v3, off
	v_add_co_u32 v0, vcc_lo, v0, 4
	v_add_co_ci_u32_e32 v1, vcc_lo, 0, v1, vcc_lo
	s_cbranch_scc1 .LBB34_32
.LBB34_33:
	s_nop 0
	s_sendmsg sendmsg(MSG_DEALLOC_VGPRS)
	s_endpgm
	.section	.rodata,"a",@progbits
	.p2align	6, 0x0
	.amdhsa_kernel _ZN4vllm3moe10topkGatingILi4ELi32ELi4ELi16ELi64EjfLNS0_11ScoringFuncE0EEEvPKT5_PKbPfiPT4_PiiiibPKf
		.amdhsa_group_segment_fixed_size 0
		.amdhsa_private_segment_fixed_size 0
		.amdhsa_kernarg_size 72
		.amdhsa_user_sgpr_count 15
		.amdhsa_user_sgpr_dispatch_ptr 0
		.amdhsa_user_sgpr_queue_ptr 0
		.amdhsa_user_sgpr_kernarg_segment_ptr 1
		.amdhsa_user_sgpr_dispatch_id 0
		.amdhsa_user_sgpr_private_segment_size 0
		.amdhsa_wavefront_size32 1
		.amdhsa_uses_dynamic_stack 0
		.amdhsa_enable_private_segment 0
		.amdhsa_system_sgpr_workgroup_id_x 1
		.amdhsa_system_sgpr_workgroup_id_y 0
		.amdhsa_system_sgpr_workgroup_id_z 0
		.amdhsa_system_sgpr_workgroup_info 0
		.amdhsa_system_vgpr_workitem_id 1
		.amdhsa_next_free_vgpr 27
		.amdhsa_next_free_sgpr 18
		.amdhsa_reserve_vcc 1
		.amdhsa_float_round_mode_32 0
		.amdhsa_float_round_mode_16_64 0
		.amdhsa_float_denorm_mode_32 3
		.amdhsa_float_denorm_mode_16_64 3
		.amdhsa_dx10_clamp 1
		.amdhsa_ieee_mode 1
		.amdhsa_fp16_overflow 0
		.amdhsa_workgroup_processor_mode 1
		.amdhsa_memory_ordered 1
		.amdhsa_forward_progress 0
		.amdhsa_shared_vgpr_count 0
		.amdhsa_exception_fp_ieee_invalid_op 0
		.amdhsa_exception_fp_denorm_src 0
		.amdhsa_exception_fp_ieee_div_zero 0
		.amdhsa_exception_fp_ieee_overflow 0
		.amdhsa_exception_fp_ieee_underflow 0
		.amdhsa_exception_fp_ieee_inexact 0
		.amdhsa_exception_int_div_zero 0
	.end_amdhsa_kernel
	.section	.text._ZN4vllm3moe10topkGatingILi4ELi32ELi4ELi16ELi64EjfLNS0_11ScoringFuncE0EEEvPKT5_PKbPfiPT4_PiiiibPKf,"axG",@progbits,_ZN4vllm3moe10topkGatingILi4ELi32ELi4ELi16ELi64EjfLNS0_11ScoringFuncE0EEEvPKT5_PKbPfiPT4_PiiiibPKf,comdat
.Lfunc_end34:
	.size	_ZN4vllm3moe10topkGatingILi4ELi32ELi4ELi16ELi64EjfLNS0_11ScoringFuncE0EEEvPKT5_PKbPfiPT4_PiiiibPKf, .Lfunc_end34-_ZN4vllm3moe10topkGatingILi4ELi32ELi4ELi16ELi64EjfLNS0_11ScoringFuncE0EEEvPKT5_PKbPfiPT4_PiiiibPKf
                                        ; -- End function
	.section	.AMDGPU.csdata,"",@progbits
; Kernel info:
; codeLenInByte = 2376
; NumSgprs: 20
; NumVgprs: 27
; ScratchSize: 0
; MemoryBound: 0
; FloatMode: 240
; IeeeMode: 1
; LDSByteSize: 0 bytes/workgroup (compile time only)
; SGPRBlocks: 2
; VGPRBlocks: 3
; NumSGPRsForWavesPerEU: 20
; NumVGPRsForWavesPerEU: 27
; Occupancy: 16
; WaveLimiterHint : 0
; COMPUTE_PGM_RSRC2:SCRATCH_EN: 0
; COMPUTE_PGM_RSRC2:USER_SGPR: 15
; COMPUTE_PGM_RSRC2:TRAP_HANDLER: 0
; COMPUTE_PGM_RSRC2:TGID_X_EN: 1
; COMPUTE_PGM_RSRC2:TGID_Y_EN: 0
; COMPUTE_PGM_RSRC2:TGID_Z_EN: 0
; COMPUTE_PGM_RSRC2:TIDIG_COMP_CNT: 1
	.section	.text._ZN4vllm3moe10topkGatingILi4ELi32ELi4ELi16ELi32EjfLNS0_11ScoringFuncE0EEEvPKT5_PKbPfiPT4_PiiiibPKf,"axG",@progbits,_ZN4vllm3moe10topkGatingILi4ELi32ELi4ELi16ELi32EjfLNS0_11ScoringFuncE0EEEvPKT5_PKbPfiPT4_PiiiibPKf,comdat
	.protected	_ZN4vllm3moe10topkGatingILi4ELi32ELi4ELi16ELi32EjfLNS0_11ScoringFuncE0EEEvPKT5_PKbPfiPT4_PiiiibPKf ; -- Begin function _ZN4vllm3moe10topkGatingILi4ELi32ELi4ELi16ELi32EjfLNS0_11ScoringFuncE0EEEvPKT5_PKbPfiPT4_PiiiibPKf
	.globl	_ZN4vllm3moe10topkGatingILi4ELi32ELi4ELi16ELi32EjfLNS0_11ScoringFuncE0EEEvPKT5_PKbPfiPT4_PiiiibPKf
	.p2align	8
	.type	_ZN4vllm3moe10topkGatingILi4ELi32ELi4ELi16ELi32EjfLNS0_11ScoringFuncE0EEEvPKT5_PKbPfiPT4_PiiiibPKf,@function
_ZN4vllm3moe10topkGatingILi4ELi32ELi4ELi16ELi32EjfLNS0_11ScoringFuncE0EEEvPKT5_PKbPfiPT4_PiiiibPKf: ; @_ZN4vllm3moe10topkGatingILi4ELi32ELi4ELi16ELi32EjfLNS0_11ScoringFuncE0EEEvPKT5_PKbPfiPT4_PiiiibPKf
; %bb.0:
	s_load_b32 s14, s[0:1], 0x18
	v_bfe_u32 v1, v0, 10, 10
	v_and_b32_e32 v0, 0x3ff, v0
	s_lshl_b32 s2, s15, 4
	s_delay_alu instid0(VALU_DEP_2) | instskip(NEXT) | instid1(VALU_DEP_2)
	v_lshlrev_b32_e32 v1, 2, v1
	v_lshrrev_b32_e32 v2, 3, v0
	s_delay_alu instid0(VALU_DEP_1) | instskip(SKIP_2) | instid1(VALU_DEP_1)
	v_add3_u32 v8, s2, v1, v2
	s_mov_b32 s2, exec_lo
	s_waitcnt lgkmcnt(0)
	v_cmpx_gt_i32_e64 s14, v8
	s_cbranch_execz .LBB35_33
; %bb.1:
	s_clause 0x1
	s_load_b128 s[4:7], s[0:1], 0x0
	s_load_b64 s[12:13], s[0:1], 0x10
	s_mov_b32 s8, -1
	s_mov_b32 s15, -1
	s_waitcnt lgkmcnt(0)
	s_cmp_eq_u64 s[6:7], 0
	s_cbranch_scc1 .LBB35_3
; %bb.2:
	v_ashrrev_i32_e32 v2, 31, v8
	v_add_co_u32 v1, vcc_lo, s6, v8
	s_delay_alu instid0(VALU_DEP_2) | instskip(SKIP_3) | instid1(VALU_DEP_1)
	v_add_co_ci_u32_e32 v2, vcc_lo, s7, v2, vcc_lo
	global_load_u8 v1, v[1:2], off
	s_waitcnt vmcnt(0)
	v_and_b32_e32 v1, 1, v1
	v_cmp_eq_u32_e32 vcc_lo, 1, v1
	s_xor_b32 s2, vcc_lo, -1
	s_delay_alu instid0(SALU_CYCLE_1)
	s_or_not1_b32 s15, s2, exec_lo
.LBB35_3:
	v_mbcnt_lo_u32_b32 v4, -1, 0
	v_and_b32_e32 v9, 7, v0
	s_load_b64 s[2:3], s[0:1], 0x40
	s_delay_alu instid0(VALU_DEP_2) | instskip(SKIP_4) | instid1(VALU_DEP_4)
	v_xor_b32_e32 v6, 4, v4
	v_lshlrev_b32_e32 v1, 5, v8
	v_and_b32_e32 v5, 24, v4
	v_xor_b32_e32 v11, 2, v4
	v_xor_b32_e32 v12, 1, v4
	v_ashrrev_i32_e32 v2, 31, v1
	s_delay_alu instid0(VALU_DEP_1) | instskip(SKIP_3) | instid1(VALU_DEP_2)
	v_lshlrev_b64 v[0:1], 2, v[1:2]
	v_lshlrev_b32_e32 v2, 4, v9
	s_waitcnt lgkmcnt(0)
	s_cmp_eq_u64 s[2:3], 0
	v_add_co_u32 v0, vcc_lo, s4, v0
	s_delay_alu instid0(VALU_DEP_3) | instskip(NEXT) | instid1(VALU_DEP_2)
	v_add_co_ci_u32_e32 v1, vcc_lo, s5, v1, vcc_lo
	v_add_co_u32 v0, vcc_lo, v0, v2
	s_delay_alu instid0(VALU_DEP_2) | instskip(SKIP_3) | instid1(VALU_DEP_1)
	v_add_co_ci_u32_e32 v1, vcc_lo, 0, v1, vcc_lo
	global_load_b128 v[0:3], v[0:1], off
	s_waitcnt vmcnt(0)
	v_dual_max_f32 v10, v0, v0 :: v_dual_add_nc_u32 v5, 8, v5
	v_cmp_lt_i32_e32 vcc_lo, v6, v5
	v_dual_cndmask_b32 v6, v4, v6 :: v_dual_max_f32 v7, v1, v1
	v_cmp_lt_i32_e32 vcc_lo, v11, v5
	s_delay_alu instid0(VALU_DEP_2) | instskip(SKIP_2) | instid1(VALU_DEP_3)
	v_dual_max_f32 v7, v10, v7 :: v_dual_lshlrev_b32 v10, 2, v6
	v_cndmask_b32_e32 v11, v4, v11, vcc_lo
	v_cmp_lt_i32_e32 vcc_lo, v12, v5
	v_max3_f32 v6, v7, v2, v3
	v_cndmask_b32_e32 v4, v4, v12, vcc_lo
	ds_bpermute_b32 v7, v10, v6
	s_waitcnt lgkmcnt(0)
	v_dual_max_f32 v7, v7, v7 :: v_dual_lshlrev_b32 v12, 2, v4
	s_delay_alu instid0(VALU_DEP_1) | instskip(SKIP_4) | instid1(VALU_DEP_1)
	v_max_f32_e32 v6, v6, v7
	v_lshlrev_b32_e32 v11, 2, v11
	ds_bpermute_b32 v7, v11, v6
	s_waitcnt lgkmcnt(0)
	v_max_f32_e32 v5, v7, v7
	v_max_f32_e32 v4, v6, v5
	ds_bpermute_b32 v5, v12, v4
	s_waitcnt lgkmcnt(0)
	v_max_f32_e32 v5, v5, v5
	s_delay_alu instid0(VALU_DEP_1) | instskip(NEXT) | instid1(VALU_DEP_1)
	v_max_f32_e32 v4, v4, v5
	v_sub_f32_e32 v3, v3, v4
	s_delay_alu instid0(VALU_DEP_1) | instskip(SKIP_2) | instid1(VALU_DEP_3)
	v_dual_mul_f32 v7, 0x3fb8aa3b, v3 :: v_dual_sub_f32 v0, v0, v4
	v_sub_f32_e32 v1, v1, v4
	v_sub_f32_e32 v2, v2, v4
	v_rndne_f32_e32 v20, v7
	s_delay_alu instid0(VALU_DEP_4) | instskip(SKIP_1) | instid1(VALU_DEP_4)
	v_mul_f32_e32 v4, 0x3fb8aa3b, v0
	v_cmp_ngt_f32_e32 vcc_lo, 0xc2ce8ed0, v0
	v_mul_f32_e32 v6, 0x3fb8aa3b, v2
	s_delay_alu instid0(VALU_DEP_3) | instskip(SKIP_1) | instid1(VALU_DEP_3)
	v_rndne_f32_e32 v14, v4
	v_fma_f32 v13, 0x3fb8aa3b, v0, -v4
	v_fma_f32 v17, 0x3fb8aa3b, v2, -v6
	v_rndne_f32_e32 v18, v6
	s_delay_alu instid0(VALU_DEP_4) | instskip(NEXT) | instid1(VALU_DEP_3)
	v_dual_sub_f32 v4, v4, v14 :: v_dual_mul_f32 v5, 0x3fb8aa3b, v1
	v_fmac_f32_e32 v17, 0x32a5705f, v2
	s_delay_alu instid0(VALU_DEP_3) | instskip(SKIP_1) | instid1(VALU_DEP_4)
	v_dual_sub_f32 v6, v6, v18 :: v_dual_fmac_f32 v13, 0x32a5705f, v0
	v_fma_f32 v19, 0x3fb8aa3b, v3, -v7
	v_rndne_f32_e32 v16, v5
	v_fma_f32 v15, 0x3fb8aa3b, v1, -v5
	s_delay_alu instid0(VALU_DEP_4)
	v_add_f32_e32 v6, v6, v17
	v_add_f32_e32 v4, v4, v13
	v_cvt_i32_f32_e32 v13, v14
	v_sub_f32_e32 v5, v5, v16
	v_cvt_i32_f32_e32 v14, v16
	v_exp_f32_e32 v6, v6
	v_exp_f32_e32 v4, v4
	v_cvt_i32_f32_e32 v16, v20
	s_waitcnt_depctr 0xfff
	v_ldexp_f32 v4, v4, v13
	s_delay_alu instid0(VALU_DEP_1) | instskip(NEXT) | instid1(VALU_DEP_1)
	v_dual_fmac_f32 v15, 0x32a5705f, v1 :: v_dual_cndmask_b32 v4, 0, v4
	v_add_f32_e32 v5, v5, v15
	v_cvt_i32_f32_e32 v15, v18
	v_cmp_ngt_f32_e32 vcc_lo, 0xc2ce8ed0, v1
	s_delay_alu instid0(VALU_DEP_3) | instskip(NEXT) | instid1(VALU_DEP_2)
	v_exp_f32_e32 v5, v5
	v_ldexp_f32 v6, v6, v15
	s_waitcnt_depctr 0xfff
	v_ldexp_f32 v5, v5, v14
	s_delay_alu instid0(VALU_DEP_1)
	v_cndmask_b32_e32 v5, 0, v5, vcc_lo
	v_cmp_ngt_f32_e32 vcc_lo, 0xc2ce8ed0, v2
	v_dual_fmac_f32 v19, 0x32a5705f, v3 :: v_dual_cndmask_b32 v6, 0, v6
	v_cmp_nlt_f32_e32 vcc_lo, 0x42b17218, v0
	v_sub_f32_e32 v7, v7, v20
	v_cndmask_b32_e32 v0, 0x7f800000, v4, vcc_lo
	v_cmp_nlt_f32_e32 vcc_lo, 0x42b17218, v1
	v_cndmask_b32_e32 v1, 0x7f800000, v5, vcc_lo
	v_cmp_ngt_f32_e32 vcc_lo, 0xc2ce8ed0, v3
	s_delay_alu instid0(VALU_DEP_2) | instskip(SKIP_1) | instid1(VALU_DEP_1)
	v_add_f32_e32 v5, v0, v1
	v_add_f32_e32 v7, v7, v19
	v_exp_f32_e32 v7, v7
	s_waitcnt_depctr 0xfff
	v_ldexp_f32 v7, v7, v16
	s_delay_alu instid0(VALU_DEP_1) | instskip(SKIP_3) | instid1(VALU_DEP_2)
	v_cndmask_b32_e32 v4, 0, v7, vcc_lo
	v_cmp_nlt_f32_e32 vcc_lo, 0x42b17218, v2
	v_cndmask_b32_e32 v2, 0x7f800000, v6, vcc_lo
	v_cmp_nlt_f32_e32 vcc_lo, 0x42b17218, v3
	v_dual_cndmask_b32 v3, 0x7f800000, v4 :: v_dual_add_f32 v4, v5, v2
	s_delay_alu instid0(VALU_DEP_1)
	v_add_f32_e32 v4, v4, v3
	ds_bpermute_b32 v5, v10, v4
	s_waitcnt lgkmcnt(0)
	v_add_f32_e32 v4, v4, v5
	ds_bpermute_b32 v5, v11, v4
	s_waitcnt lgkmcnt(0)
	;; [unrolled: 3-line block ×3, first 2 shown]
	v_add_f32_e32 v4, v4, v5
	s_delay_alu instid0(VALU_DEP_1) | instskip(SKIP_1) | instid1(VALU_DEP_2)
	v_div_scale_f32 v5, null, v4, v4, 1.0
	v_div_scale_f32 v13, vcc_lo, 1.0, v4, 1.0
	v_rcp_f32_e32 v6, v5
	s_waitcnt_depctr 0xfff
	v_fma_f32 v7, -v5, v6, 1.0
	s_delay_alu instid0(VALU_DEP_1) | instskip(NEXT) | instid1(VALU_DEP_1)
	v_fmac_f32_e32 v6, v7, v6
	v_mul_f32_e32 v7, v13, v6
	s_delay_alu instid0(VALU_DEP_1) | instskip(NEXT) | instid1(VALU_DEP_1)
	v_fma_f32 v14, -v5, v7, v13
	v_fmac_f32_e32 v7, v14, v6
	s_delay_alu instid0(VALU_DEP_1) | instskip(SKIP_1) | instid1(VALU_DEP_2)
	v_fma_f32 v5, -v5, v7, v13
	v_lshlrev_b32_e32 v13, 2, v9
	v_div_fmas_f32 v5, v5, v6, v7
	s_delay_alu instid0(VALU_DEP_1) | instskip(NEXT) | instid1(VALU_DEP_1)
	v_div_fixup_f32 v4, v5, v4, 1.0
	v_mul_f32_e32 v0, v4, v0
	v_mul_f32_e32 v2, v4, v2
	;; [unrolled: 1-line block ×4, first 2 shown]
	s_delay_alu instid0(VALU_DEP_4) | instskip(SKIP_1) | instid1(VALU_DEP_4)
	v_cmp_class_f32_e64 vcc_lo, v0, 0x1f8
	v_cndmask_b32_e32 v0, 0, v0, vcc_lo
	v_cmp_class_f32_e64 vcc_lo, v1, 0x1f8
	v_cndmask_b32_e32 v1, 0, v1, vcc_lo
	;; [unrolled: 2-line block ×4, first 2 shown]
	s_cbranch_scc1 .LBB35_27
; %bb.4:
	v_lshlrev_b32_e32 v4, 2, v13
	global_load_b128 v[4:7], v4, s[2:3]
	s_waitcnt vmcnt(0)
	v_dual_add_f32 v7, v7, v3 :: v_dual_add_f32 v4, v4, v0
	v_dual_add_f32 v5, v5, v1 :: v_dual_add_f32 v6, v6, v2
	s_cbranch_execnz .LBB35_6
.LBB35_5:
	v_dual_mov_b32 v7, v3 :: v_dual_mov_b32 v6, v2
	v_dual_mov_b32 v5, v1 :: v_dual_mov_b32 v4, v0
.LBB35_6:
	s_load_b128 s[4:7], s[0:1], 0x30
	v_cmp_eq_u32_e64 s2, 0, v9
	s_waitcnt lgkmcnt(0)
	s_bitcmp1_b32 s7, 0
	s_mov_b32 s7, 0
	s_cselect_b32 vcc_lo, -1, 0
	s_cmp_gt_i32 s4, 0
	s_cselect_b32 s3, -1, 0
	s_cmp_lt_i32 s4, 1
	s_cbranch_scc1 .LBB35_28
; %bb.7:
	s_load_b128 s[8:11], s[0:1], 0x20
	v_mul_lo_u32 v15, v8, s4
	v_mov_b32_e32 v14, 0
	v_mov_b32_e32 v16, v8
	s_branch .LBB35_10
.LBB35_8:                               ;   in Loop: Header=BB35_10 Depth=1
	s_or_b32 exec_lo, exec_lo, s1
.LBB35_9:                               ;   in Loop: Header=BB35_10 Depth=1
	v_add_nc_u32_e32 v16, s14, v16
	s_cmp_eq_u32 s4, s7
	s_cbranch_scc1 .LBB35_29
.LBB35_10:                              ; =>This Inner Loop Header: Depth=1
	v_cmp_gt_f32_e64 s0, v5, v4
	s_mov_b32 s17, exec_lo
	s_delay_alu instid0(VALU_DEP_1) | instskip(SKIP_2) | instid1(VALU_DEP_3)
	v_cndmask_b32_e64 v17, v4, v5, s0
	v_cndmask_b32_e64 v18, 0, 1, s0
	v_cndmask_b32_e64 v19, v0, v1, s0
	v_cmp_gt_f32_e64 s1, v6, v17
	s_delay_alu instid0(VALU_DEP_1) | instskip(NEXT) | instid1(VALU_DEP_4)
	v_cndmask_b32_e64 v17, v17, v6, s1
	v_cndmask_b32_e64 v18, v18, 2, s1
	s_waitcnt lgkmcnt(0)
	v_cndmask_b32_e64 v20, v19, v2, s1
	s_delay_alu instid0(VALU_DEP_3) | instskip(NEXT) | instid1(VALU_DEP_1)
	v_cmp_gt_f32_e64 s0, v7, v17
	v_cndmask_b32_e64 v19, v17, v7, s0
	v_cndmask_b32_e64 v17, v18, 3, s0
	s_delay_alu instid0(VALU_DEP_4)
	v_cndmask_b32_e64 v18, v20, v3, s0
	ds_bpermute_b32 v20, v10, v19
	v_or_b32_e32 v17, v13, v17
	ds_bpermute_b32 v22, v10, v18
	ds_bpermute_b32 v21, v10, v17
	s_waitcnt lgkmcnt(0)
	v_cmp_lt_f32_e64 s16, v19, v20
	v_cmpx_nlt_f32_e32 v19, v20
; %bb.11:                               ;   in Loop: Header=BB35_10 Depth=1
	v_cmp_eq_f32_e64 s0, v19, v20
	v_cmp_lt_i32_e64 s1, v21, v17
	s_delay_alu instid0(VALU_DEP_1) | instskip(SKIP_2) | instid1(SALU_CYCLE_1)
	s_and_b32 s0, s0, s1
	s_and_not1_b32 s1, s16, exec_lo
	s_and_b32 s0, s0, exec_lo
	s_or_b32 s16, s1, s0
; %bb.12:                               ;   in Loop: Header=BB35_10 Depth=1
	s_or_b32 exec_lo, exec_lo, s17
	s_and_saveexec_b32 s0, s16
; %bb.13:                               ;   in Loop: Header=BB35_10 Depth=1
	v_dual_mov_b32 v18, v22 :: v_dual_mov_b32 v19, v20
	v_mov_b32_e32 v17, v21
; %bb.14:                               ;   in Loop: Header=BB35_10 Depth=1
	s_or_b32 exec_lo, exec_lo, s0
	ds_bpermute_b32 v21, v11, v19
	ds_bpermute_b32 v22, v11, v18
	;; [unrolled: 1-line block ×3, first 2 shown]
	s_mov_b32 s17, exec_lo
	s_waitcnt lgkmcnt(2)
	v_cmp_lt_f32_e64 s16, v19, v21
	v_cmpx_nlt_f32_e32 v19, v21
	s_cbranch_execz .LBB35_16
; %bb.15:                               ;   in Loop: Header=BB35_10 Depth=1
	v_cmp_eq_f32_e64 s0, v19, v21
	s_waitcnt lgkmcnt(0)
	v_cmp_lt_i32_e64 s1, v20, v17
	s_delay_alu instid0(VALU_DEP_1) | instskip(SKIP_2) | instid1(SALU_CYCLE_1)
	s_and_b32 s0, s0, s1
	s_and_not1_b32 s1, s16, exec_lo
	s_and_b32 s0, s0, exec_lo
	s_or_b32 s16, s1, s0
.LBB35_16:                              ;   in Loop: Header=BB35_10 Depth=1
	s_or_b32 exec_lo, exec_lo, s17
	s_delay_alu instid0(VALU_DEP_2)
	s_and_saveexec_b32 s0, s16
	s_cbranch_execz .LBB35_18
; %bb.17:                               ;   in Loop: Header=BB35_10 Depth=1
	s_waitcnt lgkmcnt(1)
	v_dual_mov_b32 v18, v22 :: v_dual_mov_b32 v19, v21
	s_waitcnt lgkmcnt(0)
	v_mov_b32_e32 v17, v20
.LBB35_18:                              ;   in Loop: Header=BB35_10 Depth=1
	s_or_b32 exec_lo, exec_lo, s0
	s_waitcnt lgkmcnt(1)
	ds_bpermute_b32 v22, v12, v19
	ds_bpermute_b32 v21, v12, v18
	s_waitcnt lgkmcnt(2)
	ds_bpermute_b32 v20, v12, v17
	s_mov_b32 s17, exec_lo
	s_waitcnt lgkmcnt(2)
	v_cmp_lt_f32_e64 s16, v19, v22
	v_cmpx_nlt_f32_e32 v19, v22
	s_cbranch_execnz .LBB35_22
; %bb.19:                               ;   in Loop: Header=BB35_10 Depth=1
	s_or_b32 exec_lo, exec_lo, s17
	s_delay_alu instid0(VALU_DEP_2)
	s_and_saveexec_b32 s0, s16
	s_cbranch_execnz .LBB35_23
.LBB35_20:                              ;   in Loop: Header=BB35_10 Depth=1
	s_or_b32 exec_lo, exec_lo, s0
	s_and_saveexec_b32 s16, s2
	s_cbranch_execnz .LBB35_24
.LBB35_21:                              ;   in Loop: Header=BB35_10 Depth=1
	s_or_b32 exec_lo, exec_lo, s16
	s_add_i32 s7, s7, 1
	s_delay_alu instid0(SALU_CYCLE_1)
	s_cmp_ge_i32 s7, s4
	s_cbranch_scc1 .LBB35_9
	s_branch .LBB35_25
.LBB35_22:                              ;   in Loop: Header=BB35_10 Depth=1
	v_cmp_eq_f32_e64 s0, v19, v22
	s_waitcnt lgkmcnt(0)
	v_cmp_lt_i32_e64 s1, v20, v17
	s_delay_alu instid0(VALU_DEP_1) | instskip(SKIP_2) | instid1(SALU_CYCLE_1)
	s_and_b32 s0, s0, s1
	s_and_not1_b32 s1, s16, exec_lo
	s_and_b32 s0, s0, exec_lo
	s_or_b32 s16, s1, s0
	s_or_b32 exec_lo, exec_lo, s17
	s_and_saveexec_b32 s0, s16
	s_cbranch_execz .LBB35_20
.LBB35_23:                              ;   in Loop: Header=BB35_10 Depth=1
	s_waitcnt lgkmcnt(0)
	v_dual_mov_b32 v18, v21 :: v_dual_mov_b32 v17, v20
	s_or_b32 exec_lo, exec_lo, s0
	s_and_saveexec_b32 s16, s2
	s_cbranch_execz .LBB35_21
.LBB35_24:                              ;   in Loop: Header=BB35_10 Depth=1
	s_delay_alu instid0(VALU_DEP_1)
	v_dual_add_f32 v26, v14, v18 :: v_dual_add_nc_u32 v19, s7, v15
	v_cmp_le_i32_e64 s0, s5, v17
	v_cmp_gt_i32_e64 s1, s6, v17
	s_waitcnt lgkmcnt(1)
	v_subrev_nc_u32_e32 v21, s5, v17
	s_waitcnt lgkmcnt(0)
	v_ashrrev_i32_e32 v20, 31, v19
	v_cndmask_b32_e32 v14, v14, v26, vcc_lo
	s_and_b32 s0, s0, s1
	s_delay_alu instid0(SALU_CYCLE_1) | instskip(NEXT) | instid1(VALU_DEP_2)
	s_and_b32 s0, s15, s0
	v_lshlrev_b64 v[19:20], 2, v[19:20]
	v_cndmask_b32_e64 v25, 32, v21, s0
	s_delay_alu instid0(VALU_DEP_2) | instskip(NEXT) | instid1(VALU_DEP_1)
	v_add_co_u32 v21, s0, s12, v19
	v_add_co_ci_u32_e64 v22, s0, s13, v20, s0
	v_add_co_u32 v23, s0, s8, v19
	s_delay_alu instid0(VALU_DEP_1) | instskip(SKIP_1) | instid1(VALU_DEP_1)
	v_add_co_ci_u32_e64 v24, s0, s9, v20, s0
	v_add_co_u32 v19, s0, s10, v19
	v_add_co_ci_u32_e64 v20, s0, s11, v20, s0
	global_store_b32 v[21:22], v18, off
	global_store_b32 v[23:24], v25, off
	;; [unrolled: 1-line block ×3, first 2 shown]
	s_or_b32 exec_lo, exec_lo, s16
	s_add_i32 s7, s7, 1
	s_delay_alu instid0(SALU_CYCLE_1)
	s_cmp_ge_i32 s7, s4
	s_cbranch_scc1 .LBB35_9
.LBB35_25:                              ;   in Loop: Header=BB35_10 Depth=1
	v_ashrrev_i32_e32 v19, 31, v17
	s_mov_b32 s1, exec_lo
	s_delay_alu instid0(VALU_DEP_1) | instskip(NEXT) | instid1(VALU_DEP_1)
	v_lshrrev_b32_e32 v18, 30, v19
	v_add_nc_u32_e32 v18, v17, v18
	s_delay_alu instid0(VALU_DEP_1) | instskip(SKIP_1) | instid1(VALU_DEP_1)
	v_ashrrev_i32_e32 v18, 2, v18
	s_waitcnt lgkmcnt(0)
	v_lshrrev_b32_e32 v20, 29, v18
	s_delay_alu instid0(VALU_DEP_1) | instskip(NEXT) | instid1(VALU_DEP_1)
	v_add_nc_u32_e32 v20, v18, v20
	v_and_b32_e32 v20, -8, v20
	s_delay_alu instid0(VALU_DEP_1) | instskip(NEXT) | instid1(VALU_DEP_1)
	v_sub_nc_u32_e32 v20, v18, v20
	v_cmpx_eq_u32_e64 v9, v20
	s_cbranch_execz .LBB35_8
; %bb.26:                               ;   in Loop: Header=BB35_10 Depth=1
	v_lshrrev_b32_e32 v19, 27, v19
	v_lshlrev_b32_e32 v18, 2, v18
	s_delay_alu instid0(VALU_DEP_2) | instskip(NEXT) | instid1(VALU_DEP_2)
	v_add_nc_u32_e32 v19, v17, v19
	v_sub_nc_u32_e32 v17, v17, v18
	s_delay_alu instid0(VALU_DEP_2) | instskip(NEXT) | instid1(VALU_DEP_1)
	v_ashrrev_i32_e32 v18, 5, v19
	v_lshl_add_u32 v17, v18, 2, v17
	s_delay_alu instid0(VALU_DEP_1) | instskip(NEXT) | instid1(VALU_DEP_1)
	v_cmp_ne_u32_e64 s0, 3, v17
	v_cndmask_b32_e64 v7, 0xc61c4000, v7, s0
	v_cmp_ne_u32_e64 s0, 2, v17
	s_delay_alu instid0(VALU_DEP_1) | instskip(SKIP_1) | instid1(VALU_DEP_1)
	v_cndmask_b32_e64 v6, 0xc61c4000, v6, s0
	v_cmp_ne_u32_e64 s0, 1, v17
	v_cndmask_b32_e64 v5, 0xc61c4000, v5, s0
	v_cmp_ne_u32_e64 s0, 0, v17
	s_delay_alu instid0(VALU_DEP_1)
	v_cndmask_b32_e64 v4, 0xc61c4000, v4, s0
	s_branch .LBB35_8
.LBB35_27:
                                        ; implicit-def: $vgpr4_vgpr5_vgpr6_vgpr7
	s_and_not1_b32 vcc_lo, exec_lo, s8
	s_cbranch_vccz .LBB35_5
	s_branch .LBB35_6
.LBB35_28:
	v_mov_b32_e32 v14, 0
.LBB35_29:
	v_cmp_eq_u32_e64 s0, 0, v9
	s_delay_alu instid0(VALU_DEP_1) | instskip(NEXT) | instid1(SALU_CYCLE_1)
	s_and_b32 s0, s0, vcc_lo
	s_and_b32 exec_lo, exec_lo, s0
	s_cbranch_execz .LBB35_33
; %bb.30:
	s_and_not1_b32 vcc_lo, exec_lo, s3
	s_cbranch_vccnz .LBB35_33
; %bb.31:
	v_mul_lo_u32 v0, v8, s4
	v_cmp_lt_f32_e32 vcc_lo, 0, v14
	v_cndmask_b32_e32 v2, 1.0, v14, vcc_lo
	s_delay_alu instid0(VALU_DEP_3) | instskip(NEXT) | instid1(VALU_DEP_1)
	v_ashrrev_i32_e32 v1, 31, v0
	v_lshlrev_b64 v[0:1], 2, v[0:1]
	s_delay_alu instid0(VALU_DEP_1) | instskip(NEXT) | instid1(VALU_DEP_2)
	v_add_co_u32 v0, vcc_lo, s12, v0
	v_add_co_ci_u32_e32 v1, vcc_lo, s13, v1, vcc_lo
	.p2align	6
.LBB35_32:                              ; =>This Inner Loop Header: Depth=1
	global_load_b32 v3, v[0:1], off
	s_add_i32 s4, s4, -1
	s_delay_alu instid0(SALU_CYCLE_1) | instskip(SKIP_3) | instid1(VALU_DEP_2)
	s_cmp_lg_u32 s4, 0
	s_waitcnt vmcnt(0)
	v_div_scale_f32 v4, null, v2, v2, v3
	v_div_scale_f32 v7, vcc_lo, v3, v2, v3
	v_rcp_f32_e32 v5, v4
	s_waitcnt_depctr 0xfff
	v_fma_f32 v6, -v4, v5, 1.0
	s_delay_alu instid0(VALU_DEP_1) | instskip(NEXT) | instid1(VALU_DEP_1)
	v_fmac_f32_e32 v5, v6, v5
	v_mul_f32_e32 v6, v7, v5
	s_delay_alu instid0(VALU_DEP_1) | instskip(NEXT) | instid1(VALU_DEP_1)
	v_fma_f32 v8, -v4, v6, v7
	v_fmac_f32_e32 v6, v8, v5
	s_delay_alu instid0(VALU_DEP_1) | instskip(NEXT) | instid1(VALU_DEP_1)
	v_fma_f32 v4, -v4, v6, v7
	v_div_fmas_f32 v4, v4, v5, v6
	s_delay_alu instid0(VALU_DEP_1)
	v_div_fixup_f32 v3, v4, v2, v3
	global_store_b32 v[0:1], v3, off
	v_add_co_u32 v0, vcc_lo, v0, 4
	v_add_co_ci_u32_e32 v1, vcc_lo, 0, v1, vcc_lo
	s_cbranch_scc1 .LBB35_32
.LBB35_33:
	s_nop 0
	s_sendmsg sendmsg(MSG_DEALLOC_VGPRS)
	s_endpgm
	.section	.rodata,"a",@progbits
	.p2align	6, 0x0
	.amdhsa_kernel _ZN4vllm3moe10topkGatingILi4ELi32ELi4ELi16ELi32EjfLNS0_11ScoringFuncE0EEEvPKT5_PKbPfiPT4_PiiiibPKf
		.amdhsa_group_segment_fixed_size 0
		.amdhsa_private_segment_fixed_size 0
		.amdhsa_kernarg_size 72
		.amdhsa_user_sgpr_count 15
		.amdhsa_user_sgpr_dispatch_ptr 0
		.amdhsa_user_sgpr_queue_ptr 0
		.amdhsa_user_sgpr_kernarg_segment_ptr 1
		.amdhsa_user_sgpr_dispatch_id 0
		.amdhsa_user_sgpr_private_segment_size 0
		.amdhsa_wavefront_size32 1
		.amdhsa_uses_dynamic_stack 0
		.amdhsa_enable_private_segment 0
		.amdhsa_system_sgpr_workgroup_id_x 1
		.amdhsa_system_sgpr_workgroup_id_y 0
		.amdhsa_system_sgpr_workgroup_id_z 0
		.amdhsa_system_sgpr_workgroup_info 0
		.amdhsa_system_vgpr_workitem_id 1
		.amdhsa_next_free_vgpr 27
		.amdhsa_next_free_sgpr 18
		.amdhsa_reserve_vcc 1
		.amdhsa_float_round_mode_32 0
		.amdhsa_float_round_mode_16_64 0
		.amdhsa_float_denorm_mode_32 3
		.amdhsa_float_denorm_mode_16_64 3
		.amdhsa_dx10_clamp 1
		.amdhsa_ieee_mode 1
		.amdhsa_fp16_overflow 0
		.amdhsa_workgroup_processor_mode 1
		.amdhsa_memory_ordered 1
		.amdhsa_forward_progress 0
		.amdhsa_shared_vgpr_count 0
		.amdhsa_exception_fp_ieee_invalid_op 0
		.amdhsa_exception_fp_denorm_src 0
		.amdhsa_exception_fp_ieee_div_zero 0
		.amdhsa_exception_fp_ieee_overflow 0
		.amdhsa_exception_fp_ieee_underflow 0
		.amdhsa_exception_fp_ieee_inexact 0
		.amdhsa_exception_int_div_zero 0
	.end_amdhsa_kernel
	.section	.text._ZN4vllm3moe10topkGatingILi4ELi32ELi4ELi16ELi32EjfLNS0_11ScoringFuncE0EEEvPKT5_PKbPfiPT4_PiiiibPKf,"axG",@progbits,_ZN4vllm3moe10topkGatingILi4ELi32ELi4ELi16ELi32EjfLNS0_11ScoringFuncE0EEEvPKT5_PKbPfiPT4_PiiiibPKf,comdat
.Lfunc_end35:
	.size	_ZN4vllm3moe10topkGatingILi4ELi32ELi4ELi16ELi32EjfLNS0_11ScoringFuncE0EEEvPKT5_PKbPfiPT4_PiiiibPKf, .Lfunc_end35-_ZN4vllm3moe10topkGatingILi4ELi32ELi4ELi16ELi32EjfLNS0_11ScoringFuncE0EEEvPKT5_PKbPfiPT4_PiiiibPKf
                                        ; -- End function
	.section	.AMDGPU.csdata,"",@progbits
; Kernel info:
; codeLenInByte = 2376
; NumSgprs: 20
; NumVgprs: 27
; ScratchSize: 0
; MemoryBound: 0
; FloatMode: 240
; IeeeMode: 1
; LDSByteSize: 0 bytes/workgroup (compile time only)
; SGPRBlocks: 2
; VGPRBlocks: 3
; NumSGPRsForWavesPerEU: 20
; NumVGPRsForWavesPerEU: 27
; Occupancy: 16
; WaveLimiterHint : 0
; COMPUTE_PGM_RSRC2:SCRATCH_EN: 0
; COMPUTE_PGM_RSRC2:USER_SGPR: 15
; COMPUTE_PGM_RSRC2:TRAP_HANDLER: 0
; COMPUTE_PGM_RSRC2:TGID_X_EN: 1
; COMPUTE_PGM_RSRC2:TGID_Y_EN: 0
; COMPUTE_PGM_RSRC2:TGID_Z_EN: 0
; COMPUTE_PGM_RSRC2:TIDIG_COMP_CNT: 1
	.section	.text._ZN4vllm3moe10topkGatingILi4ELi64ELi4ELi16ELi64EjfLNS0_11ScoringFuncE0EEEvPKT5_PKbPfiPT4_PiiiibPKf,"axG",@progbits,_ZN4vllm3moe10topkGatingILi4ELi64ELi4ELi16ELi64EjfLNS0_11ScoringFuncE0EEEvPKT5_PKbPfiPT4_PiiiibPKf,comdat
	.protected	_ZN4vllm3moe10topkGatingILi4ELi64ELi4ELi16ELi64EjfLNS0_11ScoringFuncE0EEEvPKT5_PKbPfiPT4_PiiiibPKf ; -- Begin function _ZN4vllm3moe10topkGatingILi4ELi64ELi4ELi16ELi64EjfLNS0_11ScoringFuncE0EEEvPKT5_PKbPfiPT4_PiiiibPKf
	.globl	_ZN4vllm3moe10topkGatingILi4ELi64ELi4ELi16ELi64EjfLNS0_11ScoringFuncE0EEEvPKT5_PKbPfiPT4_PiiiibPKf
	.p2align	8
	.type	_ZN4vllm3moe10topkGatingILi4ELi64ELi4ELi16ELi64EjfLNS0_11ScoringFuncE0EEEvPKT5_PKbPfiPT4_PiiiibPKf,@function
_ZN4vllm3moe10topkGatingILi4ELi64ELi4ELi16ELi64EjfLNS0_11ScoringFuncE0EEEvPKT5_PKbPfiPT4_PiiiibPKf: ; @_ZN4vllm3moe10topkGatingILi4ELi64ELi4ELi16ELi64EjfLNS0_11ScoringFuncE0EEEvPKT5_PKbPfiPT4_PiiiibPKf
; %bb.0:
	s_load_b32 s14, s[0:1], 0x18
	v_bfe_u32 v1, v0, 10, 10
	v_and_b32_e32 v0, 0x3ff, v0
	s_lshl_b32 s2, s15, 4
	s_delay_alu instid0(VALU_DEP_2) | instskip(NEXT) | instid1(VALU_DEP_2)
	v_lshlrev_b32_e32 v1, 2, v1
	v_lshrrev_b32_e32 v2, 4, v0
	s_delay_alu instid0(VALU_DEP_1) | instskip(SKIP_2) | instid1(VALU_DEP_1)
	v_add3_u32 v8, s2, v1, v2
	s_mov_b32 s2, exec_lo
	s_waitcnt lgkmcnt(0)
	v_cmpx_gt_i32_e64 s14, v8
	s_cbranch_execz .LBB36_37
; %bb.1:
	s_clause 0x1
	s_load_b128 s[4:7], s[0:1], 0x0
	s_load_b64 s[12:13], s[0:1], 0x10
	s_mov_b32 s8, -1
	s_mov_b32 s15, -1
	s_waitcnt lgkmcnt(0)
	s_cmp_eq_u64 s[6:7], 0
	s_cbranch_scc1 .LBB36_3
; %bb.2:
	v_ashrrev_i32_e32 v2, 31, v8
	v_add_co_u32 v1, vcc_lo, s6, v8
	s_delay_alu instid0(VALU_DEP_2) | instskip(SKIP_3) | instid1(VALU_DEP_1)
	v_add_co_ci_u32_e32 v2, vcc_lo, s7, v2, vcc_lo
	global_load_u8 v1, v[1:2], off
	s_waitcnt vmcnt(0)
	v_and_b32_e32 v1, 1, v1
	v_cmp_eq_u32_e32 vcc_lo, 1, v1
	s_xor_b32 s2, vcc_lo, -1
	s_delay_alu instid0(SALU_CYCLE_1)
	s_or_not1_b32 s15, s2, exec_lo
.LBB36_3:
	v_mbcnt_lo_u32_b32 v4, -1, 0
	v_and_b32_e32 v9, 15, v0
	s_load_b64 s[2:3], s[0:1], 0x40
	s_delay_alu instid0(VALU_DEP_2)
	v_xor_b32_e32 v6, 8, v4
	v_lshlrev_b32_e32 v1, 6, v8
	v_and_b32_e32 v5, 16, v4
	v_xor_b32_e32 v11, 4, v4
	v_xor_b32_e32 v12, 2, v4
	;; [unrolled: 1-line block ×3, first 2 shown]
	v_ashrrev_i32_e32 v2, 31, v1
	s_delay_alu instid0(VALU_DEP_1) | instskip(SKIP_3) | instid1(VALU_DEP_2)
	v_lshlrev_b64 v[0:1], 2, v[1:2]
	v_lshlrev_b32_e32 v2, 4, v9
	s_waitcnt lgkmcnt(0)
	s_cmp_eq_u64 s[2:3], 0
	v_add_co_u32 v0, vcc_lo, s4, v0
	s_delay_alu instid0(VALU_DEP_3) | instskip(NEXT) | instid1(VALU_DEP_2)
	v_add_co_ci_u32_e32 v1, vcc_lo, s5, v1, vcc_lo
	v_add_co_u32 v0, vcc_lo, v0, v2
	s_delay_alu instid0(VALU_DEP_2) | instskip(SKIP_3) | instid1(VALU_DEP_1)
	v_add_co_ci_u32_e32 v1, vcc_lo, 0, v1, vcc_lo
	global_load_b128 v[0:3], v[0:1], off
	s_waitcnt vmcnt(0)
	v_dual_max_f32 v10, v0, v0 :: v_dual_add_nc_u32 v5, 16, v5
	v_cmp_lt_i32_e32 vcc_lo, v6, v5
	v_dual_cndmask_b32 v6, v4, v6 :: v_dual_max_f32 v7, v1, v1
	v_cmp_lt_i32_e32 vcc_lo, v11, v5
	s_delay_alu instid0(VALU_DEP_2) | instskip(SKIP_2) | instid1(VALU_DEP_3)
	v_dual_max_f32 v7, v10, v7 :: v_dual_lshlrev_b32 v10, 2, v6
	v_cndmask_b32_e32 v11, v4, v11, vcc_lo
	v_cmp_lt_i32_e32 vcc_lo, v12, v5
	v_max3_f32 v6, v7, v2, v3
	v_cndmask_b32_e32 v12, v4, v12, vcc_lo
	v_cmp_lt_i32_e32 vcc_lo, v13, v5
	ds_bpermute_b32 v7, v10, v6
	v_lshlrev_b32_e32 v12, 2, v12
	v_dual_cndmask_b32 v4, v4, v13 :: v_dual_lshlrev_b32 v11, 2, v11
	s_delay_alu instid0(VALU_DEP_1) | instskip(SKIP_2) | instid1(VALU_DEP_1)
	v_lshlrev_b32_e32 v13, 2, v4
	s_waitcnt lgkmcnt(0)
	v_max_f32_e32 v7, v7, v7
	v_max_f32_e32 v6, v6, v7
	ds_bpermute_b32 v7, v11, v6
	s_waitcnt lgkmcnt(0)
	v_max_f32_e32 v7, v7, v7
	s_delay_alu instid0(VALU_DEP_1) | instskip(SKIP_3) | instid1(VALU_DEP_1)
	v_max_f32_e32 v6, v6, v7
	ds_bpermute_b32 v7, v12, v6
	s_waitcnt lgkmcnt(0)
	v_max_f32_e32 v5, v7, v7
	v_max_f32_e32 v4, v6, v5
	ds_bpermute_b32 v5, v13, v4
	s_waitcnt lgkmcnt(0)
	v_max_f32_e32 v5, v5, v5
	s_delay_alu instid0(VALU_DEP_1) | instskip(NEXT) | instid1(VALU_DEP_1)
	v_max_f32_e32 v4, v4, v5
	v_sub_f32_e32 v2, v2, v4
	v_sub_f32_e32 v0, v0, v4
	;; [unrolled: 1-line block ×3, first 2 shown]
	s_delay_alu instid0(VALU_DEP_3) | instskip(NEXT) | instid1(VALU_DEP_2)
	v_dual_sub_f32 v3, v3, v4 :: v_dual_mul_f32 v6, 0x3fb8aa3b, v2
	v_dual_mul_f32 v4, 0x3fb8aa3b, v0 :: v_dual_mul_f32 v5, 0x3fb8aa3b, v1
	v_cmp_ngt_f32_e32 vcc_lo, 0xc2ce8ed0, v0
	s_delay_alu instid0(VALU_DEP_3) | instskip(NEXT) | instid1(VALU_DEP_3)
	v_fma_f32 v18, 0x3fb8aa3b, v2, -v6
	v_fma_f32 v14, 0x3fb8aa3b, v0, -v4
	v_rndne_f32_e32 v15, v4
	v_rndne_f32_e32 v17, v5
	v_fma_f32 v16, 0x3fb8aa3b, v1, -v5
	v_rndne_f32_e32 v19, v6
	v_fmac_f32_e32 v14, 0x32a5705f, v0
	s_delay_alu instid0(VALU_DEP_4) | instskip(NEXT) | instid1(VALU_DEP_1)
	v_dual_sub_f32 v4, v4, v15 :: v_dual_sub_f32 v5, v5, v17
	v_dual_mul_f32 v7, 0x3fb8aa3b, v3 :: v_dual_add_f32 v4, v4, v14
	v_cvt_i32_f32_e32 v14, v15
	s_delay_alu instid0(VALU_DEP_2) | instskip(SKIP_4) | instid1(VALU_DEP_3)
	v_fma_f32 v20, 0x3fb8aa3b, v3, -v7
	v_rndne_f32_e32 v21, v7
	v_fmac_f32_e32 v18, 0x32a5705f, v2
	v_exp_f32_e32 v4, v4
	v_cvt_i32_f32_e32 v15, v17
	v_sub_f32_e32 v7, v7, v21
	v_cvt_i32_f32_e32 v17, v21
	s_waitcnt_depctr 0xfff
	v_ldexp_f32 v4, v4, v14
	s_delay_alu instid0(VALU_DEP_1) | instskip(SKIP_2) | instid1(VALU_DEP_1)
	v_cndmask_b32_e32 v4, 0, v4, vcc_lo
	v_cmp_ngt_f32_e32 vcc_lo, 0xc2ce8ed0, v1
	v_fmac_f32_e32 v20, 0x32a5705f, v3
	v_dual_fmac_f32 v16, 0x32a5705f, v1 :: v_dual_add_f32 v7, v7, v20
	s_delay_alu instid0(VALU_DEP_1) | instskip(SKIP_1) | instid1(VALU_DEP_3)
	v_dual_sub_f32 v6, v6, v19 :: v_dual_add_f32 v5, v5, v16
	v_cvt_i32_f32_e32 v16, v19
	v_exp_f32_e32 v7, v7
	s_delay_alu instid0(VALU_DEP_2) | instskip(SKIP_3) | instid1(VALU_DEP_1)
	v_exp_f32_e32 v5, v5
	s_waitcnt_depctr 0xfff
	v_ldexp_f32 v7, v7, v17
	v_ldexp_f32 v5, v5, v15
	v_dual_cndmask_b32 v5, 0, v5 :: v_dual_add_f32 v6, v6, v18
	v_cmp_ngt_f32_e32 vcc_lo, 0xc2ce8ed0, v2
	s_delay_alu instid0(VALU_DEP_2) | instskip(SKIP_2) | instid1(VALU_DEP_1)
	v_exp_f32_e32 v6, v6
	s_waitcnt_depctr 0xfff
	v_ldexp_f32 v6, v6, v16
	v_cndmask_b32_e32 v6, 0, v6, vcc_lo
	v_cmp_nlt_f32_e32 vcc_lo, 0x42b17218, v0
	v_cndmask_b32_e32 v0, 0x7f800000, v4, vcc_lo
	v_cmp_nlt_f32_e32 vcc_lo, 0x42b17218, v1
	v_cndmask_b32_e32 v1, 0x7f800000, v5, vcc_lo
	v_cmp_ngt_f32_e32 vcc_lo, 0xc2ce8ed0, v3
	s_delay_alu instid0(VALU_DEP_2) | instskip(SKIP_3) | instid1(VALU_DEP_2)
	v_dual_add_f32 v5, v0, v1 :: v_dual_cndmask_b32 v4, 0, v7
	v_cmp_nlt_f32_e32 vcc_lo, 0x42b17218, v2
	v_cndmask_b32_e32 v2, 0x7f800000, v6, vcc_lo
	v_cmp_nlt_f32_e32 vcc_lo, 0x42b17218, v3
	v_dual_cndmask_b32 v3, 0x7f800000, v4 :: v_dual_add_f32 v4, v5, v2
	s_delay_alu instid0(VALU_DEP_1)
	v_add_f32_e32 v4, v4, v3
	ds_bpermute_b32 v5, v10, v4
	s_waitcnt lgkmcnt(0)
	v_add_f32_e32 v4, v4, v5
	ds_bpermute_b32 v5, v11, v4
	s_waitcnt lgkmcnt(0)
	v_add_f32_e32 v4, v4, v5
	ds_bpermute_b32 v5, v12, v4
	s_waitcnt lgkmcnt(0)
	v_add_f32_e32 v4, v4, v5
	ds_bpermute_b32 v5, v13, v4
	s_waitcnt lgkmcnt(0)
	v_add_f32_e32 v4, v4, v5
	s_delay_alu instid0(VALU_DEP_1) | instskip(SKIP_1) | instid1(VALU_DEP_2)
	v_div_scale_f32 v5, null, v4, v4, 1.0
	v_div_scale_f32 v14, vcc_lo, 1.0, v4, 1.0
	v_rcp_f32_e32 v6, v5
	s_waitcnt_depctr 0xfff
	v_fma_f32 v7, -v5, v6, 1.0
	s_delay_alu instid0(VALU_DEP_1) | instskip(NEXT) | instid1(VALU_DEP_1)
	v_fmac_f32_e32 v6, v7, v6
	v_mul_f32_e32 v7, v14, v6
	s_delay_alu instid0(VALU_DEP_1) | instskip(NEXT) | instid1(VALU_DEP_1)
	v_fma_f32 v15, -v5, v7, v14
	v_fmac_f32_e32 v7, v15, v6
	s_delay_alu instid0(VALU_DEP_1) | instskip(SKIP_1) | instid1(VALU_DEP_2)
	v_fma_f32 v5, -v5, v7, v14
	v_lshlrev_b32_e32 v14, 2, v9
	v_div_fmas_f32 v5, v5, v6, v7
	s_delay_alu instid0(VALU_DEP_1) | instskip(NEXT) | instid1(VALU_DEP_1)
	v_div_fixup_f32 v4, v5, v4, 1.0
	v_mul_f32_e32 v0, v4, v0
	v_mul_f32_e32 v1, v4, v1
	;; [unrolled: 1-line block ×4, first 2 shown]
	s_delay_alu instid0(VALU_DEP_4)
	v_cmp_class_f32_e64 vcc_lo, v0, 0x1f8
	v_cndmask_b32_e32 v0, 0, v0, vcc_lo
	v_cmp_class_f32_e64 vcc_lo, v1, 0x1f8
	v_cndmask_b32_e32 v1, 0, v1, vcc_lo
	;; [unrolled: 2-line block ×4, first 2 shown]
	s_cbranch_scc1 .LBB36_31
; %bb.4:
	v_lshlrev_b32_e32 v4, 2, v14
	global_load_b128 v[4:7], v4, s[2:3]
	s_waitcnt vmcnt(0)
	v_dual_add_f32 v5, v5, v1 :: v_dual_add_f32 v4, v4, v0
	v_dual_add_f32 v7, v7, v3 :: v_dual_add_f32 v6, v6, v2
	s_cbranch_execnz .LBB36_6
.LBB36_5:
	v_dual_mov_b32 v7, v3 :: v_dual_mov_b32 v6, v2
	v_dual_mov_b32 v5, v1 :: v_dual_mov_b32 v4, v0
.LBB36_6:
	s_load_b128 s[4:7], s[0:1], 0x30
	v_cmp_eq_u32_e64 s2, 0, v9
	s_waitcnt lgkmcnt(0)
	s_bitcmp1_b32 s7, 0
	s_mov_b32 s7, 0
	s_cselect_b32 vcc_lo, -1, 0
	s_cmp_gt_i32 s4, 0
	s_cselect_b32 s3, -1, 0
	s_cmp_lt_i32 s4, 1
	s_cbranch_scc1 .LBB36_32
; %bb.7:
	s_load_b128 s[8:11], s[0:1], 0x20
	v_mul_lo_u32 v16, v8, s4
	v_mov_b32_e32 v15, 0
	v_mov_b32_e32 v17, v8
	s_branch .LBB36_10
.LBB36_8:                               ;   in Loop: Header=BB36_10 Depth=1
	s_or_b32 exec_lo, exec_lo, s1
.LBB36_9:                               ;   in Loop: Header=BB36_10 Depth=1
	v_add_nc_u32_e32 v17, s14, v17
	s_cmp_eq_u32 s4, s7
	s_cbranch_scc1 .LBB36_33
.LBB36_10:                              ; =>This Inner Loop Header: Depth=1
	v_cmp_gt_f32_e64 s0, v5, v4
	s_mov_b32 s17, exec_lo
	s_delay_alu instid0(VALU_DEP_1) | instskip(SKIP_2) | instid1(VALU_DEP_3)
	v_cndmask_b32_e64 v18, v4, v5, s0
	v_cndmask_b32_e64 v19, 0, 1, s0
	;; [unrolled: 1-line block ×3, first 2 shown]
	v_cmp_gt_f32_e64 s1, v6, v18
	s_delay_alu instid0(VALU_DEP_1) | instskip(NEXT) | instid1(VALU_DEP_4)
	v_cndmask_b32_e64 v18, v18, v6, s1
	v_cndmask_b32_e64 v19, v19, 2, s1
	s_waitcnt lgkmcnt(0)
	v_cndmask_b32_e64 v21, v20, v2, s1
	s_delay_alu instid0(VALU_DEP_3) | instskip(NEXT) | instid1(VALU_DEP_1)
	v_cmp_gt_f32_e64 s0, v7, v18
	v_cndmask_b32_e64 v20, v18, v7, s0
	v_cndmask_b32_e64 v18, v19, 3, s0
	s_delay_alu instid0(VALU_DEP_4)
	v_cndmask_b32_e64 v19, v21, v3, s0
	ds_bpermute_b32 v21, v10, v20
	v_or_b32_e32 v18, v14, v18
	ds_bpermute_b32 v23, v10, v19
	ds_bpermute_b32 v22, v10, v18
	s_waitcnt lgkmcnt(0)
	v_cmp_lt_f32_e64 s16, v20, v21
	v_cmpx_nlt_f32_e32 v20, v21
; %bb.11:                               ;   in Loop: Header=BB36_10 Depth=1
	v_cmp_eq_f32_e64 s0, v20, v21
	v_cmp_lt_i32_e64 s1, v22, v18
	s_delay_alu instid0(VALU_DEP_1) | instskip(SKIP_2) | instid1(SALU_CYCLE_1)
	s_and_b32 s0, s0, s1
	s_and_not1_b32 s1, s16, exec_lo
	s_and_b32 s0, s0, exec_lo
	s_or_b32 s16, s1, s0
; %bb.12:                               ;   in Loop: Header=BB36_10 Depth=1
	s_or_b32 exec_lo, exec_lo, s17
	s_and_saveexec_b32 s0, s16
; %bb.13:                               ;   in Loop: Header=BB36_10 Depth=1
	v_dual_mov_b32 v19, v23 :: v_dual_mov_b32 v20, v21
	v_mov_b32_e32 v18, v22
; %bb.14:                               ;   in Loop: Header=BB36_10 Depth=1
	s_or_b32 exec_lo, exec_lo, s0
	ds_bpermute_b32 v22, v11, v20
	ds_bpermute_b32 v23, v11, v19
	;; [unrolled: 1-line block ×3, first 2 shown]
	s_mov_b32 s17, exec_lo
	s_waitcnt lgkmcnt(2)
	v_cmp_lt_f32_e64 s16, v20, v22
	v_cmpx_nlt_f32_e32 v20, v22
	s_cbranch_execz .LBB36_16
; %bb.15:                               ;   in Loop: Header=BB36_10 Depth=1
	v_cmp_eq_f32_e64 s0, v20, v22
	s_waitcnt lgkmcnt(0)
	v_cmp_lt_i32_e64 s1, v21, v18
	s_delay_alu instid0(VALU_DEP_1) | instskip(SKIP_2) | instid1(SALU_CYCLE_1)
	s_and_b32 s0, s0, s1
	s_and_not1_b32 s1, s16, exec_lo
	s_and_b32 s0, s0, exec_lo
	s_or_b32 s16, s1, s0
.LBB36_16:                              ;   in Loop: Header=BB36_10 Depth=1
	s_or_b32 exec_lo, exec_lo, s17
	s_delay_alu instid0(VALU_DEP_2)
	s_and_saveexec_b32 s0, s16
	s_cbranch_execz .LBB36_18
; %bb.17:                               ;   in Loop: Header=BB36_10 Depth=1
	s_waitcnt lgkmcnt(1)
	v_dual_mov_b32 v19, v23 :: v_dual_mov_b32 v20, v22
	s_waitcnt lgkmcnt(0)
	v_mov_b32_e32 v18, v21
.LBB36_18:                              ;   in Loop: Header=BB36_10 Depth=1
	s_or_b32 exec_lo, exec_lo, s0
	ds_bpermute_b32 v22, v12, v20
	s_waitcnt lgkmcnt(2)
	ds_bpermute_b32 v23, v12, v19
	s_waitcnt lgkmcnt(2)
	ds_bpermute_b32 v21, v12, v18
	s_mov_b32 s17, exec_lo
	s_waitcnt lgkmcnt(2)
	v_cmp_lt_f32_e64 s16, v20, v22
	v_cmpx_nlt_f32_e32 v20, v22
	s_cbranch_execz .LBB36_20
; %bb.19:                               ;   in Loop: Header=BB36_10 Depth=1
	v_cmp_eq_f32_e64 s0, v20, v22
	s_waitcnt lgkmcnt(0)
	v_cmp_lt_i32_e64 s1, v21, v18
	s_delay_alu instid0(VALU_DEP_1) | instskip(SKIP_2) | instid1(SALU_CYCLE_1)
	s_and_b32 s0, s0, s1
	s_and_not1_b32 s1, s16, exec_lo
	s_and_b32 s0, s0, exec_lo
	s_or_b32 s16, s1, s0
.LBB36_20:                              ;   in Loop: Header=BB36_10 Depth=1
	s_or_b32 exec_lo, exec_lo, s17
	s_delay_alu instid0(VALU_DEP_2)
	s_and_saveexec_b32 s0, s16
	s_cbranch_execz .LBB36_22
; %bb.21:                               ;   in Loop: Header=BB36_10 Depth=1
	s_waitcnt lgkmcnt(1)
	v_dual_mov_b32 v19, v23 :: v_dual_mov_b32 v20, v22
	s_waitcnt lgkmcnt(0)
	v_mov_b32_e32 v18, v21
.LBB36_22:                              ;   in Loop: Header=BB36_10 Depth=1
	s_or_b32 exec_lo, exec_lo, s0
	s_waitcnt lgkmcnt(1)
	ds_bpermute_b32 v23, v13, v20
	ds_bpermute_b32 v22, v13, v19
	s_waitcnt lgkmcnt(2)
	ds_bpermute_b32 v21, v13, v18
	s_mov_b32 s17, exec_lo
	s_waitcnt lgkmcnt(2)
	v_cmp_lt_f32_e64 s16, v20, v23
	v_cmpx_nlt_f32_e32 v20, v23
	s_cbranch_execnz .LBB36_26
; %bb.23:                               ;   in Loop: Header=BB36_10 Depth=1
	s_or_b32 exec_lo, exec_lo, s17
	s_delay_alu instid0(VALU_DEP_2)
	s_and_saveexec_b32 s0, s16
	s_cbranch_execnz .LBB36_27
.LBB36_24:                              ;   in Loop: Header=BB36_10 Depth=1
	s_or_b32 exec_lo, exec_lo, s0
	s_and_saveexec_b32 s16, s2
	s_cbranch_execnz .LBB36_28
.LBB36_25:                              ;   in Loop: Header=BB36_10 Depth=1
	s_or_b32 exec_lo, exec_lo, s16
	s_add_i32 s7, s7, 1
	s_delay_alu instid0(SALU_CYCLE_1)
	s_cmp_ge_i32 s7, s4
	s_cbranch_scc1 .LBB36_9
	s_branch .LBB36_29
.LBB36_26:                              ;   in Loop: Header=BB36_10 Depth=1
	v_cmp_eq_f32_e64 s0, v20, v23
	s_waitcnt lgkmcnt(0)
	v_cmp_lt_i32_e64 s1, v21, v18
	s_delay_alu instid0(VALU_DEP_1) | instskip(SKIP_2) | instid1(SALU_CYCLE_1)
	s_and_b32 s0, s0, s1
	s_and_not1_b32 s1, s16, exec_lo
	s_and_b32 s0, s0, exec_lo
	s_or_b32 s16, s1, s0
	s_or_b32 exec_lo, exec_lo, s17
	s_and_saveexec_b32 s0, s16
	s_cbranch_execz .LBB36_24
.LBB36_27:                              ;   in Loop: Header=BB36_10 Depth=1
	s_waitcnt lgkmcnt(0)
	v_dual_mov_b32 v19, v22 :: v_dual_mov_b32 v18, v21
	s_or_b32 exec_lo, exec_lo, s0
	s_and_saveexec_b32 s16, s2
	s_cbranch_execz .LBB36_25
.LBB36_28:                              ;   in Loop: Header=BB36_10 Depth=1
	s_delay_alu instid0(VALU_DEP_1)
	v_dual_add_f32 v27, v15, v19 :: v_dual_add_nc_u32 v20, s7, v16
	v_cmp_le_i32_e64 s0, s5, v18
	v_cmp_gt_i32_e64 s1, s6, v18
	s_waitcnt lgkmcnt(1)
	v_subrev_nc_u32_e32 v22, s5, v18
	s_waitcnt lgkmcnt(0)
	v_ashrrev_i32_e32 v21, 31, v20
	v_cndmask_b32_e32 v15, v15, v27, vcc_lo
	s_and_b32 s0, s0, s1
	s_delay_alu instid0(SALU_CYCLE_1) | instskip(NEXT) | instid1(VALU_DEP_2)
	s_and_b32 s0, s15, s0
	v_lshlrev_b64 v[20:21], 2, v[20:21]
	v_cndmask_b32_e64 v26, 64, v22, s0
	s_delay_alu instid0(VALU_DEP_2) | instskip(NEXT) | instid1(VALU_DEP_1)
	v_add_co_u32 v22, s0, s12, v20
	v_add_co_ci_u32_e64 v23, s0, s13, v21, s0
	v_add_co_u32 v24, s0, s8, v20
	s_delay_alu instid0(VALU_DEP_1) | instskip(SKIP_1) | instid1(VALU_DEP_1)
	v_add_co_ci_u32_e64 v25, s0, s9, v21, s0
	v_add_co_u32 v20, s0, s10, v20
	v_add_co_ci_u32_e64 v21, s0, s11, v21, s0
	global_store_b32 v[22:23], v19, off
	global_store_b32 v[24:25], v26, off
	global_store_b32 v[20:21], v17, off
	s_or_b32 exec_lo, exec_lo, s16
	s_add_i32 s7, s7, 1
	s_delay_alu instid0(SALU_CYCLE_1)
	s_cmp_ge_i32 s7, s4
	s_cbranch_scc1 .LBB36_9
.LBB36_29:                              ;   in Loop: Header=BB36_10 Depth=1
	v_ashrrev_i32_e32 v19, 31, v18
	s_mov_b32 s1, exec_lo
	s_delay_alu instid0(VALU_DEP_1) | instskip(NEXT) | instid1(VALU_DEP_1)
	v_lshrrev_b32_e32 v20, 30, v19
	v_add_nc_u32_e32 v20, v18, v20
	s_waitcnt lgkmcnt(0)
	s_delay_alu instid0(VALU_DEP_1) | instskip(SKIP_1) | instid1(VALU_DEP_2)
	v_ashrrev_i32_e32 v21, 31, v20
	v_ashrrev_i32_e32 v20, 2, v20
	v_lshrrev_b32_e32 v21, 28, v21
	s_delay_alu instid0(VALU_DEP_1) | instskip(NEXT) | instid1(VALU_DEP_1)
	v_add_nc_u32_e32 v21, v20, v21
	v_and_b32_e32 v21, -16, v21
	s_delay_alu instid0(VALU_DEP_1) | instskip(NEXT) | instid1(VALU_DEP_1)
	v_sub_nc_u32_e32 v21, v20, v21
	v_cmpx_eq_u32_e64 v9, v21
	s_cbranch_execz .LBB36_8
; %bb.30:                               ;   in Loop: Header=BB36_10 Depth=1
	v_lshrrev_b32_e32 v19, 26, v19
	v_lshlrev_b32_e32 v20, 2, v20
	s_delay_alu instid0(VALU_DEP_2) | instskip(NEXT) | instid1(VALU_DEP_2)
	v_add_nc_u32_e32 v19, v18, v19
	v_sub_nc_u32_e32 v18, v18, v20
	s_delay_alu instid0(VALU_DEP_2) | instskip(NEXT) | instid1(VALU_DEP_1)
	v_ashrrev_i32_e32 v19, 6, v19
	v_lshl_add_u32 v18, v19, 2, v18
	s_delay_alu instid0(VALU_DEP_1) | instskip(NEXT) | instid1(VALU_DEP_1)
	v_cmp_ne_u32_e64 s0, 3, v18
	v_cndmask_b32_e64 v7, 0xc61c4000, v7, s0
	v_cmp_ne_u32_e64 s0, 2, v18
	s_delay_alu instid0(VALU_DEP_1) | instskip(SKIP_1) | instid1(VALU_DEP_1)
	v_cndmask_b32_e64 v6, 0xc61c4000, v6, s0
	v_cmp_ne_u32_e64 s0, 1, v18
	v_cndmask_b32_e64 v5, 0xc61c4000, v5, s0
	v_cmp_ne_u32_e64 s0, 0, v18
	s_delay_alu instid0(VALU_DEP_1)
	v_cndmask_b32_e64 v4, 0xc61c4000, v4, s0
	s_branch .LBB36_8
.LBB36_31:
                                        ; implicit-def: $vgpr4_vgpr5_vgpr6_vgpr7
	s_and_not1_b32 vcc_lo, exec_lo, s8
	s_cbranch_vccz .LBB36_5
	s_branch .LBB36_6
.LBB36_32:
	v_mov_b32_e32 v15, 0
.LBB36_33:
	v_cmp_eq_u32_e64 s0, 0, v9
	s_delay_alu instid0(VALU_DEP_1) | instskip(NEXT) | instid1(SALU_CYCLE_1)
	s_and_b32 s0, s0, vcc_lo
	s_and_b32 exec_lo, exec_lo, s0
	s_cbranch_execz .LBB36_37
; %bb.34:
	s_and_not1_b32 vcc_lo, exec_lo, s3
	s_cbranch_vccnz .LBB36_37
; %bb.35:
	v_mul_lo_u32 v0, v8, s4
	v_cmp_lt_f32_e32 vcc_lo, 0, v15
	v_cndmask_b32_e32 v2, 1.0, v15, vcc_lo
	s_delay_alu instid0(VALU_DEP_3) | instskip(NEXT) | instid1(VALU_DEP_1)
	v_ashrrev_i32_e32 v1, 31, v0
	v_lshlrev_b64 v[0:1], 2, v[0:1]
	s_delay_alu instid0(VALU_DEP_1) | instskip(NEXT) | instid1(VALU_DEP_2)
	v_add_co_u32 v0, vcc_lo, s12, v0
	v_add_co_ci_u32_e32 v1, vcc_lo, s13, v1, vcc_lo
	.p2align	6
.LBB36_36:                              ; =>This Inner Loop Header: Depth=1
	global_load_b32 v3, v[0:1], off
	s_add_i32 s4, s4, -1
	s_delay_alu instid0(SALU_CYCLE_1) | instskip(SKIP_3) | instid1(VALU_DEP_2)
	s_cmp_lg_u32 s4, 0
	s_waitcnt vmcnt(0)
	v_div_scale_f32 v4, null, v2, v2, v3
	v_div_scale_f32 v7, vcc_lo, v3, v2, v3
	v_rcp_f32_e32 v5, v4
	s_waitcnt_depctr 0xfff
	v_fma_f32 v6, -v4, v5, 1.0
	s_delay_alu instid0(VALU_DEP_1) | instskip(NEXT) | instid1(VALU_DEP_1)
	v_fmac_f32_e32 v5, v6, v5
	v_mul_f32_e32 v6, v7, v5
	s_delay_alu instid0(VALU_DEP_1) | instskip(NEXT) | instid1(VALU_DEP_1)
	v_fma_f32 v8, -v4, v6, v7
	v_fmac_f32_e32 v6, v8, v5
	s_delay_alu instid0(VALU_DEP_1) | instskip(NEXT) | instid1(VALU_DEP_1)
	v_fma_f32 v4, -v4, v6, v7
	v_div_fmas_f32 v4, v4, v5, v6
	s_delay_alu instid0(VALU_DEP_1)
	v_div_fixup_f32 v3, v4, v2, v3
	global_store_b32 v[0:1], v3, off
	v_add_co_u32 v0, vcc_lo, v0, 4
	v_add_co_ci_u32_e32 v1, vcc_lo, 0, v1, vcc_lo
	s_cbranch_scc1 .LBB36_36
.LBB36_37:
	s_nop 0
	s_sendmsg sendmsg(MSG_DEALLOC_VGPRS)
	s_endpgm
	.section	.rodata,"a",@progbits
	.p2align	6, 0x0
	.amdhsa_kernel _ZN4vllm3moe10topkGatingILi4ELi64ELi4ELi16ELi64EjfLNS0_11ScoringFuncE0EEEvPKT5_PKbPfiPT4_PiiiibPKf
		.amdhsa_group_segment_fixed_size 0
		.amdhsa_private_segment_fixed_size 0
		.amdhsa_kernarg_size 72
		.amdhsa_user_sgpr_count 15
		.amdhsa_user_sgpr_dispatch_ptr 0
		.amdhsa_user_sgpr_queue_ptr 0
		.amdhsa_user_sgpr_kernarg_segment_ptr 1
		.amdhsa_user_sgpr_dispatch_id 0
		.amdhsa_user_sgpr_private_segment_size 0
		.amdhsa_wavefront_size32 1
		.amdhsa_uses_dynamic_stack 0
		.amdhsa_enable_private_segment 0
		.amdhsa_system_sgpr_workgroup_id_x 1
		.amdhsa_system_sgpr_workgroup_id_y 0
		.amdhsa_system_sgpr_workgroup_id_z 0
		.amdhsa_system_sgpr_workgroup_info 0
		.amdhsa_system_vgpr_workitem_id 1
		.amdhsa_next_free_vgpr 28
		.amdhsa_next_free_sgpr 18
		.amdhsa_reserve_vcc 1
		.amdhsa_float_round_mode_32 0
		.amdhsa_float_round_mode_16_64 0
		.amdhsa_float_denorm_mode_32 3
		.amdhsa_float_denorm_mode_16_64 3
		.amdhsa_dx10_clamp 1
		.amdhsa_ieee_mode 1
		.amdhsa_fp16_overflow 0
		.amdhsa_workgroup_processor_mode 1
		.amdhsa_memory_ordered 1
		.amdhsa_forward_progress 0
		.amdhsa_shared_vgpr_count 0
		.amdhsa_exception_fp_ieee_invalid_op 0
		.amdhsa_exception_fp_denorm_src 0
		.amdhsa_exception_fp_ieee_div_zero 0
		.amdhsa_exception_fp_ieee_overflow 0
		.amdhsa_exception_fp_ieee_underflow 0
		.amdhsa_exception_fp_ieee_inexact 0
		.amdhsa_exception_int_div_zero 0
	.end_amdhsa_kernel
	.section	.text._ZN4vllm3moe10topkGatingILi4ELi64ELi4ELi16ELi64EjfLNS0_11ScoringFuncE0EEEvPKT5_PKbPfiPT4_PiiiibPKf,"axG",@progbits,_ZN4vllm3moe10topkGatingILi4ELi64ELi4ELi16ELi64EjfLNS0_11ScoringFuncE0EEEvPKT5_PKbPfiPT4_PiiiibPKf,comdat
.Lfunc_end36:
	.size	_ZN4vllm3moe10topkGatingILi4ELi64ELi4ELi16ELi64EjfLNS0_11ScoringFuncE0EEEvPKT5_PKbPfiPT4_PiiiibPKf, .Lfunc_end36-_ZN4vllm3moe10topkGatingILi4ELi64ELi4ELi16ELi64EjfLNS0_11ScoringFuncE0EEEvPKT5_PKbPfiPT4_PiiiibPKf
                                        ; -- End function
	.section	.AMDGPU.csdata,"",@progbits
; Kernel info:
; codeLenInByte = 2560
; NumSgprs: 20
; NumVgprs: 28
; ScratchSize: 0
; MemoryBound: 0
; FloatMode: 240
; IeeeMode: 1
; LDSByteSize: 0 bytes/workgroup (compile time only)
; SGPRBlocks: 2
; VGPRBlocks: 3
; NumSGPRsForWavesPerEU: 20
; NumVGPRsForWavesPerEU: 28
; Occupancy: 16
; WaveLimiterHint : 0
; COMPUTE_PGM_RSRC2:SCRATCH_EN: 0
; COMPUTE_PGM_RSRC2:USER_SGPR: 15
; COMPUTE_PGM_RSRC2:TRAP_HANDLER: 0
; COMPUTE_PGM_RSRC2:TGID_X_EN: 1
; COMPUTE_PGM_RSRC2:TGID_Y_EN: 0
; COMPUTE_PGM_RSRC2:TGID_Z_EN: 0
; COMPUTE_PGM_RSRC2:TIDIG_COMP_CNT: 1
	.section	.text._ZN4vllm3moe10topkGatingILi4ELi64ELi4ELi16ELi32EjfLNS0_11ScoringFuncE0EEEvPKT5_PKbPfiPT4_PiiiibPKf,"axG",@progbits,_ZN4vllm3moe10topkGatingILi4ELi64ELi4ELi16ELi32EjfLNS0_11ScoringFuncE0EEEvPKT5_PKbPfiPT4_PiiiibPKf,comdat
	.protected	_ZN4vllm3moe10topkGatingILi4ELi64ELi4ELi16ELi32EjfLNS0_11ScoringFuncE0EEEvPKT5_PKbPfiPT4_PiiiibPKf ; -- Begin function _ZN4vllm3moe10topkGatingILi4ELi64ELi4ELi16ELi32EjfLNS0_11ScoringFuncE0EEEvPKT5_PKbPfiPT4_PiiiibPKf
	.globl	_ZN4vllm3moe10topkGatingILi4ELi64ELi4ELi16ELi32EjfLNS0_11ScoringFuncE0EEEvPKT5_PKbPfiPT4_PiiiibPKf
	.p2align	8
	.type	_ZN4vllm3moe10topkGatingILi4ELi64ELi4ELi16ELi32EjfLNS0_11ScoringFuncE0EEEvPKT5_PKbPfiPT4_PiiiibPKf,@function
_ZN4vllm3moe10topkGatingILi4ELi64ELi4ELi16ELi32EjfLNS0_11ScoringFuncE0EEEvPKT5_PKbPfiPT4_PiiiibPKf: ; @_ZN4vllm3moe10topkGatingILi4ELi64ELi4ELi16ELi32EjfLNS0_11ScoringFuncE0EEEvPKT5_PKbPfiPT4_PiiiibPKf
; %bb.0:
	s_load_b32 s14, s[0:1], 0x18
	v_bfe_u32 v1, v0, 10, 10
	v_and_b32_e32 v0, 0x3ff, v0
	s_lshl_b32 s2, s15, 3
	s_delay_alu instid0(VALU_DEP_2) | instskip(NEXT) | instid1(VALU_DEP_2)
	v_lshlrev_b32_e32 v1, 1, v1
	v_lshrrev_b32_e32 v2, 4, v0
	s_delay_alu instid0(VALU_DEP_1) | instskip(SKIP_2) | instid1(VALU_DEP_1)
	v_add3_u32 v8, s2, v1, v2
	s_mov_b32 s2, exec_lo
	s_waitcnt lgkmcnt(0)
	v_cmpx_gt_i32_e64 s14, v8
	s_cbranch_execz .LBB37_37
; %bb.1:
	s_clause 0x1
	s_load_b128 s[4:7], s[0:1], 0x0
	s_load_b64 s[12:13], s[0:1], 0x10
	s_mov_b32 s8, -1
	s_mov_b32 s15, -1
	s_waitcnt lgkmcnt(0)
	s_cmp_eq_u64 s[6:7], 0
	s_cbranch_scc1 .LBB37_3
; %bb.2:
	v_ashrrev_i32_e32 v2, 31, v8
	v_add_co_u32 v1, vcc_lo, s6, v8
	s_delay_alu instid0(VALU_DEP_2) | instskip(SKIP_3) | instid1(VALU_DEP_1)
	v_add_co_ci_u32_e32 v2, vcc_lo, s7, v2, vcc_lo
	global_load_u8 v1, v[1:2], off
	s_waitcnt vmcnt(0)
	v_and_b32_e32 v1, 1, v1
	v_cmp_eq_u32_e32 vcc_lo, 1, v1
	s_xor_b32 s2, vcc_lo, -1
	s_delay_alu instid0(SALU_CYCLE_1)
	s_or_not1_b32 s15, s2, exec_lo
.LBB37_3:
	v_mbcnt_lo_u32_b32 v4, -1, 0
	v_and_b32_e32 v9, 15, v0
	s_load_b64 s[2:3], s[0:1], 0x40
	s_delay_alu instid0(VALU_DEP_2)
	v_xor_b32_e32 v6, 8, v4
	v_lshlrev_b32_e32 v1, 6, v8
	v_and_b32_e32 v5, 16, v4
	v_xor_b32_e32 v11, 4, v4
	v_xor_b32_e32 v12, 2, v4
	;; [unrolled: 1-line block ×3, first 2 shown]
	v_ashrrev_i32_e32 v2, 31, v1
	s_delay_alu instid0(VALU_DEP_1) | instskip(SKIP_3) | instid1(VALU_DEP_2)
	v_lshlrev_b64 v[0:1], 2, v[1:2]
	v_lshlrev_b32_e32 v2, 4, v9
	s_waitcnt lgkmcnt(0)
	s_cmp_eq_u64 s[2:3], 0
	v_add_co_u32 v0, vcc_lo, s4, v0
	s_delay_alu instid0(VALU_DEP_3) | instskip(NEXT) | instid1(VALU_DEP_2)
	v_add_co_ci_u32_e32 v1, vcc_lo, s5, v1, vcc_lo
	v_add_co_u32 v0, vcc_lo, v0, v2
	s_delay_alu instid0(VALU_DEP_2) | instskip(SKIP_3) | instid1(VALU_DEP_1)
	v_add_co_ci_u32_e32 v1, vcc_lo, 0, v1, vcc_lo
	global_load_b128 v[0:3], v[0:1], off
	s_waitcnt vmcnt(0)
	v_dual_max_f32 v10, v0, v0 :: v_dual_add_nc_u32 v5, 16, v5
	v_cmp_lt_i32_e32 vcc_lo, v6, v5
	v_dual_cndmask_b32 v6, v4, v6 :: v_dual_max_f32 v7, v1, v1
	v_cmp_lt_i32_e32 vcc_lo, v11, v5
	s_delay_alu instid0(VALU_DEP_2) | instskip(SKIP_2) | instid1(VALU_DEP_3)
	v_dual_max_f32 v7, v10, v7 :: v_dual_lshlrev_b32 v10, 2, v6
	v_cndmask_b32_e32 v11, v4, v11, vcc_lo
	v_cmp_lt_i32_e32 vcc_lo, v12, v5
	v_max3_f32 v6, v7, v2, v3
	v_cndmask_b32_e32 v12, v4, v12, vcc_lo
	v_cmp_lt_i32_e32 vcc_lo, v13, v5
	ds_bpermute_b32 v7, v10, v6
	v_lshlrev_b32_e32 v12, 2, v12
	v_dual_cndmask_b32 v4, v4, v13 :: v_dual_lshlrev_b32 v11, 2, v11
	s_delay_alu instid0(VALU_DEP_1) | instskip(SKIP_2) | instid1(VALU_DEP_1)
	v_lshlrev_b32_e32 v13, 2, v4
	s_waitcnt lgkmcnt(0)
	v_max_f32_e32 v7, v7, v7
	v_max_f32_e32 v6, v6, v7
	ds_bpermute_b32 v7, v11, v6
	s_waitcnt lgkmcnt(0)
	v_max_f32_e32 v7, v7, v7
	s_delay_alu instid0(VALU_DEP_1) | instskip(SKIP_3) | instid1(VALU_DEP_1)
	v_max_f32_e32 v6, v6, v7
	ds_bpermute_b32 v7, v12, v6
	s_waitcnt lgkmcnt(0)
	v_max_f32_e32 v5, v7, v7
	v_max_f32_e32 v4, v6, v5
	ds_bpermute_b32 v5, v13, v4
	s_waitcnt lgkmcnt(0)
	v_max_f32_e32 v5, v5, v5
	s_delay_alu instid0(VALU_DEP_1) | instskip(NEXT) | instid1(VALU_DEP_1)
	v_max_f32_e32 v4, v4, v5
	v_sub_f32_e32 v2, v2, v4
	v_sub_f32_e32 v0, v0, v4
	;; [unrolled: 1-line block ×3, first 2 shown]
	s_delay_alu instid0(VALU_DEP_3) | instskip(NEXT) | instid1(VALU_DEP_2)
	v_dual_sub_f32 v3, v3, v4 :: v_dual_mul_f32 v6, 0x3fb8aa3b, v2
	v_dual_mul_f32 v4, 0x3fb8aa3b, v0 :: v_dual_mul_f32 v5, 0x3fb8aa3b, v1
	v_cmp_ngt_f32_e32 vcc_lo, 0xc2ce8ed0, v0
	s_delay_alu instid0(VALU_DEP_3) | instskip(NEXT) | instid1(VALU_DEP_3)
	v_fma_f32 v18, 0x3fb8aa3b, v2, -v6
	v_fma_f32 v14, 0x3fb8aa3b, v0, -v4
	v_rndne_f32_e32 v15, v4
	v_rndne_f32_e32 v17, v5
	v_fma_f32 v16, 0x3fb8aa3b, v1, -v5
	v_rndne_f32_e32 v19, v6
	v_fmac_f32_e32 v14, 0x32a5705f, v0
	s_delay_alu instid0(VALU_DEP_4) | instskip(NEXT) | instid1(VALU_DEP_1)
	v_dual_sub_f32 v4, v4, v15 :: v_dual_sub_f32 v5, v5, v17
	v_dual_mul_f32 v7, 0x3fb8aa3b, v3 :: v_dual_add_f32 v4, v4, v14
	v_cvt_i32_f32_e32 v14, v15
	s_delay_alu instid0(VALU_DEP_2) | instskip(SKIP_4) | instid1(VALU_DEP_3)
	v_fma_f32 v20, 0x3fb8aa3b, v3, -v7
	v_rndne_f32_e32 v21, v7
	v_fmac_f32_e32 v18, 0x32a5705f, v2
	v_exp_f32_e32 v4, v4
	v_cvt_i32_f32_e32 v15, v17
	v_sub_f32_e32 v7, v7, v21
	v_cvt_i32_f32_e32 v17, v21
	s_waitcnt_depctr 0xfff
	v_ldexp_f32 v4, v4, v14
	s_delay_alu instid0(VALU_DEP_1) | instskip(SKIP_2) | instid1(VALU_DEP_1)
	v_cndmask_b32_e32 v4, 0, v4, vcc_lo
	v_cmp_ngt_f32_e32 vcc_lo, 0xc2ce8ed0, v1
	v_fmac_f32_e32 v20, 0x32a5705f, v3
	v_dual_fmac_f32 v16, 0x32a5705f, v1 :: v_dual_add_f32 v7, v7, v20
	s_delay_alu instid0(VALU_DEP_1) | instskip(SKIP_1) | instid1(VALU_DEP_3)
	v_dual_sub_f32 v6, v6, v19 :: v_dual_add_f32 v5, v5, v16
	v_cvt_i32_f32_e32 v16, v19
	v_exp_f32_e32 v7, v7
	s_delay_alu instid0(VALU_DEP_2) | instskip(SKIP_3) | instid1(VALU_DEP_1)
	v_exp_f32_e32 v5, v5
	s_waitcnt_depctr 0xfff
	v_ldexp_f32 v7, v7, v17
	v_ldexp_f32 v5, v5, v15
	v_dual_cndmask_b32 v5, 0, v5 :: v_dual_add_f32 v6, v6, v18
	v_cmp_ngt_f32_e32 vcc_lo, 0xc2ce8ed0, v2
	s_delay_alu instid0(VALU_DEP_2) | instskip(SKIP_2) | instid1(VALU_DEP_1)
	v_exp_f32_e32 v6, v6
	s_waitcnt_depctr 0xfff
	v_ldexp_f32 v6, v6, v16
	v_cndmask_b32_e32 v6, 0, v6, vcc_lo
	v_cmp_nlt_f32_e32 vcc_lo, 0x42b17218, v0
	v_cndmask_b32_e32 v0, 0x7f800000, v4, vcc_lo
	v_cmp_nlt_f32_e32 vcc_lo, 0x42b17218, v1
	v_cndmask_b32_e32 v1, 0x7f800000, v5, vcc_lo
	v_cmp_ngt_f32_e32 vcc_lo, 0xc2ce8ed0, v3
	s_delay_alu instid0(VALU_DEP_2) | instskip(SKIP_3) | instid1(VALU_DEP_2)
	v_dual_add_f32 v5, v0, v1 :: v_dual_cndmask_b32 v4, 0, v7
	v_cmp_nlt_f32_e32 vcc_lo, 0x42b17218, v2
	v_cndmask_b32_e32 v2, 0x7f800000, v6, vcc_lo
	v_cmp_nlt_f32_e32 vcc_lo, 0x42b17218, v3
	v_dual_cndmask_b32 v3, 0x7f800000, v4 :: v_dual_add_f32 v4, v5, v2
	s_delay_alu instid0(VALU_DEP_1)
	v_add_f32_e32 v4, v4, v3
	ds_bpermute_b32 v5, v10, v4
	s_waitcnt lgkmcnt(0)
	v_add_f32_e32 v4, v4, v5
	ds_bpermute_b32 v5, v11, v4
	s_waitcnt lgkmcnt(0)
	;; [unrolled: 3-line block ×4, first 2 shown]
	v_add_f32_e32 v4, v4, v5
	s_delay_alu instid0(VALU_DEP_1) | instskip(SKIP_1) | instid1(VALU_DEP_2)
	v_div_scale_f32 v5, null, v4, v4, 1.0
	v_div_scale_f32 v14, vcc_lo, 1.0, v4, 1.0
	v_rcp_f32_e32 v6, v5
	s_waitcnt_depctr 0xfff
	v_fma_f32 v7, -v5, v6, 1.0
	s_delay_alu instid0(VALU_DEP_1) | instskip(NEXT) | instid1(VALU_DEP_1)
	v_fmac_f32_e32 v6, v7, v6
	v_mul_f32_e32 v7, v14, v6
	s_delay_alu instid0(VALU_DEP_1) | instskip(NEXT) | instid1(VALU_DEP_1)
	v_fma_f32 v15, -v5, v7, v14
	v_fmac_f32_e32 v7, v15, v6
	s_delay_alu instid0(VALU_DEP_1) | instskip(SKIP_1) | instid1(VALU_DEP_2)
	v_fma_f32 v5, -v5, v7, v14
	v_lshlrev_b32_e32 v14, 2, v9
	v_div_fmas_f32 v5, v5, v6, v7
	s_delay_alu instid0(VALU_DEP_1) | instskip(NEXT) | instid1(VALU_DEP_1)
	v_div_fixup_f32 v4, v5, v4, 1.0
	v_mul_f32_e32 v0, v4, v0
	v_mul_f32_e32 v1, v4, v1
	;; [unrolled: 1-line block ×4, first 2 shown]
	s_delay_alu instid0(VALU_DEP_4)
	v_cmp_class_f32_e64 vcc_lo, v0, 0x1f8
	v_cndmask_b32_e32 v0, 0, v0, vcc_lo
	v_cmp_class_f32_e64 vcc_lo, v1, 0x1f8
	v_cndmask_b32_e32 v1, 0, v1, vcc_lo
	;; [unrolled: 2-line block ×4, first 2 shown]
	s_cbranch_scc1 .LBB37_31
; %bb.4:
	v_lshlrev_b32_e32 v4, 2, v14
	global_load_b128 v[4:7], v4, s[2:3]
	s_waitcnt vmcnt(0)
	v_dual_add_f32 v5, v5, v1 :: v_dual_add_f32 v4, v4, v0
	v_dual_add_f32 v7, v7, v3 :: v_dual_add_f32 v6, v6, v2
	s_cbranch_execnz .LBB37_6
.LBB37_5:
	v_dual_mov_b32 v7, v3 :: v_dual_mov_b32 v6, v2
	v_dual_mov_b32 v5, v1 :: v_dual_mov_b32 v4, v0
.LBB37_6:
	s_load_b128 s[4:7], s[0:1], 0x30
	v_cmp_eq_u32_e64 s2, 0, v9
	s_waitcnt lgkmcnt(0)
	s_bitcmp1_b32 s7, 0
	s_mov_b32 s7, 0
	s_cselect_b32 vcc_lo, -1, 0
	s_cmp_gt_i32 s4, 0
	s_cselect_b32 s3, -1, 0
	s_cmp_lt_i32 s4, 1
	s_cbranch_scc1 .LBB37_32
; %bb.7:
	s_load_b128 s[8:11], s[0:1], 0x20
	v_mul_lo_u32 v16, v8, s4
	v_mov_b32_e32 v15, 0
	v_mov_b32_e32 v17, v8
	s_branch .LBB37_10
.LBB37_8:                               ;   in Loop: Header=BB37_10 Depth=1
	s_or_b32 exec_lo, exec_lo, s1
.LBB37_9:                               ;   in Loop: Header=BB37_10 Depth=1
	v_add_nc_u32_e32 v17, s14, v17
	s_cmp_eq_u32 s4, s7
	s_cbranch_scc1 .LBB37_33
.LBB37_10:                              ; =>This Inner Loop Header: Depth=1
	v_cmp_gt_f32_e64 s0, v5, v4
	s_mov_b32 s17, exec_lo
	s_delay_alu instid0(VALU_DEP_1) | instskip(SKIP_2) | instid1(VALU_DEP_3)
	v_cndmask_b32_e64 v18, v4, v5, s0
	v_cndmask_b32_e64 v19, 0, 1, s0
	;; [unrolled: 1-line block ×3, first 2 shown]
	v_cmp_gt_f32_e64 s1, v6, v18
	s_delay_alu instid0(VALU_DEP_1) | instskip(NEXT) | instid1(VALU_DEP_4)
	v_cndmask_b32_e64 v18, v18, v6, s1
	v_cndmask_b32_e64 v19, v19, 2, s1
	s_waitcnt lgkmcnt(0)
	v_cndmask_b32_e64 v21, v20, v2, s1
	s_delay_alu instid0(VALU_DEP_3) | instskip(NEXT) | instid1(VALU_DEP_1)
	v_cmp_gt_f32_e64 s0, v7, v18
	v_cndmask_b32_e64 v20, v18, v7, s0
	v_cndmask_b32_e64 v18, v19, 3, s0
	s_delay_alu instid0(VALU_DEP_4)
	v_cndmask_b32_e64 v19, v21, v3, s0
	ds_bpermute_b32 v21, v10, v20
	v_or_b32_e32 v18, v14, v18
	ds_bpermute_b32 v23, v10, v19
	ds_bpermute_b32 v22, v10, v18
	s_waitcnt lgkmcnt(0)
	v_cmp_lt_f32_e64 s16, v20, v21
	v_cmpx_nlt_f32_e32 v20, v21
; %bb.11:                               ;   in Loop: Header=BB37_10 Depth=1
	v_cmp_eq_f32_e64 s0, v20, v21
	v_cmp_lt_i32_e64 s1, v22, v18
	s_delay_alu instid0(VALU_DEP_1) | instskip(SKIP_2) | instid1(SALU_CYCLE_1)
	s_and_b32 s0, s0, s1
	s_and_not1_b32 s1, s16, exec_lo
	s_and_b32 s0, s0, exec_lo
	s_or_b32 s16, s1, s0
; %bb.12:                               ;   in Loop: Header=BB37_10 Depth=1
	s_or_b32 exec_lo, exec_lo, s17
	s_and_saveexec_b32 s0, s16
; %bb.13:                               ;   in Loop: Header=BB37_10 Depth=1
	v_dual_mov_b32 v19, v23 :: v_dual_mov_b32 v20, v21
	v_mov_b32_e32 v18, v22
; %bb.14:                               ;   in Loop: Header=BB37_10 Depth=1
	s_or_b32 exec_lo, exec_lo, s0
	ds_bpermute_b32 v22, v11, v20
	ds_bpermute_b32 v23, v11, v19
	;; [unrolled: 1-line block ×3, first 2 shown]
	s_mov_b32 s17, exec_lo
	s_waitcnt lgkmcnt(2)
	v_cmp_lt_f32_e64 s16, v20, v22
	v_cmpx_nlt_f32_e32 v20, v22
	s_cbranch_execz .LBB37_16
; %bb.15:                               ;   in Loop: Header=BB37_10 Depth=1
	v_cmp_eq_f32_e64 s0, v20, v22
	s_waitcnt lgkmcnt(0)
	v_cmp_lt_i32_e64 s1, v21, v18
	s_delay_alu instid0(VALU_DEP_1) | instskip(SKIP_2) | instid1(SALU_CYCLE_1)
	s_and_b32 s0, s0, s1
	s_and_not1_b32 s1, s16, exec_lo
	s_and_b32 s0, s0, exec_lo
	s_or_b32 s16, s1, s0
.LBB37_16:                              ;   in Loop: Header=BB37_10 Depth=1
	s_or_b32 exec_lo, exec_lo, s17
	s_delay_alu instid0(VALU_DEP_2)
	s_and_saveexec_b32 s0, s16
	s_cbranch_execz .LBB37_18
; %bb.17:                               ;   in Loop: Header=BB37_10 Depth=1
	s_waitcnt lgkmcnt(1)
	v_dual_mov_b32 v19, v23 :: v_dual_mov_b32 v20, v22
	s_waitcnt lgkmcnt(0)
	v_mov_b32_e32 v18, v21
.LBB37_18:                              ;   in Loop: Header=BB37_10 Depth=1
	s_or_b32 exec_lo, exec_lo, s0
	ds_bpermute_b32 v22, v12, v20
	s_waitcnt lgkmcnt(2)
	ds_bpermute_b32 v23, v12, v19
	s_waitcnt lgkmcnt(2)
	ds_bpermute_b32 v21, v12, v18
	s_mov_b32 s17, exec_lo
	s_waitcnt lgkmcnt(2)
	v_cmp_lt_f32_e64 s16, v20, v22
	v_cmpx_nlt_f32_e32 v20, v22
	s_cbranch_execz .LBB37_20
; %bb.19:                               ;   in Loop: Header=BB37_10 Depth=1
	v_cmp_eq_f32_e64 s0, v20, v22
	s_waitcnt lgkmcnt(0)
	v_cmp_lt_i32_e64 s1, v21, v18
	s_delay_alu instid0(VALU_DEP_1) | instskip(SKIP_2) | instid1(SALU_CYCLE_1)
	s_and_b32 s0, s0, s1
	s_and_not1_b32 s1, s16, exec_lo
	s_and_b32 s0, s0, exec_lo
	s_or_b32 s16, s1, s0
.LBB37_20:                              ;   in Loop: Header=BB37_10 Depth=1
	s_or_b32 exec_lo, exec_lo, s17
	s_delay_alu instid0(VALU_DEP_2)
	s_and_saveexec_b32 s0, s16
	s_cbranch_execz .LBB37_22
; %bb.21:                               ;   in Loop: Header=BB37_10 Depth=1
	s_waitcnt lgkmcnt(1)
	v_dual_mov_b32 v19, v23 :: v_dual_mov_b32 v20, v22
	s_waitcnt lgkmcnt(0)
	v_mov_b32_e32 v18, v21
.LBB37_22:                              ;   in Loop: Header=BB37_10 Depth=1
	s_or_b32 exec_lo, exec_lo, s0
	s_waitcnt lgkmcnt(1)
	ds_bpermute_b32 v23, v13, v20
	ds_bpermute_b32 v22, v13, v19
	s_waitcnt lgkmcnt(2)
	ds_bpermute_b32 v21, v13, v18
	s_mov_b32 s17, exec_lo
	s_waitcnt lgkmcnt(2)
	v_cmp_lt_f32_e64 s16, v20, v23
	v_cmpx_nlt_f32_e32 v20, v23
	s_cbranch_execnz .LBB37_26
; %bb.23:                               ;   in Loop: Header=BB37_10 Depth=1
	s_or_b32 exec_lo, exec_lo, s17
	s_delay_alu instid0(VALU_DEP_2)
	s_and_saveexec_b32 s0, s16
	s_cbranch_execnz .LBB37_27
.LBB37_24:                              ;   in Loop: Header=BB37_10 Depth=1
	s_or_b32 exec_lo, exec_lo, s0
	s_and_saveexec_b32 s16, s2
	s_cbranch_execnz .LBB37_28
.LBB37_25:                              ;   in Loop: Header=BB37_10 Depth=1
	s_or_b32 exec_lo, exec_lo, s16
	s_add_i32 s7, s7, 1
	s_delay_alu instid0(SALU_CYCLE_1)
	s_cmp_ge_i32 s7, s4
	s_cbranch_scc1 .LBB37_9
	s_branch .LBB37_29
.LBB37_26:                              ;   in Loop: Header=BB37_10 Depth=1
	v_cmp_eq_f32_e64 s0, v20, v23
	s_waitcnt lgkmcnt(0)
	v_cmp_lt_i32_e64 s1, v21, v18
	s_delay_alu instid0(VALU_DEP_1) | instskip(SKIP_2) | instid1(SALU_CYCLE_1)
	s_and_b32 s0, s0, s1
	s_and_not1_b32 s1, s16, exec_lo
	s_and_b32 s0, s0, exec_lo
	s_or_b32 s16, s1, s0
	s_or_b32 exec_lo, exec_lo, s17
	s_and_saveexec_b32 s0, s16
	s_cbranch_execz .LBB37_24
.LBB37_27:                              ;   in Loop: Header=BB37_10 Depth=1
	s_waitcnt lgkmcnt(0)
	v_dual_mov_b32 v19, v22 :: v_dual_mov_b32 v18, v21
	s_or_b32 exec_lo, exec_lo, s0
	s_and_saveexec_b32 s16, s2
	s_cbranch_execz .LBB37_25
.LBB37_28:                              ;   in Loop: Header=BB37_10 Depth=1
	s_delay_alu instid0(VALU_DEP_1)
	v_dual_add_f32 v27, v15, v19 :: v_dual_add_nc_u32 v20, s7, v16
	v_cmp_le_i32_e64 s0, s5, v18
	v_cmp_gt_i32_e64 s1, s6, v18
	s_waitcnt lgkmcnt(1)
	v_subrev_nc_u32_e32 v22, s5, v18
	s_waitcnt lgkmcnt(0)
	v_ashrrev_i32_e32 v21, 31, v20
	v_cndmask_b32_e32 v15, v15, v27, vcc_lo
	s_and_b32 s0, s0, s1
	s_delay_alu instid0(SALU_CYCLE_1) | instskip(NEXT) | instid1(VALU_DEP_2)
	s_and_b32 s0, s15, s0
	v_lshlrev_b64 v[20:21], 2, v[20:21]
	v_cndmask_b32_e64 v26, 64, v22, s0
	s_delay_alu instid0(VALU_DEP_2) | instskip(NEXT) | instid1(VALU_DEP_1)
	v_add_co_u32 v22, s0, s12, v20
	v_add_co_ci_u32_e64 v23, s0, s13, v21, s0
	v_add_co_u32 v24, s0, s8, v20
	s_delay_alu instid0(VALU_DEP_1) | instskip(SKIP_1) | instid1(VALU_DEP_1)
	v_add_co_ci_u32_e64 v25, s0, s9, v21, s0
	v_add_co_u32 v20, s0, s10, v20
	v_add_co_ci_u32_e64 v21, s0, s11, v21, s0
	global_store_b32 v[22:23], v19, off
	global_store_b32 v[24:25], v26, off
	global_store_b32 v[20:21], v17, off
	s_or_b32 exec_lo, exec_lo, s16
	s_add_i32 s7, s7, 1
	s_delay_alu instid0(SALU_CYCLE_1)
	s_cmp_ge_i32 s7, s4
	s_cbranch_scc1 .LBB37_9
.LBB37_29:                              ;   in Loop: Header=BB37_10 Depth=1
	v_ashrrev_i32_e32 v19, 31, v18
	s_mov_b32 s1, exec_lo
	s_delay_alu instid0(VALU_DEP_1) | instskip(NEXT) | instid1(VALU_DEP_1)
	v_lshrrev_b32_e32 v20, 30, v19
	v_add_nc_u32_e32 v20, v18, v20
	s_waitcnt lgkmcnt(0)
	s_delay_alu instid0(VALU_DEP_1) | instskip(SKIP_1) | instid1(VALU_DEP_2)
	v_ashrrev_i32_e32 v21, 31, v20
	v_ashrrev_i32_e32 v20, 2, v20
	v_lshrrev_b32_e32 v21, 28, v21
	s_delay_alu instid0(VALU_DEP_1) | instskip(NEXT) | instid1(VALU_DEP_1)
	v_add_nc_u32_e32 v21, v20, v21
	v_and_b32_e32 v21, -16, v21
	s_delay_alu instid0(VALU_DEP_1) | instskip(NEXT) | instid1(VALU_DEP_1)
	v_sub_nc_u32_e32 v21, v20, v21
	v_cmpx_eq_u32_e64 v9, v21
	s_cbranch_execz .LBB37_8
; %bb.30:                               ;   in Loop: Header=BB37_10 Depth=1
	v_lshrrev_b32_e32 v19, 26, v19
	v_lshlrev_b32_e32 v20, 2, v20
	s_delay_alu instid0(VALU_DEP_2) | instskip(NEXT) | instid1(VALU_DEP_2)
	v_add_nc_u32_e32 v19, v18, v19
	v_sub_nc_u32_e32 v18, v18, v20
	s_delay_alu instid0(VALU_DEP_2) | instskip(NEXT) | instid1(VALU_DEP_1)
	v_ashrrev_i32_e32 v19, 6, v19
	v_lshl_add_u32 v18, v19, 2, v18
	s_delay_alu instid0(VALU_DEP_1) | instskip(NEXT) | instid1(VALU_DEP_1)
	v_cmp_ne_u32_e64 s0, 3, v18
	v_cndmask_b32_e64 v7, 0xc61c4000, v7, s0
	v_cmp_ne_u32_e64 s0, 2, v18
	s_delay_alu instid0(VALU_DEP_1) | instskip(SKIP_1) | instid1(VALU_DEP_1)
	v_cndmask_b32_e64 v6, 0xc61c4000, v6, s0
	v_cmp_ne_u32_e64 s0, 1, v18
	v_cndmask_b32_e64 v5, 0xc61c4000, v5, s0
	v_cmp_ne_u32_e64 s0, 0, v18
	s_delay_alu instid0(VALU_DEP_1)
	v_cndmask_b32_e64 v4, 0xc61c4000, v4, s0
	s_branch .LBB37_8
.LBB37_31:
                                        ; implicit-def: $vgpr4_vgpr5_vgpr6_vgpr7
	s_and_not1_b32 vcc_lo, exec_lo, s8
	s_cbranch_vccz .LBB37_5
	s_branch .LBB37_6
.LBB37_32:
	v_mov_b32_e32 v15, 0
.LBB37_33:
	v_cmp_eq_u32_e64 s0, 0, v9
	s_delay_alu instid0(VALU_DEP_1) | instskip(NEXT) | instid1(SALU_CYCLE_1)
	s_and_b32 s0, s0, vcc_lo
	s_and_b32 exec_lo, exec_lo, s0
	s_cbranch_execz .LBB37_37
; %bb.34:
	s_and_not1_b32 vcc_lo, exec_lo, s3
	s_cbranch_vccnz .LBB37_37
; %bb.35:
	v_mul_lo_u32 v0, v8, s4
	v_cmp_lt_f32_e32 vcc_lo, 0, v15
	v_cndmask_b32_e32 v2, 1.0, v15, vcc_lo
	s_delay_alu instid0(VALU_DEP_3) | instskip(NEXT) | instid1(VALU_DEP_1)
	v_ashrrev_i32_e32 v1, 31, v0
	v_lshlrev_b64 v[0:1], 2, v[0:1]
	s_delay_alu instid0(VALU_DEP_1) | instskip(NEXT) | instid1(VALU_DEP_2)
	v_add_co_u32 v0, vcc_lo, s12, v0
	v_add_co_ci_u32_e32 v1, vcc_lo, s13, v1, vcc_lo
	.p2align	6
.LBB37_36:                              ; =>This Inner Loop Header: Depth=1
	global_load_b32 v3, v[0:1], off
	s_add_i32 s4, s4, -1
	s_delay_alu instid0(SALU_CYCLE_1) | instskip(SKIP_3) | instid1(VALU_DEP_2)
	s_cmp_lg_u32 s4, 0
	s_waitcnt vmcnt(0)
	v_div_scale_f32 v4, null, v2, v2, v3
	v_div_scale_f32 v7, vcc_lo, v3, v2, v3
	v_rcp_f32_e32 v5, v4
	s_waitcnt_depctr 0xfff
	v_fma_f32 v6, -v4, v5, 1.0
	s_delay_alu instid0(VALU_DEP_1) | instskip(NEXT) | instid1(VALU_DEP_1)
	v_fmac_f32_e32 v5, v6, v5
	v_mul_f32_e32 v6, v7, v5
	s_delay_alu instid0(VALU_DEP_1) | instskip(NEXT) | instid1(VALU_DEP_1)
	v_fma_f32 v8, -v4, v6, v7
	v_fmac_f32_e32 v6, v8, v5
	s_delay_alu instid0(VALU_DEP_1) | instskip(NEXT) | instid1(VALU_DEP_1)
	v_fma_f32 v4, -v4, v6, v7
	v_div_fmas_f32 v4, v4, v5, v6
	s_delay_alu instid0(VALU_DEP_1)
	v_div_fixup_f32 v3, v4, v2, v3
	global_store_b32 v[0:1], v3, off
	v_add_co_u32 v0, vcc_lo, v0, 4
	v_add_co_ci_u32_e32 v1, vcc_lo, 0, v1, vcc_lo
	s_cbranch_scc1 .LBB37_36
.LBB37_37:
	s_nop 0
	s_sendmsg sendmsg(MSG_DEALLOC_VGPRS)
	s_endpgm
	.section	.rodata,"a",@progbits
	.p2align	6, 0x0
	.amdhsa_kernel _ZN4vllm3moe10topkGatingILi4ELi64ELi4ELi16ELi32EjfLNS0_11ScoringFuncE0EEEvPKT5_PKbPfiPT4_PiiiibPKf
		.amdhsa_group_segment_fixed_size 0
		.amdhsa_private_segment_fixed_size 0
		.amdhsa_kernarg_size 72
		.amdhsa_user_sgpr_count 15
		.amdhsa_user_sgpr_dispatch_ptr 0
		.amdhsa_user_sgpr_queue_ptr 0
		.amdhsa_user_sgpr_kernarg_segment_ptr 1
		.amdhsa_user_sgpr_dispatch_id 0
		.amdhsa_user_sgpr_private_segment_size 0
		.amdhsa_wavefront_size32 1
		.amdhsa_uses_dynamic_stack 0
		.amdhsa_enable_private_segment 0
		.amdhsa_system_sgpr_workgroup_id_x 1
		.amdhsa_system_sgpr_workgroup_id_y 0
		.amdhsa_system_sgpr_workgroup_id_z 0
		.amdhsa_system_sgpr_workgroup_info 0
		.amdhsa_system_vgpr_workitem_id 1
		.amdhsa_next_free_vgpr 28
		.amdhsa_next_free_sgpr 18
		.amdhsa_reserve_vcc 1
		.amdhsa_float_round_mode_32 0
		.amdhsa_float_round_mode_16_64 0
		.amdhsa_float_denorm_mode_32 3
		.amdhsa_float_denorm_mode_16_64 3
		.amdhsa_dx10_clamp 1
		.amdhsa_ieee_mode 1
		.amdhsa_fp16_overflow 0
		.amdhsa_workgroup_processor_mode 1
		.amdhsa_memory_ordered 1
		.amdhsa_forward_progress 0
		.amdhsa_shared_vgpr_count 0
		.amdhsa_exception_fp_ieee_invalid_op 0
		.amdhsa_exception_fp_denorm_src 0
		.amdhsa_exception_fp_ieee_div_zero 0
		.amdhsa_exception_fp_ieee_overflow 0
		.amdhsa_exception_fp_ieee_underflow 0
		.amdhsa_exception_fp_ieee_inexact 0
		.amdhsa_exception_int_div_zero 0
	.end_amdhsa_kernel
	.section	.text._ZN4vllm3moe10topkGatingILi4ELi64ELi4ELi16ELi32EjfLNS0_11ScoringFuncE0EEEvPKT5_PKbPfiPT4_PiiiibPKf,"axG",@progbits,_ZN4vllm3moe10topkGatingILi4ELi64ELi4ELi16ELi32EjfLNS0_11ScoringFuncE0EEEvPKT5_PKbPfiPT4_PiiiibPKf,comdat
.Lfunc_end37:
	.size	_ZN4vllm3moe10topkGatingILi4ELi64ELi4ELi16ELi32EjfLNS0_11ScoringFuncE0EEEvPKT5_PKbPfiPT4_PiiiibPKf, .Lfunc_end37-_ZN4vllm3moe10topkGatingILi4ELi64ELi4ELi16ELi32EjfLNS0_11ScoringFuncE0EEEvPKT5_PKbPfiPT4_PiiiibPKf
                                        ; -- End function
	.section	.AMDGPU.csdata,"",@progbits
; Kernel info:
; codeLenInByte = 2560
; NumSgprs: 20
; NumVgprs: 28
; ScratchSize: 0
; MemoryBound: 0
; FloatMode: 240
; IeeeMode: 1
; LDSByteSize: 0 bytes/workgroup (compile time only)
; SGPRBlocks: 2
; VGPRBlocks: 3
; NumSGPRsForWavesPerEU: 20
; NumVGPRsForWavesPerEU: 28
; Occupancy: 16
; WaveLimiterHint : 0
; COMPUTE_PGM_RSRC2:SCRATCH_EN: 0
; COMPUTE_PGM_RSRC2:USER_SGPR: 15
; COMPUTE_PGM_RSRC2:TRAP_HANDLER: 0
; COMPUTE_PGM_RSRC2:TGID_X_EN: 1
; COMPUTE_PGM_RSRC2:TGID_Y_EN: 0
; COMPUTE_PGM_RSRC2:TGID_Z_EN: 0
; COMPUTE_PGM_RSRC2:TIDIG_COMP_CNT: 1
	.section	.text._ZN4vllm3moe10topkGatingILi4ELi128ELi4ELi16ELi64EjfLNS0_11ScoringFuncE0EEEvPKT5_PKbPfiPT4_PiiiibPKf,"axG",@progbits,_ZN4vllm3moe10topkGatingILi4ELi128ELi4ELi16ELi64EjfLNS0_11ScoringFuncE0EEEvPKT5_PKbPfiPT4_PiiiibPKf,comdat
	.protected	_ZN4vllm3moe10topkGatingILi4ELi128ELi4ELi16ELi64EjfLNS0_11ScoringFuncE0EEEvPKT5_PKbPfiPT4_PiiiibPKf ; -- Begin function _ZN4vllm3moe10topkGatingILi4ELi128ELi4ELi16ELi64EjfLNS0_11ScoringFuncE0EEEvPKT5_PKbPfiPT4_PiiiibPKf
	.globl	_ZN4vllm3moe10topkGatingILi4ELi128ELi4ELi16ELi64EjfLNS0_11ScoringFuncE0EEEvPKT5_PKbPfiPT4_PiiiibPKf
	.p2align	8
	.type	_ZN4vllm3moe10topkGatingILi4ELi128ELi4ELi16ELi64EjfLNS0_11ScoringFuncE0EEEvPKT5_PKbPfiPT4_PiiiibPKf,@function
_ZN4vllm3moe10topkGatingILi4ELi128ELi4ELi16ELi64EjfLNS0_11ScoringFuncE0EEEvPKT5_PKbPfiPT4_PiiiibPKf: ; @_ZN4vllm3moe10topkGatingILi4ELi128ELi4ELi16ELi64EjfLNS0_11ScoringFuncE0EEEvPKT5_PKbPfiPT4_PiiiibPKf
; %bb.0:
	s_load_b32 s14, s[0:1], 0x18
	v_bfe_u32 v1, v0, 10, 10
	v_and_b32_e32 v0, 0x3ff, v0
	s_lshl_b32 s2, s15, 3
	s_delay_alu instid0(VALU_DEP_2) | instskip(NEXT) | instid1(VALU_DEP_2)
	v_lshlrev_b32_e32 v1, 1, v1
	v_lshrrev_b32_e32 v2, 5, v0
	s_delay_alu instid0(VALU_DEP_1) | instskip(SKIP_2) | instid1(VALU_DEP_1)
	v_add3_u32 v8, s2, v1, v2
	s_mov_b32 s2, exec_lo
	s_waitcnt lgkmcnt(0)
	v_cmpx_gt_i32_e64 s14, v8
	s_cbranch_execz .LBB38_41
; %bb.1:
	s_clause 0x1
	s_load_b128 s[4:7], s[0:1], 0x0
	s_load_b64 s[12:13], s[0:1], 0x10
	s_mov_b32 s8, -1
	s_mov_b32 s15, -1
	s_waitcnt lgkmcnt(0)
	s_cmp_eq_u64 s[6:7], 0
	s_cbranch_scc1 .LBB38_3
; %bb.2:
	v_ashrrev_i32_e32 v2, 31, v8
	v_add_co_u32 v1, vcc_lo, s6, v8
	s_delay_alu instid0(VALU_DEP_2) | instskip(SKIP_3) | instid1(VALU_DEP_1)
	v_add_co_ci_u32_e32 v2, vcc_lo, s7, v2, vcc_lo
	global_load_u8 v1, v[1:2], off
	s_waitcnt vmcnt(0)
	v_and_b32_e32 v1, 1, v1
	v_cmp_eq_u32_e32 vcc_lo, 1, v1
	s_xor_b32 s2, vcc_lo, -1
	s_delay_alu instid0(SALU_CYCLE_1)
	s_or_not1_b32 s15, s2, exec_lo
.LBB38_3:
	v_lshlrev_b32_e32 v1, 7, v8
	v_and_b32_e32 v9, 31, v0
	v_mbcnt_lo_u32_b32 v4, -1, 0
	s_load_b64 s[2:3], s[0:1], 0x40
	s_delay_alu instid0(VALU_DEP_3) | instskip(NEXT) | instid1(VALU_DEP_2)
	v_ashrrev_i32_e32 v2, 31, v1
	v_xor_b32_e32 v5, 16, v4
	s_delay_alu instid0(VALU_DEP_2) | instskip(SKIP_1) | instid1(VALU_DEP_2)
	v_lshlrev_b64 v[0:1], 2, v[1:2]
	v_lshlrev_b32_e32 v2, 4, v9
	v_add_co_u32 v0, vcc_lo, s4, v0
	s_delay_alu instid0(VALU_DEP_3) | instskip(NEXT) | instid1(VALU_DEP_2)
	v_add_co_ci_u32_e32 v1, vcc_lo, s5, v1, vcc_lo
	v_add_co_u32 v0, vcc_lo, v0, v2
	s_delay_alu instid0(VALU_DEP_2)
	v_add_co_ci_u32_e32 v1, vcc_lo, 0, v1, vcc_lo
	v_cmp_gt_i32_e32 vcc_lo, 32, v5
	s_waitcnt lgkmcnt(0)
	s_cmp_eq_u64 s[2:3], 0
	global_load_b128 v[0:3], v[0:1], off
	v_cndmask_b32_e32 v5, v4, v5, vcc_lo
	s_waitcnt vmcnt(0)
	v_dual_max_f32 v6, v1, v1 :: v_dual_max_f32 v7, v0, v0
	s_delay_alu instid0(VALU_DEP_1) | instskip(SKIP_1) | instid1(VALU_DEP_1)
	v_max_f32_e32 v6, v7, v6
	v_xor_b32_e32 v7, 8, v4
	v_cmp_gt_i32_e32 vcc_lo, 32, v7
	v_lshlrev_b32_e32 v10, 2, v5
	s_delay_alu instid0(VALU_DEP_4) | instskip(SKIP_4) | instid1(VALU_DEP_1)
	v_max3_f32 v5, v6, v2, v3
	v_cndmask_b32_e32 v7, v4, v7, vcc_lo
	ds_bpermute_b32 v6, v10, v5
	v_lshlrev_b32_e32 v11, 2, v7
	v_xor_b32_e32 v7, 4, v4
	v_cmp_gt_i32_e32 vcc_lo, 32, v7
	v_cndmask_b32_e32 v7, v4, v7, vcc_lo
	s_delay_alu instid0(VALU_DEP_1) | instskip(SKIP_3) | instid1(VALU_DEP_2)
	v_lshlrev_b32_e32 v12, 2, v7
	s_waitcnt lgkmcnt(0)
	v_max_f32_e32 v6, v6, v6
	v_xor_b32_e32 v7, 2, v4
	v_max_f32_e32 v5, v5, v6
	s_delay_alu instid0(VALU_DEP_2) | instskip(SKIP_2) | instid1(VALU_DEP_1)
	v_cmp_gt_i32_e32 vcc_lo, 32, v7
	ds_bpermute_b32 v6, v11, v5
	v_cndmask_b32_e32 v7, v4, v7, vcc_lo
	v_lshlrev_b32_e32 v13, 2, v7
	v_xor_b32_e32 v7, 1, v4
	s_delay_alu instid0(VALU_DEP_1) | instskip(SKIP_3) | instid1(VALU_DEP_1)
	v_cmp_gt_i32_e32 vcc_lo, 32, v7
	v_cndmask_b32_e32 v4, v4, v7, vcc_lo
	s_waitcnt lgkmcnt(0)
	v_max_f32_e32 v6, v6, v6
	v_dual_max_f32 v5, v5, v6 :: v_dual_lshlrev_b32 v14, 2, v4
	ds_bpermute_b32 v6, v12, v5
	s_waitcnt lgkmcnt(0)
	v_max_f32_e32 v6, v6, v6
	s_delay_alu instid0(VALU_DEP_1) | instskip(SKIP_3) | instid1(VALU_DEP_1)
	v_max_f32_e32 v5, v5, v6
	ds_bpermute_b32 v6, v13, v5
	s_waitcnt lgkmcnt(0)
	v_max_f32_e32 v6, v6, v6
	v_max_f32_e32 v4, v5, v6
	ds_bpermute_b32 v5, v14, v4
	s_waitcnt lgkmcnt(0)
	v_max_f32_e32 v5, v5, v5
	s_delay_alu instid0(VALU_DEP_1) | instskip(NEXT) | instid1(VALU_DEP_1)
	v_max_f32_e32 v4, v4, v5
	v_sub_f32_e32 v3, v3, v4
	s_delay_alu instid0(VALU_DEP_1) | instskip(SKIP_2) | instid1(VALU_DEP_3)
	v_dual_mul_f32 v7, 0x3fb8aa3b, v3 :: v_dual_sub_f32 v2, v2, v4
	v_sub_f32_e32 v1, v1, v4
	v_sub_f32_e32 v0, v0, v4
	v_rndne_f32_e32 v22, v7
	s_delay_alu instid0(VALU_DEP_3) | instskip(NEXT) | instid1(VALU_DEP_3)
	v_dual_mul_f32 v6, 0x3fb8aa3b, v2 :: v_dual_mul_f32 v5, 0x3fb8aa3b, v1
	v_cmp_ngt_f32_e32 vcc_lo, 0xc2ce8ed0, v0
	s_delay_alu instid0(VALU_DEP_2) | instskip(NEXT) | instid1(VALU_DEP_3)
	v_fma_f32 v19, 0x3fb8aa3b, v2, -v6
	v_rndne_f32_e32 v18, v5
	v_mul_f32_e32 v4, 0x3fb8aa3b, v0
	v_fma_f32 v17, 0x3fb8aa3b, v1, -v5
	v_rndne_f32_e32 v20, v6
	v_fmac_f32_e32 v19, 0x32a5705f, v2
	v_sub_f32_e32 v5, v5, v18
	v_fma_f32 v15, 0x3fb8aa3b, v0, -v4
	v_rndne_f32_e32 v16, v4
	v_dual_sub_f32 v6, v6, v20 :: v_dual_fmac_f32 v17, 0x32a5705f, v1
	s_delay_alu instid0(VALU_DEP_3) | instskip(NEXT) | instid1(VALU_DEP_3)
	v_fmac_f32_e32 v15, 0x32a5705f, v0
	v_sub_f32_e32 v4, v4, v16
	s_delay_alu instid0(VALU_DEP_3) | instskip(SKIP_1) | instid1(VALU_DEP_3)
	v_dual_add_f32 v6, v6, v19 :: v_dual_add_f32 v5, v5, v17
	v_cvt_i32_f32_e32 v17, v20
	v_add_f32_e32 v4, v4, v15
	v_cvt_i32_f32_e32 v15, v16
	s_delay_alu instid0(VALU_DEP_4)
	v_exp_f32_e32 v5, v5
	v_fma_f32 v21, 0x3fb8aa3b, v3, -v7
	v_exp_f32_e32 v6, v6
	v_exp_f32_e32 v4, v4
	v_cvt_i32_f32_e32 v16, v18
	v_cvt_i32_f32_e32 v18, v22
	s_delay_alu instid0(TRANS32_DEP_3) | instid1(VALU_DEP_2)
	v_ldexp_f32 v5, v5, v16
	s_waitcnt_depctr 0xfff
	v_ldexp_f32 v6, v6, v17
	v_ldexp_f32 v4, v4, v15
	s_delay_alu instid0(VALU_DEP_1)
	v_dual_fmac_f32 v21, 0x32a5705f, v3 :: v_dual_cndmask_b32 v4, 0, v4
	v_cmp_ngt_f32_e32 vcc_lo, 0xc2ce8ed0, v1
	v_cndmask_b32_e32 v5, 0, v5, vcc_lo
	v_cmp_ngt_f32_e32 vcc_lo, 0xc2ce8ed0, v2
	v_cndmask_b32_e32 v6, 0, v6, vcc_lo
	v_cmp_nlt_f32_e32 vcc_lo, 0x42b17218, v0
	v_dual_sub_f32 v7, v7, v22 :: v_dual_cndmask_b32 v0, 0x7f800000, v4
	s_delay_alu instid0(VALU_DEP_1) | instskip(SKIP_1) | instid1(VALU_DEP_2)
	v_add_f32_e32 v7, v7, v21
	v_cmp_nlt_f32_e32 vcc_lo, 0x42b17218, v1
	v_exp_f32_e32 v7, v7
	v_cndmask_b32_e32 v1, 0x7f800000, v5, vcc_lo
	v_cmp_ngt_f32_e32 vcc_lo, 0xc2ce8ed0, v3
	s_delay_alu instid0(VALU_DEP_2) | instskip(SKIP_2) | instid1(VALU_DEP_1)
	v_add_f32_e32 v5, v0, v1
	s_waitcnt_depctr 0xfff
	v_ldexp_f32 v7, v7, v18
	v_cndmask_b32_e32 v4, 0, v7, vcc_lo
	v_cmp_nlt_f32_e32 vcc_lo, 0x42b17218, v2
	v_cndmask_b32_e32 v2, 0x7f800000, v6, vcc_lo
	v_cmp_nlt_f32_e32 vcc_lo, 0x42b17218, v3
	s_delay_alu instid0(VALU_DEP_2) | instskip(NEXT) | instid1(VALU_DEP_1)
	v_dual_cndmask_b32 v3, 0x7f800000, v4 :: v_dual_add_f32 v4, v5, v2
	v_add_f32_e32 v4, v4, v3
	ds_bpermute_b32 v5, v10, v4
	s_waitcnt lgkmcnt(0)
	v_add_f32_e32 v4, v4, v5
	ds_bpermute_b32 v5, v11, v4
	s_waitcnt lgkmcnt(0)
	;; [unrolled: 3-line block ×5, first 2 shown]
	v_add_f32_e32 v4, v4, v5
	s_delay_alu instid0(VALU_DEP_1) | instskip(SKIP_1) | instid1(VALU_DEP_2)
	v_div_scale_f32 v5, null, v4, v4, 1.0
	v_div_scale_f32 v15, vcc_lo, 1.0, v4, 1.0
	v_rcp_f32_e32 v6, v5
	s_waitcnt_depctr 0xfff
	v_fma_f32 v7, -v5, v6, 1.0
	s_delay_alu instid0(VALU_DEP_1) | instskip(NEXT) | instid1(VALU_DEP_1)
	v_fmac_f32_e32 v6, v7, v6
	v_mul_f32_e32 v7, v15, v6
	s_delay_alu instid0(VALU_DEP_1) | instskip(NEXT) | instid1(VALU_DEP_1)
	v_fma_f32 v16, -v5, v7, v15
	v_fmac_f32_e32 v7, v16, v6
	s_delay_alu instid0(VALU_DEP_1) | instskip(SKIP_1) | instid1(VALU_DEP_2)
	v_fma_f32 v5, -v5, v7, v15
	v_lshlrev_b32_e32 v15, 2, v9
	v_div_fmas_f32 v5, v5, v6, v7
	s_delay_alu instid0(VALU_DEP_1) | instskip(NEXT) | instid1(VALU_DEP_1)
	v_div_fixup_f32 v4, v5, v4, 1.0
	v_mul_f32_e32 v0, v4, v0
	v_mul_f32_e32 v2, v4, v2
	;; [unrolled: 1-line block ×4, first 2 shown]
	s_delay_alu instid0(VALU_DEP_4) | instskip(SKIP_1) | instid1(VALU_DEP_4)
	v_cmp_class_f32_e64 vcc_lo, v0, 0x1f8
	v_cndmask_b32_e32 v0, 0, v0, vcc_lo
	v_cmp_class_f32_e64 vcc_lo, v1, 0x1f8
	v_cndmask_b32_e32 v1, 0, v1, vcc_lo
	;; [unrolled: 2-line block ×4, first 2 shown]
	s_cbranch_scc1 .LBB38_35
; %bb.4:
	v_lshlrev_b32_e32 v4, 2, v15
	global_load_b128 v[4:7], v4, s[2:3]
	s_waitcnt vmcnt(0)
	v_dual_add_f32 v5, v5, v1 :: v_dual_add_f32 v4, v4, v0
	v_dual_add_f32 v7, v7, v3 :: v_dual_add_f32 v6, v6, v2
	s_cbranch_execnz .LBB38_6
.LBB38_5:
	v_dual_mov_b32 v7, v3 :: v_dual_mov_b32 v6, v2
	v_dual_mov_b32 v5, v1 :: v_dual_mov_b32 v4, v0
.LBB38_6:
	s_load_b128 s[4:7], s[0:1], 0x30
	v_cmp_eq_u32_e64 s2, 0, v9
	s_waitcnt lgkmcnt(0)
	s_bitcmp1_b32 s7, 0
	s_mov_b32 s7, 0
	s_cselect_b32 vcc_lo, -1, 0
	s_cmp_gt_i32 s4, 0
	s_cselect_b32 s3, -1, 0
	s_cmp_lt_i32 s4, 1
	s_cbranch_scc1 .LBB38_36
; %bb.7:
	s_load_b128 s[8:11], s[0:1], 0x20
	v_mul_lo_u32 v17, v8, s4
	v_mov_b32_e32 v16, 0
	v_mov_b32_e32 v18, v8
	s_branch .LBB38_10
.LBB38_8:                               ;   in Loop: Header=BB38_10 Depth=1
	s_or_b32 exec_lo, exec_lo, s1
.LBB38_9:                               ;   in Loop: Header=BB38_10 Depth=1
	v_add_nc_u32_e32 v18, s14, v18
	s_cmp_eq_u32 s4, s7
	s_cbranch_scc1 .LBB38_37
.LBB38_10:                              ; =>This Inner Loop Header: Depth=1
	v_cmp_gt_f32_e64 s0, v5, v4
	s_mov_b32 s17, exec_lo
	s_delay_alu instid0(VALU_DEP_1) | instskip(SKIP_2) | instid1(VALU_DEP_3)
	v_cndmask_b32_e64 v19, v4, v5, s0
	v_cndmask_b32_e64 v20, 0, 1, s0
	;; [unrolled: 1-line block ×3, first 2 shown]
	v_cmp_gt_f32_e64 s1, v6, v19
	s_delay_alu instid0(VALU_DEP_1) | instskip(NEXT) | instid1(VALU_DEP_4)
	v_cndmask_b32_e64 v19, v19, v6, s1
	v_cndmask_b32_e64 v20, v20, 2, s1
	s_waitcnt lgkmcnt(0)
	v_cndmask_b32_e64 v22, v21, v2, s1
	s_delay_alu instid0(VALU_DEP_3) | instskip(NEXT) | instid1(VALU_DEP_1)
	v_cmp_gt_f32_e64 s0, v7, v19
	v_cndmask_b32_e64 v21, v19, v7, s0
	v_cndmask_b32_e64 v19, v20, 3, s0
	s_delay_alu instid0(VALU_DEP_4)
	v_cndmask_b32_e64 v20, v22, v3, s0
	ds_bpermute_b32 v22, v10, v21
	v_or_b32_e32 v19, v15, v19
	ds_bpermute_b32 v24, v10, v20
	ds_bpermute_b32 v23, v10, v19
	s_waitcnt lgkmcnt(0)
	v_cmp_lt_f32_e64 s16, v21, v22
	v_cmpx_nlt_f32_e32 v21, v22
; %bb.11:                               ;   in Loop: Header=BB38_10 Depth=1
	v_cmp_eq_f32_e64 s0, v21, v22
	v_cmp_lt_i32_e64 s1, v23, v19
	s_delay_alu instid0(VALU_DEP_1) | instskip(SKIP_2) | instid1(SALU_CYCLE_1)
	s_and_b32 s0, s0, s1
	s_and_not1_b32 s1, s16, exec_lo
	s_and_b32 s0, s0, exec_lo
	s_or_b32 s16, s1, s0
; %bb.12:                               ;   in Loop: Header=BB38_10 Depth=1
	s_or_b32 exec_lo, exec_lo, s17
	s_and_saveexec_b32 s0, s16
; %bb.13:                               ;   in Loop: Header=BB38_10 Depth=1
	v_dual_mov_b32 v20, v24 :: v_dual_mov_b32 v21, v22
	v_mov_b32_e32 v19, v23
; %bb.14:                               ;   in Loop: Header=BB38_10 Depth=1
	s_or_b32 exec_lo, exec_lo, s0
	ds_bpermute_b32 v23, v11, v21
	ds_bpermute_b32 v24, v11, v20
	;; [unrolled: 1-line block ×3, first 2 shown]
	s_mov_b32 s17, exec_lo
	s_waitcnt lgkmcnt(2)
	v_cmp_lt_f32_e64 s16, v21, v23
	v_cmpx_nlt_f32_e32 v21, v23
	s_cbranch_execz .LBB38_16
; %bb.15:                               ;   in Loop: Header=BB38_10 Depth=1
	v_cmp_eq_f32_e64 s0, v21, v23
	s_waitcnt lgkmcnt(0)
	v_cmp_lt_i32_e64 s1, v22, v19
	s_delay_alu instid0(VALU_DEP_1) | instskip(SKIP_2) | instid1(SALU_CYCLE_1)
	s_and_b32 s0, s0, s1
	s_and_not1_b32 s1, s16, exec_lo
	s_and_b32 s0, s0, exec_lo
	s_or_b32 s16, s1, s0
.LBB38_16:                              ;   in Loop: Header=BB38_10 Depth=1
	s_or_b32 exec_lo, exec_lo, s17
	s_delay_alu instid0(VALU_DEP_2)
	s_and_saveexec_b32 s0, s16
	s_cbranch_execz .LBB38_18
; %bb.17:                               ;   in Loop: Header=BB38_10 Depth=1
	s_waitcnt lgkmcnt(1)
	v_dual_mov_b32 v20, v24 :: v_dual_mov_b32 v21, v23
	s_waitcnt lgkmcnt(0)
	v_mov_b32_e32 v19, v22
.LBB38_18:                              ;   in Loop: Header=BB38_10 Depth=1
	s_or_b32 exec_lo, exec_lo, s0
	ds_bpermute_b32 v23, v12, v21
	s_waitcnt lgkmcnt(2)
	ds_bpermute_b32 v24, v12, v20
	s_waitcnt lgkmcnt(2)
	ds_bpermute_b32 v22, v12, v19
	s_mov_b32 s17, exec_lo
	s_waitcnt lgkmcnt(2)
	v_cmp_lt_f32_e64 s16, v21, v23
	v_cmpx_nlt_f32_e32 v21, v23
	s_cbranch_execz .LBB38_20
; %bb.19:                               ;   in Loop: Header=BB38_10 Depth=1
	v_cmp_eq_f32_e64 s0, v21, v23
	s_waitcnt lgkmcnt(0)
	v_cmp_lt_i32_e64 s1, v22, v19
	s_delay_alu instid0(VALU_DEP_1) | instskip(SKIP_2) | instid1(SALU_CYCLE_1)
	s_and_b32 s0, s0, s1
	s_and_not1_b32 s1, s16, exec_lo
	s_and_b32 s0, s0, exec_lo
	s_or_b32 s16, s1, s0
.LBB38_20:                              ;   in Loop: Header=BB38_10 Depth=1
	s_or_b32 exec_lo, exec_lo, s17
	s_delay_alu instid0(VALU_DEP_2)
	s_and_saveexec_b32 s0, s16
	s_cbranch_execz .LBB38_22
; %bb.21:                               ;   in Loop: Header=BB38_10 Depth=1
	s_waitcnt lgkmcnt(1)
	v_dual_mov_b32 v20, v24 :: v_dual_mov_b32 v21, v23
	s_waitcnt lgkmcnt(0)
	v_mov_b32_e32 v19, v22
.LBB38_22:                              ;   in Loop: Header=BB38_10 Depth=1
	s_or_b32 exec_lo, exec_lo, s0
	ds_bpermute_b32 v23, v13, v21
	s_waitcnt lgkmcnt(2)
	ds_bpermute_b32 v24, v13, v20
	s_waitcnt lgkmcnt(2)
	ds_bpermute_b32 v22, v13, v19
	s_mov_b32 s17, exec_lo
	s_waitcnt lgkmcnt(2)
	v_cmp_lt_f32_e64 s16, v21, v23
	v_cmpx_nlt_f32_e32 v21, v23
	s_cbranch_execz .LBB38_24
; %bb.23:                               ;   in Loop: Header=BB38_10 Depth=1
	v_cmp_eq_f32_e64 s0, v21, v23
	s_waitcnt lgkmcnt(0)
	v_cmp_lt_i32_e64 s1, v22, v19
	s_delay_alu instid0(VALU_DEP_1) | instskip(SKIP_2) | instid1(SALU_CYCLE_1)
	s_and_b32 s0, s0, s1
	s_and_not1_b32 s1, s16, exec_lo
	s_and_b32 s0, s0, exec_lo
	s_or_b32 s16, s1, s0
.LBB38_24:                              ;   in Loop: Header=BB38_10 Depth=1
	s_or_b32 exec_lo, exec_lo, s17
	s_delay_alu instid0(VALU_DEP_2)
	s_and_saveexec_b32 s0, s16
	s_cbranch_execz .LBB38_26
; %bb.25:                               ;   in Loop: Header=BB38_10 Depth=1
	s_waitcnt lgkmcnt(1)
	v_dual_mov_b32 v20, v24 :: v_dual_mov_b32 v21, v23
	s_waitcnt lgkmcnt(0)
	v_mov_b32_e32 v19, v22
.LBB38_26:                              ;   in Loop: Header=BB38_10 Depth=1
	s_or_b32 exec_lo, exec_lo, s0
	s_waitcnt lgkmcnt(1)
	ds_bpermute_b32 v24, v14, v21
	ds_bpermute_b32 v23, v14, v20
	s_waitcnt lgkmcnt(2)
	ds_bpermute_b32 v22, v14, v19
	s_mov_b32 s17, exec_lo
	s_waitcnt lgkmcnt(2)
	v_cmp_lt_f32_e64 s16, v21, v24
	v_cmpx_nlt_f32_e32 v21, v24
	s_cbranch_execnz .LBB38_30
; %bb.27:                               ;   in Loop: Header=BB38_10 Depth=1
	s_or_b32 exec_lo, exec_lo, s17
	s_delay_alu instid0(VALU_DEP_2)
	s_and_saveexec_b32 s0, s16
	s_cbranch_execnz .LBB38_31
.LBB38_28:                              ;   in Loop: Header=BB38_10 Depth=1
	s_or_b32 exec_lo, exec_lo, s0
	s_and_saveexec_b32 s16, s2
	s_cbranch_execnz .LBB38_32
.LBB38_29:                              ;   in Loop: Header=BB38_10 Depth=1
	s_or_b32 exec_lo, exec_lo, s16
	s_add_i32 s7, s7, 1
	s_delay_alu instid0(SALU_CYCLE_1)
	s_cmp_ge_i32 s7, s4
	s_cbranch_scc1 .LBB38_9
	s_branch .LBB38_33
.LBB38_30:                              ;   in Loop: Header=BB38_10 Depth=1
	v_cmp_eq_f32_e64 s0, v21, v24
	s_waitcnt lgkmcnt(0)
	v_cmp_lt_i32_e64 s1, v22, v19
	s_delay_alu instid0(VALU_DEP_1) | instskip(SKIP_2) | instid1(SALU_CYCLE_1)
	s_and_b32 s0, s0, s1
	s_and_not1_b32 s1, s16, exec_lo
	s_and_b32 s0, s0, exec_lo
	s_or_b32 s16, s1, s0
	s_or_b32 exec_lo, exec_lo, s17
	s_and_saveexec_b32 s0, s16
	s_cbranch_execz .LBB38_28
.LBB38_31:                              ;   in Loop: Header=BB38_10 Depth=1
	s_waitcnt lgkmcnt(0)
	v_dual_mov_b32 v20, v23 :: v_dual_mov_b32 v19, v22
	s_or_b32 exec_lo, exec_lo, s0
	s_and_saveexec_b32 s16, s2
	s_cbranch_execz .LBB38_29
.LBB38_32:                              ;   in Loop: Header=BB38_10 Depth=1
	s_delay_alu instid0(VALU_DEP_1)
	v_dual_add_f32 v28, v16, v20 :: v_dual_add_nc_u32 v21, s7, v17
	v_cmp_le_i32_e64 s0, s5, v19
	v_cmp_gt_i32_e64 s1, s6, v19
	s_waitcnt lgkmcnt(1)
	v_subrev_nc_u32_e32 v23, s5, v19
	s_waitcnt lgkmcnt(0)
	v_ashrrev_i32_e32 v22, 31, v21
	v_cndmask_b32_e32 v16, v16, v28, vcc_lo
	s_and_b32 s0, s0, s1
	s_delay_alu instid0(SALU_CYCLE_1) | instskip(NEXT) | instid1(VALU_DEP_2)
	s_and_b32 s0, s15, s0
	v_lshlrev_b64 v[21:22], 2, v[21:22]
	v_cndmask_b32_e64 v27, 0x80, v23, s0
	s_delay_alu instid0(VALU_DEP_2) | instskip(NEXT) | instid1(VALU_DEP_1)
	v_add_co_u32 v23, s0, s12, v21
	v_add_co_ci_u32_e64 v24, s0, s13, v22, s0
	v_add_co_u32 v25, s0, s8, v21
	s_delay_alu instid0(VALU_DEP_1) | instskip(SKIP_1) | instid1(VALU_DEP_1)
	v_add_co_ci_u32_e64 v26, s0, s9, v22, s0
	v_add_co_u32 v21, s0, s10, v21
	v_add_co_ci_u32_e64 v22, s0, s11, v22, s0
	global_store_b32 v[23:24], v20, off
	global_store_b32 v[25:26], v27, off
	;; [unrolled: 1-line block ×3, first 2 shown]
	s_or_b32 exec_lo, exec_lo, s16
	s_add_i32 s7, s7, 1
	s_delay_alu instid0(SALU_CYCLE_1)
	s_cmp_ge_i32 s7, s4
	s_cbranch_scc1 .LBB38_9
.LBB38_33:                              ;   in Loop: Header=BB38_10 Depth=1
	v_ashrrev_i32_e32 v20, 31, v19
	s_mov_b32 s1, exec_lo
	s_delay_alu instid0(VALU_DEP_1) | instskip(NEXT) | instid1(VALU_DEP_1)
	v_lshrrev_b32_e32 v21, 30, v20
	v_add_nc_u32_e32 v21, v19, v21
	s_waitcnt lgkmcnt(0)
	s_delay_alu instid0(VALU_DEP_1) | instskip(SKIP_1) | instid1(VALU_DEP_2)
	v_ashrrev_i32_e32 v22, 31, v21
	v_ashrrev_i32_e32 v21, 2, v21
	v_lshrrev_b32_e32 v22, 27, v22
	s_delay_alu instid0(VALU_DEP_1) | instskip(NEXT) | instid1(VALU_DEP_1)
	v_add_nc_u32_e32 v22, v21, v22
	v_and_b32_e32 v22, 0xffffffe0, v22
	s_delay_alu instid0(VALU_DEP_1) | instskip(NEXT) | instid1(VALU_DEP_1)
	v_sub_nc_u32_e32 v22, v21, v22
	v_cmpx_eq_u32_e64 v9, v22
	s_cbranch_execz .LBB38_8
; %bb.34:                               ;   in Loop: Header=BB38_10 Depth=1
	v_lshrrev_b32_e32 v20, 25, v20
	v_lshlrev_b32_e32 v21, 2, v21
	s_delay_alu instid0(VALU_DEP_2) | instskip(NEXT) | instid1(VALU_DEP_2)
	v_add_nc_u32_e32 v20, v19, v20
	v_sub_nc_u32_e32 v19, v19, v21
	s_delay_alu instid0(VALU_DEP_2) | instskip(NEXT) | instid1(VALU_DEP_1)
	v_ashrrev_i32_e32 v20, 7, v20
	v_lshl_add_u32 v19, v20, 2, v19
	s_delay_alu instid0(VALU_DEP_1) | instskip(NEXT) | instid1(VALU_DEP_1)
	v_cmp_ne_u32_e64 s0, 3, v19
	v_cndmask_b32_e64 v7, 0xc61c4000, v7, s0
	v_cmp_ne_u32_e64 s0, 2, v19
	s_delay_alu instid0(VALU_DEP_1) | instskip(SKIP_1) | instid1(VALU_DEP_1)
	v_cndmask_b32_e64 v6, 0xc61c4000, v6, s0
	v_cmp_ne_u32_e64 s0, 1, v19
	v_cndmask_b32_e64 v5, 0xc61c4000, v5, s0
	v_cmp_ne_u32_e64 s0, 0, v19
	s_delay_alu instid0(VALU_DEP_1)
	v_cndmask_b32_e64 v4, 0xc61c4000, v4, s0
	s_branch .LBB38_8
.LBB38_35:
                                        ; implicit-def: $vgpr4_vgpr5_vgpr6_vgpr7
	s_and_not1_b32 vcc_lo, exec_lo, s8
	s_cbranch_vccz .LBB38_5
	s_branch .LBB38_6
.LBB38_36:
	v_mov_b32_e32 v16, 0
.LBB38_37:
	v_cmp_eq_u32_e64 s0, 0, v9
	s_delay_alu instid0(VALU_DEP_1) | instskip(NEXT) | instid1(SALU_CYCLE_1)
	s_and_b32 s0, s0, vcc_lo
	s_and_b32 exec_lo, exec_lo, s0
	s_cbranch_execz .LBB38_41
; %bb.38:
	s_and_not1_b32 vcc_lo, exec_lo, s3
	s_cbranch_vccnz .LBB38_41
; %bb.39:
	v_mul_lo_u32 v0, v8, s4
	v_cmp_lt_f32_e32 vcc_lo, 0, v16
	v_cndmask_b32_e32 v2, 1.0, v16, vcc_lo
	s_delay_alu instid0(VALU_DEP_3) | instskip(NEXT) | instid1(VALU_DEP_1)
	v_ashrrev_i32_e32 v1, 31, v0
	v_lshlrev_b64 v[0:1], 2, v[0:1]
	s_delay_alu instid0(VALU_DEP_1) | instskip(NEXT) | instid1(VALU_DEP_2)
	v_add_co_u32 v0, vcc_lo, s12, v0
	v_add_co_ci_u32_e32 v1, vcc_lo, s13, v1, vcc_lo
	.p2align	6
.LBB38_40:                              ; =>This Inner Loop Header: Depth=1
	global_load_b32 v3, v[0:1], off
	s_add_i32 s4, s4, -1
	s_delay_alu instid0(SALU_CYCLE_1) | instskip(SKIP_3) | instid1(VALU_DEP_2)
	s_cmp_lg_u32 s4, 0
	s_waitcnt vmcnt(0)
	v_div_scale_f32 v4, null, v2, v2, v3
	v_div_scale_f32 v7, vcc_lo, v3, v2, v3
	v_rcp_f32_e32 v5, v4
	s_waitcnt_depctr 0xfff
	v_fma_f32 v6, -v4, v5, 1.0
	s_delay_alu instid0(VALU_DEP_1) | instskip(NEXT) | instid1(VALU_DEP_1)
	v_fmac_f32_e32 v5, v6, v5
	v_mul_f32_e32 v6, v7, v5
	s_delay_alu instid0(VALU_DEP_1) | instskip(NEXT) | instid1(VALU_DEP_1)
	v_fma_f32 v8, -v4, v6, v7
	v_fmac_f32_e32 v6, v8, v5
	s_delay_alu instid0(VALU_DEP_1) | instskip(NEXT) | instid1(VALU_DEP_1)
	v_fma_f32 v4, -v4, v6, v7
	v_div_fmas_f32 v4, v4, v5, v6
	s_delay_alu instid0(VALU_DEP_1)
	v_div_fixup_f32 v3, v4, v2, v3
	global_store_b32 v[0:1], v3, off
	v_add_co_u32 v0, vcc_lo, v0, 4
	v_add_co_ci_u32_e32 v1, vcc_lo, 0, v1, vcc_lo
	s_cbranch_scc1 .LBB38_40
.LBB38_41:
	s_nop 0
	s_sendmsg sendmsg(MSG_DEALLOC_VGPRS)
	s_endpgm
	.section	.rodata,"a",@progbits
	.p2align	6, 0x0
	.amdhsa_kernel _ZN4vllm3moe10topkGatingILi4ELi128ELi4ELi16ELi64EjfLNS0_11ScoringFuncE0EEEvPKT5_PKbPfiPT4_PiiiibPKf
		.amdhsa_group_segment_fixed_size 0
		.amdhsa_private_segment_fixed_size 0
		.amdhsa_kernarg_size 72
		.amdhsa_user_sgpr_count 15
		.amdhsa_user_sgpr_dispatch_ptr 0
		.amdhsa_user_sgpr_queue_ptr 0
		.amdhsa_user_sgpr_kernarg_segment_ptr 1
		.amdhsa_user_sgpr_dispatch_id 0
		.amdhsa_user_sgpr_private_segment_size 0
		.amdhsa_wavefront_size32 1
		.amdhsa_uses_dynamic_stack 0
		.amdhsa_enable_private_segment 0
		.amdhsa_system_sgpr_workgroup_id_x 1
		.amdhsa_system_sgpr_workgroup_id_y 0
		.amdhsa_system_sgpr_workgroup_id_z 0
		.amdhsa_system_sgpr_workgroup_info 0
		.amdhsa_system_vgpr_workitem_id 1
		.amdhsa_next_free_vgpr 29
		.amdhsa_next_free_sgpr 18
		.amdhsa_reserve_vcc 1
		.amdhsa_float_round_mode_32 0
		.amdhsa_float_round_mode_16_64 0
		.amdhsa_float_denorm_mode_32 3
		.amdhsa_float_denorm_mode_16_64 3
		.amdhsa_dx10_clamp 1
		.amdhsa_ieee_mode 1
		.amdhsa_fp16_overflow 0
		.amdhsa_workgroup_processor_mode 1
		.amdhsa_memory_ordered 1
		.amdhsa_forward_progress 0
		.amdhsa_shared_vgpr_count 0
		.amdhsa_exception_fp_ieee_invalid_op 0
		.amdhsa_exception_fp_denorm_src 0
		.amdhsa_exception_fp_ieee_div_zero 0
		.amdhsa_exception_fp_ieee_overflow 0
		.amdhsa_exception_fp_ieee_underflow 0
		.amdhsa_exception_fp_ieee_inexact 0
		.amdhsa_exception_int_div_zero 0
	.end_amdhsa_kernel
	.section	.text._ZN4vllm3moe10topkGatingILi4ELi128ELi4ELi16ELi64EjfLNS0_11ScoringFuncE0EEEvPKT5_PKbPfiPT4_PiiiibPKf,"axG",@progbits,_ZN4vllm3moe10topkGatingILi4ELi128ELi4ELi16ELi64EjfLNS0_11ScoringFuncE0EEEvPKT5_PKbPfiPT4_PiiiibPKf,comdat
.Lfunc_end38:
	.size	_ZN4vllm3moe10topkGatingILi4ELi128ELi4ELi16ELi64EjfLNS0_11ScoringFuncE0EEEvPKT5_PKbPfiPT4_PiiiibPKf, .Lfunc_end38-_ZN4vllm3moe10topkGatingILi4ELi128ELi4ELi16ELi64EjfLNS0_11ScoringFuncE0EEEvPKT5_PKbPfiPT4_PiiiibPKf
                                        ; -- End function
	.section	.AMDGPU.csdata,"",@progbits
; Kernel info:
; codeLenInByte = 2760
; NumSgprs: 20
; NumVgprs: 29
; ScratchSize: 0
; MemoryBound: 0
; FloatMode: 240
; IeeeMode: 1
; LDSByteSize: 0 bytes/workgroup (compile time only)
; SGPRBlocks: 2
; VGPRBlocks: 3
; NumSGPRsForWavesPerEU: 20
; NumVGPRsForWavesPerEU: 29
; Occupancy: 16
; WaveLimiterHint : 0
; COMPUTE_PGM_RSRC2:SCRATCH_EN: 0
; COMPUTE_PGM_RSRC2:USER_SGPR: 15
; COMPUTE_PGM_RSRC2:TRAP_HANDLER: 0
; COMPUTE_PGM_RSRC2:TGID_X_EN: 1
; COMPUTE_PGM_RSRC2:TGID_Y_EN: 0
; COMPUTE_PGM_RSRC2:TGID_Z_EN: 0
; COMPUTE_PGM_RSRC2:TIDIG_COMP_CNT: 1
	.section	.text._ZN4vllm3moe10topkGatingILi4ELi128ELi4ELi16ELi32EjfLNS0_11ScoringFuncE0EEEvPKT5_PKbPfiPT4_PiiiibPKf,"axG",@progbits,_ZN4vllm3moe10topkGatingILi4ELi128ELi4ELi16ELi32EjfLNS0_11ScoringFuncE0EEEvPKT5_PKbPfiPT4_PiiiibPKf,comdat
	.protected	_ZN4vllm3moe10topkGatingILi4ELi128ELi4ELi16ELi32EjfLNS0_11ScoringFuncE0EEEvPKT5_PKbPfiPT4_PiiiibPKf ; -- Begin function _ZN4vllm3moe10topkGatingILi4ELi128ELi4ELi16ELi32EjfLNS0_11ScoringFuncE0EEEvPKT5_PKbPfiPT4_PiiiibPKf
	.globl	_ZN4vllm3moe10topkGatingILi4ELi128ELi4ELi16ELi32EjfLNS0_11ScoringFuncE0EEEvPKT5_PKbPfiPT4_PiiiibPKf
	.p2align	8
	.type	_ZN4vllm3moe10topkGatingILi4ELi128ELi4ELi16ELi32EjfLNS0_11ScoringFuncE0EEEvPKT5_PKbPfiPT4_PiiiibPKf,@function
_ZN4vllm3moe10topkGatingILi4ELi128ELi4ELi16ELi32EjfLNS0_11ScoringFuncE0EEEvPKT5_PKbPfiPT4_PiiiibPKf: ; @_ZN4vllm3moe10topkGatingILi4ELi128ELi4ELi16ELi32EjfLNS0_11ScoringFuncE0EEEvPKT5_PKbPfiPT4_PiiiibPKf
; %bb.0:
	s_load_b32 s14, s[0:1], 0x18
	v_and_b32_e32 v1, 0x3ff, v0
	v_bfe_u32 v0, v0, 10, 10
	s_lshl_b32 s2, s15, 2
	s_delay_alu instid0(VALU_DEP_2) | instskip(NEXT) | instid1(VALU_DEP_1)
	v_lshrrev_b32_e32 v2, 5, v1
	v_add3_u32 v8, s2, v0, v2
	s_mov_b32 s2, exec_lo
	s_waitcnt lgkmcnt(0)
	s_delay_alu instid0(VALU_DEP_1)
	v_cmpx_gt_i32_e64 s14, v8
	s_cbranch_execz .LBB39_41
; %bb.1:
	s_clause 0x1
	s_load_b128 s[4:7], s[0:1], 0x0
	s_load_b64 s[12:13], s[0:1], 0x10
	s_mov_b32 s8, -1
	s_mov_b32 s15, -1
	s_waitcnt lgkmcnt(0)
	s_cmp_eq_u64 s[6:7], 0
	s_cbranch_scc1 .LBB39_3
; %bb.2:
	v_ashrrev_i32_e32 v0, 31, v8
	v_add_co_u32 v2, vcc_lo, s6, v8
	s_delay_alu instid0(VALU_DEP_2) | instskip(SKIP_3) | instid1(VALU_DEP_1)
	v_add_co_ci_u32_e32 v3, vcc_lo, s7, v0, vcc_lo
	global_load_u8 v0, v[2:3], off
	s_waitcnt vmcnt(0)
	v_and_b32_e32 v0, 1, v0
	v_cmp_eq_u32_e32 vcc_lo, 1, v0
	s_xor_b32 s2, vcc_lo, -1
	s_delay_alu instid0(SALU_CYCLE_1)
	s_or_not1_b32 s15, s2, exec_lo
.LBB39_3:
	v_mbcnt_lo_u32_b32 v4, -1, 0
	v_and_b32_e32 v9, 31, v1
	s_load_b64 s[2:3], s[0:1], 0x40
	s_delay_alu instid0(VALU_DEP_2) | instskip(SKIP_1) | instid1(VALU_DEP_1)
	v_xor_b32_e32 v5, 16, v4
	v_lshlrev_b32_e32 v2, 7, v8
	v_ashrrev_i32_e32 v3, 31, v2
	s_delay_alu instid0(VALU_DEP_1) | instskip(SKIP_3) | instid1(VALU_DEP_2)
	v_lshlrev_b64 v[0:1], 2, v[2:3]
	v_lshlrev_b32_e32 v2, 4, v9
	s_waitcnt lgkmcnt(0)
	s_cmp_eq_u64 s[2:3], 0
	v_add_co_u32 v0, vcc_lo, s4, v0
	s_delay_alu instid0(VALU_DEP_3) | instskip(NEXT) | instid1(VALU_DEP_2)
	v_add_co_ci_u32_e32 v1, vcc_lo, s5, v1, vcc_lo
	v_add_co_u32 v0, vcc_lo, v0, v2
	s_delay_alu instid0(VALU_DEP_2) | instskip(SKIP_3) | instid1(VALU_DEP_1)
	v_add_co_ci_u32_e32 v1, vcc_lo, 0, v1, vcc_lo
	v_cmp_gt_i32_e32 vcc_lo, 32, v5
	global_load_b128 v[0:3], v[0:1], off
	v_cndmask_b32_e32 v5, v4, v5, vcc_lo
	v_lshlrev_b32_e32 v10, 2, v5
	s_waitcnt vmcnt(0)
	v_dual_max_f32 v6, v1, v1 :: v_dual_max_f32 v7, v0, v0
	s_delay_alu instid0(VALU_DEP_1) | instskip(SKIP_1) | instid1(VALU_DEP_2)
	v_max_f32_e32 v6, v7, v6
	v_xor_b32_e32 v7, 8, v4
	v_max3_f32 v5, v6, v2, v3
	s_delay_alu instid0(VALU_DEP_2) | instskip(SKIP_2) | instid1(VALU_DEP_1)
	v_cmp_gt_i32_e32 vcc_lo, 32, v7
	ds_bpermute_b32 v6, v10, v5
	v_cndmask_b32_e32 v7, v4, v7, vcc_lo
	v_lshlrev_b32_e32 v11, 2, v7
	v_xor_b32_e32 v7, 4, v4
	s_delay_alu instid0(VALU_DEP_1) | instskip(SKIP_2) | instid1(VALU_DEP_1)
	v_cmp_gt_i32_e32 vcc_lo, 32, v7
	s_waitcnt lgkmcnt(0)
	v_max_f32_e32 v6, v6, v6
	v_max_f32_e32 v5, v5, v6
	ds_bpermute_b32 v6, v11, v5
	s_waitcnt lgkmcnt(0)
	v_dual_cndmask_b32 v7, v4, v7 :: v_dual_max_f32 v6, v6, v6
	s_delay_alu instid0(VALU_DEP_1) | instskip(SKIP_1) | instid1(VALU_DEP_3)
	v_lshlrev_b32_e32 v12, 2, v7
	v_xor_b32_e32 v7, 2, v4
	v_max_f32_e32 v5, v5, v6
	s_delay_alu instid0(VALU_DEP_2) | instskip(SKIP_3) | instid1(VALU_DEP_1)
	v_cmp_gt_i32_e32 vcc_lo, 32, v7
	ds_bpermute_b32 v6, v12, v5
	s_waitcnt lgkmcnt(0)
	v_dual_cndmask_b32 v7, v4, v7 :: v_dual_max_f32 v6, v6, v6
	v_lshlrev_b32_e32 v13, 2, v7
	v_xor_b32_e32 v7, 1, v4
	s_delay_alu instid0(VALU_DEP_1) | instskip(NEXT) | instid1(VALU_DEP_4)
	v_cmp_gt_i32_e32 vcc_lo, 32, v7
	v_dual_max_f32 v5, v5, v6 :: v_dual_cndmask_b32 v4, v4, v7
	ds_bpermute_b32 v6, v13, v5
	v_lshlrev_b32_e32 v14, 2, v4
	s_waitcnt lgkmcnt(0)
	v_max_f32_e32 v6, v6, v6
	s_delay_alu instid0(VALU_DEP_1) | instskip(SKIP_3) | instid1(VALU_DEP_1)
	v_max_f32_e32 v4, v5, v6
	ds_bpermute_b32 v5, v14, v4
	s_waitcnt lgkmcnt(0)
	v_max_f32_e32 v5, v5, v5
	v_max_f32_e32 v4, v4, v5
	s_delay_alu instid0(VALU_DEP_1) | instskip(NEXT) | instid1(VALU_DEP_1)
	v_sub_f32_e32 v3, v3, v4
	v_dual_mul_f32 v7, 0x3fb8aa3b, v3 :: v_dual_sub_f32 v2, v2, v4
	v_sub_f32_e32 v1, v1, v4
	s_delay_alu instid0(VALU_DEP_2) | instskip(NEXT) | instid1(VALU_DEP_2)
	v_rndne_f32_e32 v22, v7
	v_dual_mul_f32 v6, 0x3fb8aa3b, v2 :: v_dual_mul_f32 v5, 0x3fb8aa3b, v1
	s_delay_alu instid0(VALU_DEP_1) | instskip(NEXT) | instid1(VALU_DEP_2)
	v_rndne_f32_e32 v20, v6
	v_fma_f32 v17, 0x3fb8aa3b, v1, -v5
	v_sub_f32_e32 v0, v0, v4
	v_rndne_f32_e32 v18, v5
	s_delay_alu instid0(VALU_DEP_3) | instskip(NEXT) | instid1(VALU_DEP_2)
	v_fmac_f32_e32 v17, 0x32a5705f, v1
	v_dual_mul_f32 v4, 0x3fb8aa3b, v0 :: v_dual_sub_f32 v5, v5, v18
	v_fma_f32 v19, 0x3fb8aa3b, v2, -v6
	v_sub_f32_e32 v6, v6, v20
	v_cmp_ngt_f32_e32 vcc_lo, 0xc2ce8ed0, v0
	s_delay_alu instid0(VALU_DEP_4) | instskip(SKIP_2) | instid1(VALU_DEP_3)
	v_fma_f32 v15, 0x3fb8aa3b, v0, -v4
	v_rndne_f32_e32 v16, v4
	v_fmac_f32_e32 v19, 0x32a5705f, v2
	v_fmac_f32_e32 v15, 0x32a5705f, v0
	s_delay_alu instid0(VALU_DEP_3) | instskip(NEXT) | instid1(VALU_DEP_3)
	v_sub_f32_e32 v4, v4, v16
	v_add_f32_e32 v6, v6, v19
	s_delay_alu instid0(VALU_DEP_2) | instskip(SKIP_2) | instid1(VALU_DEP_4)
	v_add_f32_e32 v4, v4, v15
	v_cvt_i32_f32_e32 v15, v16
	v_fma_f32 v21, 0x3fb8aa3b, v3, -v7
	v_exp_f32_e32 v6, v6
	v_cvt_i32_f32_e32 v16, v18
	v_exp_f32_e32 v4, v4
	v_sub_f32_e32 v7, v7, v22
	v_fmac_f32_e32 v21, 0x32a5705f, v3
	v_cvt_i32_f32_e32 v18, v22
	s_waitcnt_depctr 0xfff
	v_ldexp_f32 v4, v4, v15
	v_add_f32_e32 v5, v5, v17
	v_cvt_i32_f32_e32 v17, v20
	s_delay_alu instid0(VALU_DEP_3) | instskip(NEXT) | instid1(VALU_DEP_3)
	v_cndmask_b32_e32 v4, 0, v4, vcc_lo
	v_exp_f32_e32 v5, v5
	v_cmp_ngt_f32_e32 vcc_lo, 0xc2ce8ed0, v1
	s_delay_alu instid0(VALU_DEP_3) | instskip(SKIP_2) | instid1(VALU_DEP_1)
	v_ldexp_f32 v6, v6, v17
	s_waitcnt_depctr 0xfff
	v_ldexp_f32 v5, v5, v16
	v_cndmask_b32_e32 v5, 0, v5, vcc_lo
	v_cmp_ngt_f32_e32 vcc_lo, 0xc2ce8ed0, v2
	v_dual_add_f32 v7, v7, v21 :: v_dual_cndmask_b32 v6, 0, v6
	s_delay_alu instid0(VALU_DEP_1)
	v_exp_f32_e32 v7, v7
	v_cmp_nlt_f32_e32 vcc_lo, 0x42b17218, v0
	v_cndmask_b32_e32 v0, 0x7f800000, v4, vcc_lo
	v_cmp_nlt_f32_e32 vcc_lo, 0x42b17218, v1
	s_waitcnt_depctr 0xfff
	v_ldexp_f32 v7, v7, v18
	v_cndmask_b32_e32 v1, 0x7f800000, v5, vcc_lo
	v_cmp_ngt_f32_e32 vcc_lo, 0xc2ce8ed0, v3
	s_delay_alu instid0(VALU_DEP_2) | instskip(SKIP_3) | instid1(VALU_DEP_2)
	v_dual_add_f32 v5, v0, v1 :: v_dual_cndmask_b32 v4, 0, v7
	v_cmp_nlt_f32_e32 vcc_lo, 0x42b17218, v2
	v_cndmask_b32_e32 v2, 0x7f800000, v6, vcc_lo
	v_cmp_nlt_f32_e32 vcc_lo, 0x42b17218, v3
	v_dual_cndmask_b32 v3, 0x7f800000, v4 :: v_dual_add_f32 v4, v5, v2
	s_delay_alu instid0(VALU_DEP_1)
	v_add_f32_e32 v4, v4, v3
	ds_bpermute_b32 v5, v10, v4
	s_waitcnt lgkmcnt(0)
	v_add_f32_e32 v4, v4, v5
	ds_bpermute_b32 v5, v11, v4
	s_waitcnt lgkmcnt(0)
	;; [unrolled: 3-line block ×5, first 2 shown]
	v_add_f32_e32 v4, v4, v5
	s_delay_alu instid0(VALU_DEP_1) | instskip(SKIP_1) | instid1(VALU_DEP_2)
	v_div_scale_f32 v5, null, v4, v4, 1.0
	v_div_scale_f32 v15, vcc_lo, 1.0, v4, 1.0
	v_rcp_f32_e32 v6, v5
	s_waitcnt_depctr 0xfff
	v_fma_f32 v7, -v5, v6, 1.0
	s_delay_alu instid0(VALU_DEP_1) | instskip(NEXT) | instid1(VALU_DEP_1)
	v_fmac_f32_e32 v6, v7, v6
	v_mul_f32_e32 v7, v15, v6
	s_delay_alu instid0(VALU_DEP_1) | instskip(NEXT) | instid1(VALU_DEP_1)
	v_fma_f32 v16, -v5, v7, v15
	v_fmac_f32_e32 v7, v16, v6
	s_delay_alu instid0(VALU_DEP_1) | instskip(SKIP_1) | instid1(VALU_DEP_2)
	v_fma_f32 v5, -v5, v7, v15
	v_lshlrev_b32_e32 v15, 2, v9
	v_div_fmas_f32 v5, v5, v6, v7
	s_delay_alu instid0(VALU_DEP_1) | instskip(NEXT) | instid1(VALU_DEP_1)
	v_div_fixup_f32 v4, v5, v4, 1.0
	v_mul_f32_e32 v1, v4, v1
	v_mul_f32_e32 v0, v4, v0
	;; [unrolled: 1-line block ×3, first 2 shown]
	s_delay_alu instid0(VALU_DEP_2)
	v_cmp_class_f32_e64 vcc_lo, v0, 0x1f8
	v_cndmask_b32_e32 v0, 0, v0, vcc_lo
	v_cmp_class_f32_e64 vcc_lo, v1, 0x1f8
	v_cndmask_b32_e32 v1, 0, v1, vcc_lo
	v_cmp_class_f32_e64 vcc_lo, v2, 0x1f8
	v_dual_mul_f32 v3, v4, v3 :: v_dual_cndmask_b32 v2, 0, v2
	s_delay_alu instid0(VALU_DEP_1)
	v_cmp_class_f32_e64 vcc_lo, v3, 0x1f8
	v_cndmask_b32_e32 v3, 0, v3, vcc_lo
	s_cbranch_scc1 .LBB39_35
; %bb.4:
	v_lshlrev_b32_e32 v4, 2, v15
	global_load_b128 v[4:7], v4, s[2:3]
	s_waitcnt vmcnt(0)
	v_dual_add_f32 v5, v5, v1 :: v_dual_add_f32 v4, v4, v0
	v_dual_add_f32 v7, v7, v3 :: v_dual_add_f32 v6, v6, v2
	s_cbranch_execnz .LBB39_6
.LBB39_5:
	v_dual_mov_b32 v7, v3 :: v_dual_mov_b32 v6, v2
	v_dual_mov_b32 v5, v1 :: v_dual_mov_b32 v4, v0
.LBB39_6:
	s_load_b128 s[4:7], s[0:1], 0x30
	v_cmp_eq_u32_e64 s2, 0, v9
	s_waitcnt lgkmcnt(0)
	s_bitcmp1_b32 s7, 0
	s_mov_b32 s7, 0
	s_cselect_b32 vcc_lo, -1, 0
	s_cmp_gt_i32 s4, 0
	s_cselect_b32 s3, -1, 0
	s_cmp_lt_i32 s4, 1
	s_cbranch_scc1 .LBB39_36
; %bb.7:
	s_load_b128 s[8:11], s[0:1], 0x20
	v_mul_lo_u32 v17, v8, s4
	v_mov_b32_e32 v16, 0
	v_mov_b32_e32 v18, v8
	s_branch .LBB39_10
.LBB39_8:                               ;   in Loop: Header=BB39_10 Depth=1
	s_or_b32 exec_lo, exec_lo, s1
.LBB39_9:                               ;   in Loop: Header=BB39_10 Depth=1
	v_add_nc_u32_e32 v18, s14, v18
	s_cmp_eq_u32 s4, s7
	s_cbranch_scc1 .LBB39_37
.LBB39_10:                              ; =>This Inner Loop Header: Depth=1
	v_cmp_gt_f32_e64 s0, v5, v4
	s_mov_b32 s17, exec_lo
	s_delay_alu instid0(VALU_DEP_1) | instskip(SKIP_2) | instid1(VALU_DEP_3)
	v_cndmask_b32_e64 v19, v4, v5, s0
	v_cndmask_b32_e64 v20, 0, 1, s0
	;; [unrolled: 1-line block ×3, first 2 shown]
	v_cmp_gt_f32_e64 s1, v6, v19
	s_delay_alu instid0(VALU_DEP_1) | instskip(NEXT) | instid1(VALU_DEP_4)
	v_cndmask_b32_e64 v19, v19, v6, s1
	v_cndmask_b32_e64 v20, v20, 2, s1
	s_waitcnt lgkmcnt(0)
	v_cndmask_b32_e64 v22, v21, v2, s1
	s_delay_alu instid0(VALU_DEP_3) | instskip(NEXT) | instid1(VALU_DEP_1)
	v_cmp_gt_f32_e64 s0, v7, v19
	v_cndmask_b32_e64 v21, v19, v7, s0
	v_cndmask_b32_e64 v19, v20, 3, s0
	s_delay_alu instid0(VALU_DEP_4)
	v_cndmask_b32_e64 v20, v22, v3, s0
	ds_bpermute_b32 v22, v10, v21
	v_or_b32_e32 v19, v15, v19
	ds_bpermute_b32 v24, v10, v20
	ds_bpermute_b32 v23, v10, v19
	s_waitcnt lgkmcnt(0)
	v_cmp_lt_f32_e64 s16, v21, v22
	v_cmpx_nlt_f32_e32 v21, v22
; %bb.11:                               ;   in Loop: Header=BB39_10 Depth=1
	v_cmp_eq_f32_e64 s0, v21, v22
	v_cmp_lt_i32_e64 s1, v23, v19
	s_delay_alu instid0(VALU_DEP_1) | instskip(SKIP_2) | instid1(SALU_CYCLE_1)
	s_and_b32 s0, s0, s1
	s_and_not1_b32 s1, s16, exec_lo
	s_and_b32 s0, s0, exec_lo
	s_or_b32 s16, s1, s0
; %bb.12:                               ;   in Loop: Header=BB39_10 Depth=1
	s_or_b32 exec_lo, exec_lo, s17
	s_and_saveexec_b32 s0, s16
; %bb.13:                               ;   in Loop: Header=BB39_10 Depth=1
	v_dual_mov_b32 v20, v24 :: v_dual_mov_b32 v21, v22
	v_mov_b32_e32 v19, v23
; %bb.14:                               ;   in Loop: Header=BB39_10 Depth=1
	s_or_b32 exec_lo, exec_lo, s0
	ds_bpermute_b32 v23, v11, v21
	ds_bpermute_b32 v24, v11, v20
	;; [unrolled: 1-line block ×3, first 2 shown]
	s_mov_b32 s17, exec_lo
	s_waitcnt lgkmcnt(2)
	v_cmp_lt_f32_e64 s16, v21, v23
	v_cmpx_nlt_f32_e32 v21, v23
	s_cbranch_execz .LBB39_16
; %bb.15:                               ;   in Loop: Header=BB39_10 Depth=1
	v_cmp_eq_f32_e64 s0, v21, v23
	s_waitcnt lgkmcnt(0)
	v_cmp_lt_i32_e64 s1, v22, v19
	s_delay_alu instid0(VALU_DEP_1) | instskip(SKIP_2) | instid1(SALU_CYCLE_1)
	s_and_b32 s0, s0, s1
	s_and_not1_b32 s1, s16, exec_lo
	s_and_b32 s0, s0, exec_lo
	s_or_b32 s16, s1, s0
.LBB39_16:                              ;   in Loop: Header=BB39_10 Depth=1
	s_or_b32 exec_lo, exec_lo, s17
	s_delay_alu instid0(VALU_DEP_2)
	s_and_saveexec_b32 s0, s16
	s_cbranch_execz .LBB39_18
; %bb.17:                               ;   in Loop: Header=BB39_10 Depth=1
	s_waitcnt lgkmcnt(1)
	v_dual_mov_b32 v20, v24 :: v_dual_mov_b32 v21, v23
	s_waitcnt lgkmcnt(0)
	v_mov_b32_e32 v19, v22
.LBB39_18:                              ;   in Loop: Header=BB39_10 Depth=1
	s_or_b32 exec_lo, exec_lo, s0
	ds_bpermute_b32 v23, v12, v21
	s_waitcnt lgkmcnt(2)
	ds_bpermute_b32 v24, v12, v20
	s_waitcnt lgkmcnt(2)
	ds_bpermute_b32 v22, v12, v19
	s_mov_b32 s17, exec_lo
	s_waitcnt lgkmcnt(2)
	v_cmp_lt_f32_e64 s16, v21, v23
	v_cmpx_nlt_f32_e32 v21, v23
	s_cbranch_execz .LBB39_20
; %bb.19:                               ;   in Loop: Header=BB39_10 Depth=1
	v_cmp_eq_f32_e64 s0, v21, v23
	s_waitcnt lgkmcnt(0)
	v_cmp_lt_i32_e64 s1, v22, v19
	s_delay_alu instid0(VALU_DEP_1) | instskip(SKIP_2) | instid1(SALU_CYCLE_1)
	s_and_b32 s0, s0, s1
	s_and_not1_b32 s1, s16, exec_lo
	s_and_b32 s0, s0, exec_lo
	s_or_b32 s16, s1, s0
.LBB39_20:                              ;   in Loop: Header=BB39_10 Depth=1
	s_or_b32 exec_lo, exec_lo, s17
	s_delay_alu instid0(VALU_DEP_2)
	s_and_saveexec_b32 s0, s16
	s_cbranch_execz .LBB39_22
; %bb.21:                               ;   in Loop: Header=BB39_10 Depth=1
	s_waitcnt lgkmcnt(1)
	v_dual_mov_b32 v20, v24 :: v_dual_mov_b32 v21, v23
	s_waitcnt lgkmcnt(0)
	v_mov_b32_e32 v19, v22
.LBB39_22:                              ;   in Loop: Header=BB39_10 Depth=1
	s_or_b32 exec_lo, exec_lo, s0
	ds_bpermute_b32 v23, v13, v21
	s_waitcnt lgkmcnt(2)
	ds_bpermute_b32 v24, v13, v20
	s_waitcnt lgkmcnt(2)
	ds_bpermute_b32 v22, v13, v19
	s_mov_b32 s17, exec_lo
	s_waitcnt lgkmcnt(2)
	v_cmp_lt_f32_e64 s16, v21, v23
	v_cmpx_nlt_f32_e32 v21, v23
	s_cbranch_execz .LBB39_24
; %bb.23:                               ;   in Loop: Header=BB39_10 Depth=1
	v_cmp_eq_f32_e64 s0, v21, v23
	s_waitcnt lgkmcnt(0)
	v_cmp_lt_i32_e64 s1, v22, v19
	s_delay_alu instid0(VALU_DEP_1) | instskip(SKIP_2) | instid1(SALU_CYCLE_1)
	s_and_b32 s0, s0, s1
	s_and_not1_b32 s1, s16, exec_lo
	s_and_b32 s0, s0, exec_lo
	s_or_b32 s16, s1, s0
.LBB39_24:                              ;   in Loop: Header=BB39_10 Depth=1
	s_or_b32 exec_lo, exec_lo, s17
	s_delay_alu instid0(VALU_DEP_2)
	s_and_saveexec_b32 s0, s16
	s_cbranch_execz .LBB39_26
; %bb.25:                               ;   in Loop: Header=BB39_10 Depth=1
	s_waitcnt lgkmcnt(1)
	v_dual_mov_b32 v20, v24 :: v_dual_mov_b32 v21, v23
	s_waitcnt lgkmcnt(0)
	v_mov_b32_e32 v19, v22
.LBB39_26:                              ;   in Loop: Header=BB39_10 Depth=1
	s_or_b32 exec_lo, exec_lo, s0
	s_waitcnt lgkmcnt(1)
	ds_bpermute_b32 v24, v14, v21
	ds_bpermute_b32 v23, v14, v20
	s_waitcnt lgkmcnt(2)
	ds_bpermute_b32 v22, v14, v19
	s_mov_b32 s17, exec_lo
	s_waitcnt lgkmcnt(2)
	v_cmp_lt_f32_e64 s16, v21, v24
	v_cmpx_nlt_f32_e32 v21, v24
	s_cbranch_execnz .LBB39_30
; %bb.27:                               ;   in Loop: Header=BB39_10 Depth=1
	s_or_b32 exec_lo, exec_lo, s17
	s_delay_alu instid0(VALU_DEP_2)
	s_and_saveexec_b32 s0, s16
	s_cbranch_execnz .LBB39_31
.LBB39_28:                              ;   in Loop: Header=BB39_10 Depth=1
	s_or_b32 exec_lo, exec_lo, s0
	s_and_saveexec_b32 s16, s2
	s_cbranch_execnz .LBB39_32
.LBB39_29:                              ;   in Loop: Header=BB39_10 Depth=1
	s_or_b32 exec_lo, exec_lo, s16
	s_add_i32 s7, s7, 1
	s_delay_alu instid0(SALU_CYCLE_1)
	s_cmp_ge_i32 s7, s4
	s_cbranch_scc1 .LBB39_9
	s_branch .LBB39_33
.LBB39_30:                              ;   in Loop: Header=BB39_10 Depth=1
	v_cmp_eq_f32_e64 s0, v21, v24
	s_waitcnt lgkmcnt(0)
	v_cmp_lt_i32_e64 s1, v22, v19
	s_delay_alu instid0(VALU_DEP_1) | instskip(SKIP_2) | instid1(SALU_CYCLE_1)
	s_and_b32 s0, s0, s1
	s_and_not1_b32 s1, s16, exec_lo
	s_and_b32 s0, s0, exec_lo
	s_or_b32 s16, s1, s0
	s_or_b32 exec_lo, exec_lo, s17
	s_and_saveexec_b32 s0, s16
	s_cbranch_execz .LBB39_28
.LBB39_31:                              ;   in Loop: Header=BB39_10 Depth=1
	s_waitcnt lgkmcnt(0)
	v_dual_mov_b32 v20, v23 :: v_dual_mov_b32 v19, v22
	s_or_b32 exec_lo, exec_lo, s0
	s_and_saveexec_b32 s16, s2
	s_cbranch_execz .LBB39_29
.LBB39_32:                              ;   in Loop: Header=BB39_10 Depth=1
	s_delay_alu instid0(VALU_DEP_1)
	v_dual_add_f32 v28, v16, v20 :: v_dual_add_nc_u32 v21, s7, v17
	v_cmp_le_i32_e64 s0, s5, v19
	v_cmp_gt_i32_e64 s1, s6, v19
	s_waitcnt lgkmcnt(1)
	v_subrev_nc_u32_e32 v23, s5, v19
	s_waitcnt lgkmcnt(0)
	v_ashrrev_i32_e32 v22, 31, v21
	v_cndmask_b32_e32 v16, v16, v28, vcc_lo
	s_and_b32 s0, s0, s1
	s_delay_alu instid0(SALU_CYCLE_1) | instskip(NEXT) | instid1(VALU_DEP_2)
	s_and_b32 s0, s15, s0
	v_lshlrev_b64 v[21:22], 2, v[21:22]
	v_cndmask_b32_e64 v27, 0x80, v23, s0
	s_delay_alu instid0(VALU_DEP_2) | instskip(NEXT) | instid1(VALU_DEP_1)
	v_add_co_u32 v23, s0, s12, v21
	v_add_co_ci_u32_e64 v24, s0, s13, v22, s0
	v_add_co_u32 v25, s0, s8, v21
	s_delay_alu instid0(VALU_DEP_1) | instskip(SKIP_1) | instid1(VALU_DEP_1)
	v_add_co_ci_u32_e64 v26, s0, s9, v22, s0
	v_add_co_u32 v21, s0, s10, v21
	v_add_co_ci_u32_e64 v22, s0, s11, v22, s0
	global_store_b32 v[23:24], v20, off
	global_store_b32 v[25:26], v27, off
	global_store_b32 v[21:22], v18, off
	s_or_b32 exec_lo, exec_lo, s16
	s_add_i32 s7, s7, 1
	s_delay_alu instid0(SALU_CYCLE_1)
	s_cmp_ge_i32 s7, s4
	s_cbranch_scc1 .LBB39_9
.LBB39_33:                              ;   in Loop: Header=BB39_10 Depth=1
	v_ashrrev_i32_e32 v20, 31, v19
	s_mov_b32 s1, exec_lo
	s_delay_alu instid0(VALU_DEP_1) | instskip(NEXT) | instid1(VALU_DEP_1)
	v_lshrrev_b32_e32 v21, 30, v20
	v_add_nc_u32_e32 v21, v19, v21
	s_waitcnt lgkmcnt(0)
	s_delay_alu instid0(VALU_DEP_1) | instskip(SKIP_1) | instid1(VALU_DEP_2)
	v_ashrrev_i32_e32 v22, 31, v21
	v_ashrrev_i32_e32 v21, 2, v21
	v_lshrrev_b32_e32 v22, 27, v22
	s_delay_alu instid0(VALU_DEP_1) | instskip(NEXT) | instid1(VALU_DEP_1)
	v_add_nc_u32_e32 v22, v21, v22
	v_and_b32_e32 v22, 0xffffffe0, v22
	s_delay_alu instid0(VALU_DEP_1) | instskip(NEXT) | instid1(VALU_DEP_1)
	v_sub_nc_u32_e32 v22, v21, v22
	v_cmpx_eq_u32_e64 v9, v22
	s_cbranch_execz .LBB39_8
; %bb.34:                               ;   in Loop: Header=BB39_10 Depth=1
	v_lshrrev_b32_e32 v20, 25, v20
	v_lshlrev_b32_e32 v21, 2, v21
	s_delay_alu instid0(VALU_DEP_2) | instskip(NEXT) | instid1(VALU_DEP_2)
	v_add_nc_u32_e32 v20, v19, v20
	v_sub_nc_u32_e32 v19, v19, v21
	s_delay_alu instid0(VALU_DEP_2) | instskip(NEXT) | instid1(VALU_DEP_1)
	v_ashrrev_i32_e32 v20, 7, v20
	v_lshl_add_u32 v19, v20, 2, v19
	s_delay_alu instid0(VALU_DEP_1) | instskip(NEXT) | instid1(VALU_DEP_1)
	v_cmp_ne_u32_e64 s0, 3, v19
	v_cndmask_b32_e64 v7, 0xc61c4000, v7, s0
	v_cmp_ne_u32_e64 s0, 2, v19
	s_delay_alu instid0(VALU_DEP_1) | instskip(SKIP_1) | instid1(VALU_DEP_1)
	v_cndmask_b32_e64 v6, 0xc61c4000, v6, s0
	v_cmp_ne_u32_e64 s0, 1, v19
	v_cndmask_b32_e64 v5, 0xc61c4000, v5, s0
	v_cmp_ne_u32_e64 s0, 0, v19
	s_delay_alu instid0(VALU_DEP_1)
	v_cndmask_b32_e64 v4, 0xc61c4000, v4, s0
	s_branch .LBB39_8
.LBB39_35:
                                        ; implicit-def: $vgpr4_vgpr5_vgpr6_vgpr7
	s_and_not1_b32 vcc_lo, exec_lo, s8
	s_cbranch_vccz .LBB39_5
	s_branch .LBB39_6
.LBB39_36:
	v_mov_b32_e32 v16, 0
.LBB39_37:
	v_cmp_eq_u32_e64 s0, 0, v9
	s_delay_alu instid0(VALU_DEP_1) | instskip(NEXT) | instid1(SALU_CYCLE_1)
	s_and_b32 s0, s0, vcc_lo
	s_and_b32 exec_lo, exec_lo, s0
	s_cbranch_execz .LBB39_41
; %bb.38:
	s_and_not1_b32 vcc_lo, exec_lo, s3
	s_cbranch_vccnz .LBB39_41
; %bb.39:
	v_mul_lo_u32 v0, v8, s4
	v_cmp_lt_f32_e32 vcc_lo, 0, v16
	v_cndmask_b32_e32 v2, 1.0, v16, vcc_lo
	s_delay_alu instid0(VALU_DEP_3) | instskip(NEXT) | instid1(VALU_DEP_1)
	v_ashrrev_i32_e32 v1, 31, v0
	v_lshlrev_b64 v[0:1], 2, v[0:1]
	s_delay_alu instid0(VALU_DEP_1) | instskip(NEXT) | instid1(VALU_DEP_2)
	v_add_co_u32 v0, vcc_lo, s12, v0
	v_add_co_ci_u32_e32 v1, vcc_lo, s13, v1, vcc_lo
	.p2align	6
.LBB39_40:                              ; =>This Inner Loop Header: Depth=1
	global_load_b32 v3, v[0:1], off
	s_add_i32 s4, s4, -1
	s_delay_alu instid0(SALU_CYCLE_1) | instskip(SKIP_3) | instid1(VALU_DEP_2)
	s_cmp_lg_u32 s4, 0
	s_waitcnt vmcnt(0)
	v_div_scale_f32 v4, null, v2, v2, v3
	v_div_scale_f32 v7, vcc_lo, v3, v2, v3
	v_rcp_f32_e32 v5, v4
	s_waitcnt_depctr 0xfff
	v_fma_f32 v6, -v4, v5, 1.0
	s_delay_alu instid0(VALU_DEP_1) | instskip(NEXT) | instid1(VALU_DEP_1)
	v_fmac_f32_e32 v5, v6, v5
	v_mul_f32_e32 v6, v7, v5
	s_delay_alu instid0(VALU_DEP_1) | instskip(NEXT) | instid1(VALU_DEP_1)
	v_fma_f32 v8, -v4, v6, v7
	v_fmac_f32_e32 v6, v8, v5
	s_delay_alu instid0(VALU_DEP_1) | instskip(NEXT) | instid1(VALU_DEP_1)
	v_fma_f32 v4, -v4, v6, v7
	v_div_fmas_f32 v4, v4, v5, v6
	s_delay_alu instid0(VALU_DEP_1)
	v_div_fixup_f32 v3, v4, v2, v3
	global_store_b32 v[0:1], v3, off
	v_add_co_u32 v0, vcc_lo, v0, 4
	v_add_co_ci_u32_e32 v1, vcc_lo, 0, v1, vcc_lo
	s_cbranch_scc1 .LBB39_40
.LBB39_41:
	s_nop 0
	s_sendmsg sendmsg(MSG_DEALLOC_VGPRS)
	s_endpgm
	.section	.rodata,"a",@progbits
	.p2align	6, 0x0
	.amdhsa_kernel _ZN4vllm3moe10topkGatingILi4ELi128ELi4ELi16ELi32EjfLNS0_11ScoringFuncE0EEEvPKT5_PKbPfiPT4_PiiiibPKf
		.amdhsa_group_segment_fixed_size 0
		.amdhsa_private_segment_fixed_size 0
		.amdhsa_kernarg_size 72
		.amdhsa_user_sgpr_count 15
		.amdhsa_user_sgpr_dispatch_ptr 0
		.amdhsa_user_sgpr_queue_ptr 0
		.amdhsa_user_sgpr_kernarg_segment_ptr 1
		.amdhsa_user_sgpr_dispatch_id 0
		.amdhsa_user_sgpr_private_segment_size 0
		.amdhsa_wavefront_size32 1
		.amdhsa_uses_dynamic_stack 0
		.amdhsa_enable_private_segment 0
		.amdhsa_system_sgpr_workgroup_id_x 1
		.amdhsa_system_sgpr_workgroup_id_y 0
		.amdhsa_system_sgpr_workgroup_id_z 0
		.amdhsa_system_sgpr_workgroup_info 0
		.amdhsa_system_vgpr_workitem_id 1
		.amdhsa_next_free_vgpr 29
		.amdhsa_next_free_sgpr 18
		.amdhsa_reserve_vcc 1
		.amdhsa_float_round_mode_32 0
		.amdhsa_float_round_mode_16_64 0
		.amdhsa_float_denorm_mode_32 3
		.amdhsa_float_denorm_mode_16_64 3
		.amdhsa_dx10_clamp 1
		.amdhsa_ieee_mode 1
		.amdhsa_fp16_overflow 0
		.amdhsa_workgroup_processor_mode 1
		.amdhsa_memory_ordered 1
		.amdhsa_forward_progress 0
		.amdhsa_shared_vgpr_count 0
		.amdhsa_exception_fp_ieee_invalid_op 0
		.amdhsa_exception_fp_denorm_src 0
		.amdhsa_exception_fp_ieee_div_zero 0
		.amdhsa_exception_fp_ieee_overflow 0
		.amdhsa_exception_fp_ieee_underflow 0
		.amdhsa_exception_fp_ieee_inexact 0
		.amdhsa_exception_int_div_zero 0
	.end_amdhsa_kernel
	.section	.text._ZN4vllm3moe10topkGatingILi4ELi128ELi4ELi16ELi32EjfLNS0_11ScoringFuncE0EEEvPKT5_PKbPfiPT4_PiiiibPKf,"axG",@progbits,_ZN4vllm3moe10topkGatingILi4ELi128ELi4ELi16ELi32EjfLNS0_11ScoringFuncE0EEEvPKT5_PKbPfiPT4_PiiiibPKf,comdat
.Lfunc_end39:
	.size	_ZN4vllm3moe10topkGatingILi4ELi128ELi4ELi16ELi32EjfLNS0_11ScoringFuncE0EEEvPKT5_PKbPfiPT4_PiiiibPKf, .Lfunc_end39-_ZN4vllm3moe10topkGatingILi4ELi128ELi4ELi16ELi32EjfLNS0_11ScoringFuncE0EEEvPKT5_PKbPfiPT4_PiiiibPKf
                                        ; -- End function
	.section	.AMDGPU.csdata,"",@progbits
; Kernel info:
; codeLenInByte = 2768
; NumSgprs: 20
; NumVgprs: 29
; ScratchSize: 0
; MemoryBound: 0
; FloatMode: 240
; IeeeMode: 1
; LDSByteSize: 0 bytes/workgroup (compile time only)
; SGPRBlocks: 2
; VGPRBlocks: 3
; NumSGPRsForWavesPerEU: 20
; NumVGPRsForWavesPerEU: 29
; Occupancy: 16
; WaveLimiterHint : 0
; COMPUTE_PGM_RSRC2:SCRATCH_EN: 0
; COMPUTE_PGM_RSRC2:USER_SGPR: 15
; COMPUTE_PGM_RSRC2:TRAP_HANDLER: 0
; COMPUTE_PGM_RSRC2:TGID_X_EN: 1
; COMPUTE_PGM_RSRC2:TGID_Y_EN: 0
; COMPUTE_PGM_RSRC2:TGID_Z_EN: 0
; COMPUTE_PGM_RSRC2:TIDIG_COMP_CNT: 1
	.section	.text._ZN4vllm3moe10topkGatingILi4ELi256ELi4ELi16ELi64EjfLNS0_11ScoringFuncE0EEEvPKT5_PKbPfiPT4_PiiiibPKf,"axG",@progbits,_ZN4vllm3moe10topkGatingILi4ELi256ELi4ELi16ELi64EjfLNS0_11ScoringFuncE0EEEvPKT5_PKbPfiPT4_PiiiibPKf,comdat
	.protected	_ZN4vllm3moe10topkGatingILi4ELi256ELi4ELi16ELi64EjfLNS0_11ScoringFuncE0EEEvPKT5_PKbPfiPT4_PiiiibPKf ; -- Begin function _ZN4vllm3moe10topkGatingILi4ELi256ELi4ELi16ELi64EjfLNS0_11ScoringFuncE0EEEvPKT5_PKbPfiPT4_PiiiibPKf
	.globl	_ZN4vllm3moe10topkGatingILi4ELi256ELi4ELi16ELi64EjfLNS0_11ScoringFuncE0EEEvPKT5_PKbPfiPT4_PiiiibPKf
	.p2align	8
	.type	_ZN4vllm3moe10topkGatingILi4ELi256ELi4ELi16ELi64EjfLNS0_11ScoringFuncE0EEEvPKT5_PKbPfiPT4_PiiiibPKf,@function
_ZN4vllm3moe10topkGatingILi4ELi256ELi4ELi16ELi64EjfLNS0_11ScoringFuncE0EEEvPKT5_PKbPfiPT4_PiiiibPKf: ; @_ZN4vllm3moe10topkGatingILi4ELi256ELi4ELi16ELi64EjfLNS0_11ScoringFuncE0EEEvPKT5_PKbPfiPT4_PiiiibPKf
; %bb.0:
	s_load_b32 s14, s[0:1], 0x18
	v_and_b32_e32 v1, 0x3ff, v0
	v_bfe_u32 v0, v0, 10, 10
	s_lshl_b32 s2, s15, 2
	s_delay_alu instid0(VALU_DEP_2) | instskip(NEXT) | instid1(VALU_DEP_1)
	v_lshrrev_b32_e32 v2, 6, v1
	v_add3_u32 v8, s2, v0, v2
	s_mov_b32 s2, exec_lo
	s_waitcnt lgkmcnt(0)
	s_delay_alu instid0(VALU_DEP_1)
	v_cmpx_gt_i32_e64 s14, v8
	s_cbranch_execz .LBB40_45
; %bb.1:
	s_clause 0x1
	s_load_b128 s[4:7], s[0:1], 0x0
	s_load_b64 s[12:13], s[0:1], 0x10
	s_mov_b32 s8, -1
	s_mov_b32 s15, -1
	s_waitcnt lgkmcnt(0)
	s_cmp_eq_u64 s[6:7], 0
	s_cbranch_scc1 .LBB40_3
; %bb.2:
	v_ashrrev_i32_e32 v0, 31, v8
	v_add_co_u32 v2, vcc_lo, s6, v8
	s_delay_alu instid0(VALU_DEP_2) | instskip(SKIP_3) | instid1(VALU_DEP_1)
	v_add_co_ci_u32_e32 v3, vcc_lo, s7, v0, vcc_lo
	global_load_u8 v0, v[2:3], off
	s_waitcnt vmcnt(0)
	v_and_b32_e32 v0, 1, v0
	v_cmp_eq_u32_e32 vcc_lo, 1, v0
	s_xor_b32 s2, vcc_lo, -1
	s_delay_alu instid0(SALU_CYCLE_1)
	s_or_not1_b32 s15, s2, exec_lo
.LBB40_3:
	v_mbcnt_lo_u32_b32 v4, -1, 0
	v_and_b32_e32 v9, 63, v1
	s_load_b64 s[2:3], s[0:1], 0x40
	s_delay_alu instid0(VALU_DEP_2) | instskip(SKIP_1) | instid1(VALU_DEP_1)
	v_or_b32_e32 v5, 32, v4
	v_lshlrev_b32_e32 v2, 8, v8
	v_ashrrev_i32_e32 v3, 31, v2
	s_delay_alu instid0(VALU_DEP_1) | instskip(SKIP_3) | instid1(VALU_DEP_2)
	v_lshlrev_b64 v[0:1], 2, v[2:3]
	v_lshlrev_b32_e32 v2, 4, v9
	s_waitcnt lgkmcnt(0)
	s_cmp_eq_u64 s[2:3], 0
	v_add_co_u32 v0, vcc_lo, s4, v0
	s_delay_alu instid0(VALU_DEP_3) | instskip(NEXT) | instid1(VALU_DEP_2)
	v_add_co_ci_u32_e32 v1, vcc_lo, s5, v1, vcc_lo
	v_add_co_u32 v0, vcc_lo, v0, v2
	s_delay_alu instid0(VALU_DEP_2) | instskip(SKIP_3) | instid1(VALU_DEP_1)
	v_add_co_ci_u32_e32 v1, vcc_lo, 0, v1, vcc_lo
	v_cmp_gt_i32_e32 vcc_lo, 64, v5
	global_load_b128 v[0:3], v[0:1], off
	v_cndmask_b32_e32 v5, v4, v5, vcc_lo
	v_lshlrev_b32_e32 v10, 2, v5
	s_waitcnt vmcnt(0)
	v_dual_max_f32 v6, v1, v1 :: v_dual_max_f32 v7, v0, v0
	s_delay_alu instid0(VALU_DEP_1) | instskip(SKIP_1) | instid1(VALU_DEP_2)
	v_max_f32_e32 v6, v7, v6
	v_xor_b32_e32 v7, 16, v4
	v_max3_f32 v5, v6, v2, v3
	s_delay_alu instid0(VALU_DEP_2) | instskip(SKIP_2) | instid1(VALU_DEP_1)
	v_cmp_gt_i32_e32 vcc_lo, 64, v7
	ds_bpermute_b32 v6, v10, v5
	v_cndmask_b32_e32 v7, v4, v7, vcc_lo
	v_lshlrev_b32_e32 v11, 2, v7
	v_xor_b32_e32 v7, 8, v4
	s_delay_alu instid0(VALU_DEP_1) | instskip(SKIP_2) | instid1(VALU_DEP_1)
	v_cmp_gt_i32_e32 vcc_lo, 64, v7
	s_waitcnt lgkmcnt(0)
	v_max_f32_e32 v6, v6, v6
	v_max_f32_e32 v5, v5, v6
	ds_bpermute_b32 v6, v11, v5
	s_waitcnt lgkmcnt(0)
	v_dual_cndmask_b32 v7, v4, v7 :: v_dual_max_f32 v6, v6, v6
	s_delay_alu instid0(VALU_DEP_1) | instskip(SKIP_1) | instid1(VALU_DEP_3)
	v_lshlrev_b32_e32 v12, 2, v7
	v_xor_b32_e32 v7, 4, v4
	v_max_f32_e32 v5, v5, v6
	s_delay_alu instid0(VALU_DEP_2) | instskip(SKIP_3) | instid1(VALU_DEP_1)
	v_cmp_gt_i32_e32 vcc_lo, 64, v7
	ds_bpermute_b32 v6, v12, v5
	s_waitcnt lgkmcnt(0)
	v_dual_cndmask_b32 v7, v4, v7 :: v_dual_max_f32 v6, v6, v6
	v_lshlrev_b32_e32 v13, 2, v7
	v_xor_b32_e32 v7, 2, v4
	s_delay_alu instid0(VALU_DEP_1) | instskip(SKIP_1) | instid1(VALU_DEP_1)
	v_cmp_gt_i32_e32 vcc_lo, 64, v7
	v_cndmask_b32_e32 v7, v4, v7, vcc_lo
	v_dual_max_f32 v5, v5, v6 :: v_dual_lshlrev_b32 v14, 2, v7
	ds_bpermute_b32 v6, v13, v5
	v_xor_b32_e32 v7, 1, v4
	s_delay_alu instid0(VALU_DEP_1) | instskip(SKIP_3) | instid1(VALU_DEP_1)
	v_cmp_gt_i32_e32 vcc_lo, 64, v7
	v_cndmask_b32_e32 v4, v4, v7, vcc_lo
	s_waitcnt lgkmcnt(0)
	v_max_f32_e32 v6, v6, v6
	v_max_f32_e32 v5, v5, v6
	ds_bpermute_b32 v6, v14, v5
	s_waitcnt lgkmcnt(0)
	v_dual_max_f32 v6, v6, v6 :: v_dual_lshlrev_b32 v15, 2, v4
	s_delay_alu instid0(VALU_DEP_1) | instskip(SKIP_3) | instid1(VALU_DEP_1)
	v_max_f32_e32 v4, v5, v6
	ds_bpermute_b32 v5, v15, v4
	s_waitcnt lgkmcnt(0)
	v_max_f32_e32 v5, v5, v5
	v_max_f32_e32 v4, v4, v5
	s_delay_alu instid0(VALU_DEP_1) | instskip(NEXT) | instid1(VALU_DEP_1)
	v_sub_f32_e32 v3, v3, v4
	v_dual_mul_f32 v7, 0x3fb8aa3b, v3 :: v_dual_sub_f32 v2, v2, v4
	v_sub_f32_e32 v1, v1, v4
	v_sub_f32_e32 v0, v0, v4
	s_delay_alu instid0(VALU_DEP_3) | instskip(NEXT) | instid1(VALU_DEP_3)
	v_rndne_f32_e32 v23, v7
	v_dual_mul_f32 v6, 0x3fb8aa3b, v2 :: v_dual_mul_f32 v5, 0x3fb8aa3b, v1
	s_delay_alu instid0(VALU_DEP_3) | instskip(NEXT) | instid1(VALU_DEP_2)
	v_cmp_ngt_f32_e32 vcc_lo, 0xc2ce8ed0, v0
	v_rndne_f32_e32 v21, v6
	s_delay_alu instid0(VALU_DEP_3) | instskip(SKIP_3) | instid1(VALU_DEP_4)
	v_rndne_f32_e32 v19, v5
	v_mul_f32_e32 v4, 0x3fb8aa3b, v0
	v_fma_f32 v18, 0x3fb8aa3b, v1, -v5
	v_fma_f32 v20, 0x3fb8aa3b, v2, -v6
	v_sub_f32_e32 v5, v5, v19
	s_delay_alu instid0(VALU_DEP_4) | instskip(SKIP_1) | instid1(VALU_DEP_2)
	v_fma_f32 v16, 0x3fb8aa3b, v0, -v4
	v_rndne_f32_e32 v17, v4
	v_fmac_f32_e32 v16, 0x32a5705f, v0
	s_delay_alu instid0(VALU_DEP_2) | instskip(SKIP_1) | instid1(VALU_DEP_2)
	v_sub_f32_e32 v4, v4, v17
	v_fma_f32 v22, 0x3fb8aa3b, v3, -v7
	v_dual_sub_f32 v7, v7, v23 :: v_dual_add_f32 v4, v4, v16
	s_delay_alu instid0(VALU_DEP_2)
	v_fmac_f32_e32 v22, 0x32a5705f, v3
	v_fmac_f32_e32 v18, 0x32a5705f, v1
	v_cvt_i32_f32_e32 v16, v17
	v_cvt_i32_f32_e32 v17, v19
	v_exp_f32_e32 v4, v4
	v_dual_add_f32 v7, v7, v22 :: v_dual_sub_f32 v6, v6, v21
	v_add_f32_e32 v5, v5, v18
	v_cvt_i32_f32_e32 v18, v21
	v_cvt_i32_f32_e32 v19, v23
	s_delay_alu instid0(VALU_DEP_4) | instskip(NEXT) | instid1(VALU_DEP_3)
	v_exp_f32_e32 v7, v7
	v_exp_f32_e32 v5, v5
	s_delay_alu instid0(TRANS32_DEP_3) | instskip(NEXT) | instid1(VALU_DEP_1)
	v_ldexp_f32 v4, v4, v16
	v_cndmask_b32_e32 v4, 0, v4, vcc_lo
	v_cmp_ngt_f32_e32 vcc_lo, 0xc2ce8ed0, v1
	s_waitcnt_depctr 0xfff
	v_ldexp_f32 v7, v7, v19
	v_ldexp_f32 v5, v5, v17
	s_delay_alu instid0(VALU_DEP_1) | instskip(NEXT) | instid1(VALU_DEP_1)
	v_dual_fmac_f32 v20, 0x32a5705f, v2 :: v_dual_cndmask_b32 v5, 0, v5
	v_add_f32_e32 v6, v6, v20
	v_cmp_ngt_f32_e32 vcc_lo, 0xc2ce8ed0, v2
	s_delay_alu instid0(VALU_DEP_2) | instskip(SKIP_2) | instid1(VALU_DEP_1)
	v_exp_f32_e32 v6, v6
	s_waitcnt_depctr 0xfff
	v_ldexp_f32 v6, v6, v18
	v_cndmask_b32_e32 v6, 0, v6, vcc_lo
	v_cmp_nlt_f32_e32 vcc_lo, 0x42b17218, v0
	v_cndmask_b32_e32 v0, 0x7f800000, v4, vcc_lo
	v_cmp_nlt_f32_e32 vcc_lo, 0x42b17218, v1
	v_cndmask_b32_e32 v1, 0x7f800000, v5, vcc_lo
	v_cmp_ngt_f32_e32 vcc_lo, 0xc2ce8ed0, v3
	s_delay_alu instid0(VALU_DEP_2) | instskip(SKIP_3) | instid1(VALU_DEP_2)
	v_dual_add_f32 v5, v0, v1 :: v_dual_cndmask_b32 v4, 0, v7
	v_cmp_nlt_f32_e32 vcc_lo, 0x42b17218, v2
	v_cndmask_b32_e32 v2, 0x7f800000, v6, vcc_lo
	v_cmp_nlt_f32_e32 vcc_lo, 0x42b17218, v3
	v_dual_cndmask_b32 v3, 0x7f800000, v4 :: v_dual_add_f32 v4, v5, v2
	s_delay_alu instid0(VALU_DEP_1)
	v_add_f32_e32 v4, v4, v3
	ds_bpermute_b32 v5, v10, v4
	s_waitcnt lgkmcnt(0)
	v_add_f32_e32 v4, v4, v5
	ds_bpermute_b32 v5, v11, v4
	s_waitcnt lgkmcnt(0)
	;; [unrolled: 3-line block ×6, first 2 shown]
	v_add_f32_e32 v4, v4, v5
	s_delay_alu instid0(VALU_DEP_1) | instskip(SKIP_1) | instid1(VALU_DEP_2)
	v_div_scale_f32 v5, null, v4, v4, 1.0
	v_div_scale_f32 v16, vcc_lo, 1.0, v4, 1.0
	v_rcp_f32_e32 v6, v5
	s_waitcnt_depctr 0xfff
	v_fma_f32 v7, -v5, v6, 1.0
	s_delay_alu instid0(VALU_DEP_1) | instskip(NEXT) | instid1(VALU_DEP_1)
	v_fmac_f32_e32 v6, v7, v6
	v_mul_f32_e32 v7, v16, v6
	s_delay_alu instid0(VALU_DEP_1) | instskip(NEXT) | instid1(VALU_DEP_1)
	v_fma_f32 v17, -v5, v7, v16
	v_fmac_f32_e32 v7, v17, v6
	s_delay_alu instid0(VALU_DEP_1) | instskip(SKIP_1) | instid1(VALU_DEP_2)
	v_fma_f32 v5, -v5, v7, v16
	v_lshlrev_b32_e32 v16, 2, v9
	v_div_fmas_f32 v5, v5, v6, v7
	s_delay_alu instid0(VALU_DEP_1) | instskip(NEXT) | instid1(VALU_DEP_1)
	v_div_fixup_f32 v4, v5, v4, 1.0
	v_mul_f32_e32 v0, v4, v0
	v_mul_f32_e32 v1, v4, v1
	;; [unrolled: 1-line block ×4, first 2 shown]
	s_delay_alu instid0(VALU_DEP_4)
	v_cmp_class_f32_e64 vcc_lo, v0, 0x1f8
	v_cndmask_b32_e32 v0, 0, v0, vcc_lo
	v_cmp_class_f32_e64 vcc_lo, v1, 0x1f8
	v_cndmask_b32_e32 v1, 0, v1, vcc_lo
	;; [unrolled: 2-line block ×4, first 2 shown]
	s_cbranch_scc1 .LBB40_39
; %bb.4:
	v_lshlrev_b32_e32 v4, 2, v16
	global_load_b128 v[4:7], v4, s[2:3]
	s_waitcnt vmcnt(0)
	v_dual_add_f32 v5, v5, v1 :: v_dual_add_f32 v4, v4, v0
	v_dual_add_f32 v7, v7, v3 :: v_dual_add_f32 v6, v6, v2
	s_cbranch_execnz .LBB40_6
.LBB40_5:
	v_dual_mov_b32 v7, v3 :: v_dual_mov_b32 v6, v2
	v_dual_mov_b32 v5, v1 :: v_dual_mov_b32 v4, v0
.LBB40_6:
	s_load_b128 s[4:7], s[0:1], 0x30
	v_cmp_eq_u32_e64 s2, 0, v9
	s_waitcnt lgkmcnt(0)
	s_bitcmp1_b32 s7, 0
	s_mov_b32 s7, 0
	s_cselect_b32 vcc_lo, -1, 0
	s_cmp_gt_i32 s4, 0
	s_cselect_b32 s3, -1, 0
	s_cmp_lt_i32 s4, 1
	s_cbranch_scc1 .LBB40_40
; %bb.7:
	s_load_b128 s[8:11], s[0:1], 0x20
	v_mul_lo_u32 v18, v8, s4
	v_mov_b32_e32 v17, 0
	v_mov_b32_e32 v19, v8
	s_branch .LBB40_10
.LBB40_8:                               ;   in Loop: Header=BB40_10 Depth=1
	s_or_b32 exec_lo, exec_lo, s1
.LBB40_9:                               ;   in Loop: Header=BB40_10 Depth=1
	v_add_nc_u32_e32 v19, s14, v19
	s_cmp_eq_u32 s4, s7
	s_cbranch_scc1 .LBB40_41
.LBB40_10:                              ; =>This Inner Loop Header: Depth=1
	v_cmp_gt_f32_e64 s0, v5, v4
	s_mov_b32 s17, exec_lo
	s_delay_alu instid0(VALU_DEP_1) | instskip(SKIP_2) | instid1(VALU_DEP_3)
	v_cndmask_b32_e64 v20, v4, v5, s0
	v_cndmask_b32_e64 v21, 0, 1, s0
	;; [unrolled: 1-line block ×3, first 2 shown]
	v_cmp_gt_f32_e64 s1, v6, v20
	s_delay_alu instid0(VALU_DEP_1) | instskip(NEXT) | instid1(VALU_DEP_4)
	v_cndmask_b32_e64 v20, v20, v6, s1
	v_cndmask_b32_e64 v21, v21, 2, s1
	s_waitcnt lgkmcnt(0)
	v_cndmask_b32_e64 v23, v22, v2, s1
	s_delay_alu instid0(VALU_DEP_3) | instskip(NEXT) | instid1(VALU_DEP_1)
	v_cmp_gt_f32_e64 s0, v7, v20
	v_cndmask_b32_e64 v22, v20, v7, s0
	v_cndmask_b32_e64 v20, v21, 3, s0
	s_delay_alu instid0(VALU_DEP_4)
	v_cndmask_b32_e64 v21, v23, v3, s0
	ds_bpermute_b32 v23, v10, v22
	v_or_b32_e32 v20, v16, v20
	ds_bpermute_b32 v25, v10, v21
	ds_bpermute_b32 v24, v10, v20
	s_waitcnt lgkmcnt(0)
	v_cmp_lt_f32_e64 s16, v22, v23
	v_cmpx_nlt_f32_e32 v22, v23
; %bb.11:                               ;   in Loop: Header=BB40_10 Depth=1
	v_cmp_eq_f32_e64 s0, v22, v23
	v_cmp_lt_i32_e64 s1, v24, v20
	s_delay_alu instid0(VALU_DEP_1) | instskip(SKIP_2) | instid1(SALU_CYCLE_1)
	s_and_b32 s0, s0, s1
	s_and_not1_b32 s1, s16, exec_lo
	s_and_b32 s0, s0, exec_lo
	s_or_b32 s16, s1, s0
; %bb.12:                               ;   in Loop: Header=BB40_10 Depth=1
	s_or_b32 exec_lo, exec_lo, s17
	s_and_saveexec_b32 s0, s16
; %bb.13:                               ;   in Loop: Header=BB40_10 Depth=1
	v_dual_mov_b32 v21, v25 :: v_dual_mov_b32 v22, v23
	v_mov_b32_e32 v20, v24
; %bb.14:                               ;   in Loop: Header=BB40_10 Depth=1
	s_or_b32 exec_lo, exec_lo, s0
	ds_bpermute_b32 v24, v11, v22
	ds_bpermute_b32 v25, v11, v21
	;; [unrolled: 1-line block ×3, first 2 shown]
	s_mov_b32 s17, exec_lo
	s_waitcnt lgkmcnt(2)
	v_cmp_lt_f32_e64 s16, v22, v24
	v_cmpx_nlt_f32_e32 v22, v24
	s_cbranch_execz .LBB40_16
; %bb.15:                               ;   in Loop: Header=BB40_10 Depth=1
	v_cmp_eq_f32_e64 s0, v22, v24
	s_waitcnt lgkmcnt(0)
	v_cmp_lt_i32_e64 s1, v23, v20
	s_delay_alu instid0(VALU_DEP_1) | instskip(SKIP_2) | instid1(SALU_CYCLE_1)
	s_and_b32 s0, s0, s1
	s_and_not1_b32 s1, s16, exec_lo
	s_and_b32 s0, s0, exec_lo
	s_or_b32 s16, s1, s0
.LBB40_16:                              ;   in Loop: Header=BB40_10 Depth=1
	s_or_b32 exec_lo, exec_lo, s17
	s_delay_alu instid0(VALU_DEP_2)
	s_and_saveexec_b32 s0, s16
	s_cbranch_execz .LBB40_18
; %bb.17:                               ;   in Loop: Header=BB40_10 Depth=1
	s_waitcnt lgkmcnt(1)
	v_dual_mov_b32 v21, v25 :: v_dual_mov_b32 v22, v24
	s_waitcnt lgkmcnt(0)
	v_mov_b32_e32 v20, v23
.LBB40_18:                              ;   in Loop: Header=BB40_10 Depth=1
	s_or_b32 exec_lo, exec_lo, s0
	ds_bpermute_b32 v24, v12, v22
	s_waitcnt lgkmcnt(2)
	ds_bpermute_b32 v25, v12, v21
	s_waitcnt lgkmcnt(2)
	ds_bpermute_b32 v23, v12, v20
	s_mov_b32 s17, exec_lo
	s_waitcnt lgkmcnt(2)
	v_cmp_lt_f32_e64 s16, v22, v24
	v_cmpx_nlt_f32_e32 v22, v24
	s_cbranch_execz .LBB40_20
; %bb.19:                               ;   in Loop: Header=BB40_10 Depth=1
	v_cmp_eq_f32_e64 s0, v22, v24
	s_waitcnt lgkmcnt(0)
	v_cmp_lt_i32_e64 s1, v23, v20
	s_delay_alu instid0(VALU_DEP_1) | instskip(SKIP_2) | instid1(SALU_CYCLE_1)
	s_and_b32 s0, s0, s1
	s_and_not1_b32 s1, s16, exec_lo
	s_and_b32 s0, s0, exec_lo
	s_or_b32 s16, s1, s0
.LBB40_20:                              ;   in Loop: Header=BB40_10 Depth=1
	s_or_b32 exec_lo, exec_lo, s17
	s_delay_alu instid0(VALU_DEP_2)
	s_and_saveexec_b32 s0, s16
	s_cbranch_execz .LBB40_22
; %bb.21:                               ;   in Loop: Header=BB40_10 Depth=1
	s_waitcnt lgkmcnt(1)
	v_dual_mov_b32 v21, v25 :: v_dual_mov_b32 v22, v24
	s_waitcnt lgkmcnt(0)
	v_mov_b32_e32 v20, v23
.LBB40_22:                              ;   in Loop: Header=BB40_10 Depth=1
	s_or_b32 exec_lo, exec_lo, s0
	ds_bpermute_b32 v24, v13, v22
	s_waitcnt lgkmcnt(2)
	ds_bpermute_b32 v25, v13, v21
	s_waitcnt lgkmcnt(2)
	ds_bpermute_b32 v23, v13, v20
	;; [unrolled: 31-line block ×3, first 2 shown]
	s_mov_b32 s17, exec_lo
	s_waitcnt lgkmcnt(2)
	v_cmp_lt_f32_e64 s16, v22, v24
	v_cmpx_nlt_f32_e32 v22, v24
	s_cbranch_execz .LBB40_28
; %bb.27:                               ;   in Loop: Header=BB40_10 Depth=1
	v_cmp_eq_f32_e64 s0, v22, v24
	s_waitcnt lgkmcnt(0)
	v_cmp_lt_i32_e64 s1, v23, v20
	s_delay_alu instid0(VALU_DEP_1) | instskip(SKIP_2) | instid1(SALU_CYCLE_1)
	s_and_b32 s0, s0, s1
	s_and_not1_b32 s1, s16, exec_lo
	s_and_b32 s0, s0, exec_lo
	s_or_b32 s16, s1, s0
.LBB40_28:                              ;   in Loop: Header=BB40_10 Depth=1
	s_or_b32 exec_lo, exec_lo, s17
	s_delay_alu instid0(VALU_DEP_2)
	s_and_saveexec_b32 s0, s16
	s_cbranch_execz .LBB40_30
; %bb.29:                               ;   in Loop: Header=BB40_10 Depth=1
	s_waitcnt lgkmcnt(1)
	v_dual_mov_b32 v21, v25 :: v_dual_mov_b32 v22, v24
	s_waitcnt lgkmcnt(0)
	v_mov_b32_e32 v20, v23
.LBB40_30:                              ;   in Loop: Header=BB40_10 Depth=1
	s_or_b32 exec_lo, exec_lo, s0
	s_waitcnt lgkmcnt(1)
	ds_bpermute_b32 v25, v15, v22
	ds_bpermute_b32 v24, v15, v21
	s_waitcnt lgkmcnt(2)
	ds_bpermute_b32 v23, v15, v20
	s_mov_b32 s17, exec_lo
	s_waitcnt lgkmcnt(2)
	v_cmp_lt_f32_e64 s16, v22, v25
	v_cmpx_nlt_f32_e32 v22, v25
	s_cbranch_execnz .LBB40_34
; %bb.31:                               ;   in Loop: Header=BB40_10 Depth=1
	s_or_b32 exec_lo, exec_lo, s17
	s_delay_alu instid0(VALU_DEP_2)
	s_and_saveexec_b32 s0, s16
	s_cbranch_execnz .LBB40_35
.LBB40_32:                              ;   in Loop: Header=BB40_10 Depth=1
	s_or_b32 exec_lo, exec_lo, s0
	s_and_saveexec_b32 s16, s2
	s_cbranch_execnz .LBB40_36
.LBB40_33:                              ;   in Loop: Header=BB40_10 Depth=1
	s_or_b32 exec_lo, exec_lo, s16
	s_add_i32 s7, s7, 1
	s_delay_alu instid0(SALU_CYCLE_1)
	s_cmp_ge_i32 s7, s4
	s_cbranch_scc1 .LBB40_9
	s_branch .LBB40_37
.LBB40_34:                              ;   in Loop: Header=BB40_10 Depth=1
	v_cmp_eq_f32_e64 s0, v22, v25
	s_waitcnt lgkmcnt(0)
	v_cmp_lt_i32_e64 s1, v23, v20
	s_delay_alu instid0(VALU_DEP_1) | instskip(SKIP_2) | instid1(SALU_CYCLE_1)
	s_and_b32 s0, s0, s1
	s_and_not1_b32 s1, s16, exec_lo
	s_and_b32 s0, s0, exec_lo
	s_or_b32 s16, s1, s0
	s_or_b32 exec_lo, exec_lo, s17
	s_and_saveexec_b32 s0, s16
	s_cbranch_execz .LBB40_32
.LBB40_35:                              ;   in Loop: Header=BB40_10 Depth=1
	s_waitcnt lgkmcnt(0)
	v_dual_mov_b32 v21, v24 :: v_dual_mov_b32 v20, v23
	s_or_b32 exec_lo, exec_lo, s0
	s_and_saveexec_b32 s16, s2
	s_cbranch_execz .LBB40_33
.LBB40_36:                              ;   in Loop: Header=BB40_10 Depth=1
	s_delay_alu instid0(VALU_DEP_1)
	v_dual_add_f32 v29, v17, v21 :: v_dual_add_nc_u32 v22, s7, v18
	v_cmp_le_i32_e64 s0, s5, v20
	v_cmp_gt_i32_e64 s1, s6, v20
	s_waitcnt lgkmcnt(1)
	v_subrev_nc_u32_e32 v24, s5, v20
	s_waitcnt lgkmcnt(0)
	v_ashrrev_i32_e32 v23, 31, v22
	v_cndmask_b32_e32 v17, v17, v29, vcc_lo
	s_and_b32 s0, s0, s1
	s_delay_alu instid0(SALU_CYCLE_1) | instskip(NEXT) | instid1(VALU_DEP_2)
	s_and_b32 s0, s15, s0
	v_lshlrev_b64 v[22:23], 2, v[22:23]
	v_cndmask_b32_e64 v28, 0x100, v24, s0
	s_delay_alu instid0(VALU_DEP_2) | instskip(NEXT) | instid1(VALU_DEP_1)
	v_add_co_u32 v24, s0, s12, v22
	v_add_co_ci_u32_e64 v25, s0, s13, v23, s0
	v_add_co_u32 v26, s0, s8, v22
	s_delay_alu instid0(VALU_DEP_1) | instskip(SKIP_1) | instid1(VALU_DEP_1)
	v_add_co_ci_u32_e64 v27, s0, s9, v23, s0
	v_add_co_u32 v22, s0, s10, v22
	v_add_co_ci_u32_e64 v23, s0, s11, v23, s0
	global_store_b32 v[24:25], v21, off
	global_store_b32 v[26:27], v28, off
	;; [unrolled: 1-line block ×3, first 2 shown]
	s_or_b32 exec_lo, exec_lo, s16
	s_add_i32 s7, s7, 1
	s_delay_alu instid0(SALU_CYCLE_1)
	s_cmp_ge_i32 s7, s4
	s_cbranch_scc1 .LBB40_9
.LBB40_37:                              ;   in Loop: Header=BB40_10 Depth=1
	v_ashrrev_i32_e32 v21, 31, v20
	s_mov_b32 s1, exec_lo
	s_delay_alu instid0(VALU_DEP_1) | instskip(NEXT) | instid1(VALU_DEP_1)
	v_lshrrev_b32_e32 v22, 30, v21
	v_add_nc_u32_e32 v22, v20, v22
	s_waitcnt lgkmcnt(0)
	s_delay_alu instid0(VALU_DEP_1) | instskip(SKIP_1) | instid1(VALU_DEP_2)
	v_ashrrev_i32_e32 v23, 31, v22
	v_ashrrev_i32_e32 v22, 2, v22
	v_lshrrev_b32_e32 v23, 26, v23
	s_delay_alu instid0(VALU_DEP_1) | instskip(NEXT) | instid1(VALU_DEP_1)
	v_add_nc_u32_e32 v23, v22, v23
	v_and_b32_e32 v23, 0xffffffc0, v23
	s_delay_alu instid0(VALU_DEP_1) | instskip(NEXT) | instid1(VALU_DEP_1)
	v_sub_nc_u32_e32 v23, v22, v23
	v_cmpx_eq_u32_e64 v9, v23
	s_cbranch_execz .LBB40_8
; %bb.38:                               ;   in Loop: Header=BB40_10 Depth=1
	v_lshrrev_b32_e32 v21, 24, v21
	v_lshlrev_b32_e32 v22, 2, v22
	s_delay_alu instid0(VALU_DEP_2) | instskip(NEXT) | instid1(VALU_DEP_2)
	v_add_nc_u32_e32 v21, v20, v21
	v_sub_nc_u32_e32 v20, v20, v22
	s_delay_alu instid0(VALU_DEP_2) | instskip(NEXT) | instid1(VALU_DEP_1)
	v_ashrrev_i32_e32 v21, 8, v21
	v_lshl_add_u32 v20, v21, 2, v20
	s_delay_alu instid0(VALU_DEP_1) | instskip(NEXT) | instid1(VALU_DEP_1)
	v_cmp_ne_u32_e64 s0, 3, v20
	v_cndmask_b32_e64 v7, 0xc61c4000, v7, s0
	v_cmp_ne_u32_e64 s0, 2, v20
	s_delay_alu instid0(VALU_DEP_1) | instskip(SKIP_1) | instid1(VALU_DEP_1)
	v_cndmask_b32_e64 v6, 0xc61c4000, v6, s0
	v_cmp_ne_u32_e64 s0, 1, v20
	v_cndmask_b32_e64 v5, 0xc61c4000, v5, s0
	v_cmp_ne_u32_e64 s0, 0, v20
	s_delay_alu instid0(VALU_DEP_1)
	v_cndmask_b32_e64 v4, 0xc61c4000, v4, s0
	s_branch .LBB40_8
.LBB40_39:
                                        ; implicit-def: $vgpr4_vgpr5_vgpr6_vgpr7
	s_and_not1_b32 vcc_lo, exec_lo, s8
	s_cbranch_vccz .LBB40_5
	s_branch .LBB40_6
.LBB40_40:
	v_mov_b32_e32 v17, 0
.LBB40_41:
	v_cmp_eq_u32_e64 s0, 0, v9
	s_delay_alu instid0(VALU_DEP_1) | instskip(NEXT) | instid1(SALU_CYCLE_1)
	s_and_b32 s0, s0, vcc_lo
	s_and_b32 exec_lo, exec_lo, s0
	s_cbranch_execz .LBB40_45
; %bb.42:
	s_and_not1_b32 vcc_lo, exec_lo, s3
	s_cbranch_vccnz .LBB40_45
; %bb.43:
	v_mul_lo_u32 v0, v8, s4
	v_cmp_lt_f32_e32 vcc_lo, 0, v17
	v_cndmask_b32_e32 v2, 1.0, v17, vcc_lo
	s_delay_alu instid0(VALU_DEP_3) | instskip(NEXT) | instid1(VALU_DEP_1)
	v_ashrrev_i32_e32 v1, 31, v0
	v_lshlrev_b64 v[0:1], 2, v[0:1]
	s_delay_alu instid0(VALU_DEP_1) | instskip(NEXT) | instid1(VALU_DEP_2)
	v_add_co_u32 v0, vcc_lo, s12, v0
	v_add_co_ci_u32_e32 v1, vcc_lo, s13, v1, vcc_lo
	.p2align	6
.LBB40_44:                              ; =>This Inner Loop Header: Depth=1
	global_load_b32 v3, v[0:1], off
	s_add_i32 s4, s4, -1
	s_delay_alu instid0(SALU_CYCLE_1) | instskip(SKIP_3) | instid1(VALU_DEP_2)
	s_cmp_lg_u32 s4, 0
	s_waitcnt vmcnt(0)
	v_div_scale_f32 v4, null, v2, v2, v3
	v_div_scale_f32 v7, vcc_lo, v3, v2, v3
	v_rcp_f32_e32 v5, v4
	s_waitcnt_depctr 0xfff
	v_fma_f32 v6, -v4, v5, 1.0
	s_delay_alu instid0(VALU_DEP_1) | instskip(NEXT) | instid1(VALU_DEP_1)
	v_fmac_f32_e32 v5, v6, v5
	v_mul_f32_e32 v6, v7, v5
	s_delay_alu instid0(VALU_DEP_1) | instskip(NEXT) | instid1(VALU_DEP_1)
	v_fma_f32 v8, -v4, v6, v7
	v_fmac_f32_e32 v6, v8, v5
	s_delay_alu instid0(VALU_DEP_1) | instskip(NEXT) | instid1(VALU_DEP_1)
	v_fma_f32 v4, -v4, v6, v7
	v_div_fmas_f32 v4, v4, v5, v6
	s_delay_alu instid0(VALU_DEP_1)
	v_div_fixup_f32 v3, v4, v2, v3
	global_store_b32 v[0:1], v3, off
	v_add_co_u32 v0, vcc_lo, v0, 4
	v_add_co_ci_u32_e32 v1, vcc_lo, 0, v1, vcc_lo
	s_cbranch_scc1 .LBB40_44
.LBB40_45:
	s_nop 0
	s_sendmsg sendmsg(MSG_DEALLOC_VGPRS)
	s_endpgm
	.section	.rodata,"a",@progbits
	.p2align	6, 0x0
	.amdhsa_kernel _ZN4vllm3moe10topkGatingILi4ELi256ELi4ELi16ELi64EjfLNS0_11ScoringFuncE0EEEvPKT5_PKbPfiPT4_PiiiibPKf
		.amdhsa_group_segment_fixed_size 0
		.amdhsa_private_segment_fixed_size 0
		.amdhsa_kernarg_size 72
		.amdhsa_user_sgpr_count 15
		.amdhsa_user_sgpr_dispatch_ptr 0
		.amdhsa_user_sgpr_queue_ptr 0
		.amdhsa_user_sgpr_kernarg_segment_ptr 1
		.amdhsa_user_sgpr_dispatch_id 0
		.amdhsa_user_sgpr_private_segment_size 0
		.amdhsa_wavefront_size32 1
		.amdhsa_uses_dynamic_stack 0
		.amdhsa_enable_private_segment 0
		.amdhsa_system_sgpr_workgroup_id_x 1
		.amdhsa_system_sgpr_workgroup_id_y 0
		.amdhsa_system_sgpr_workgroup_id_z 0
		.amdhsa_system_sgpr_workgroup_info 0
		.amdhsa_system_vgpr_workitem_id 1
		.amdhsa_next_free_vgpr 30
		.amdhsa_next_free_sgpr 18
		.amdhsa_reserve_vcc 1
		.amdhsa_float_round_mode_32 0
		.amdhsa_float_round_mode_16_64 0
		.amdhsa_float_denorm_mode_32 3
		.amdhsa_float_denorm_mode_16_64 3
		.amdhsa_dx10_clamp 1
		.amdhsa_ieee_mode 1
		.amdhsa_fp16_overflow 0
		.amdhsa_workgroup_processor_mode 1
		.amdhsa_memory_ordered 1
		.amdhsa_forward_progress 0
		.amdhsa_shared_vgpr_count 0
		.amdhsa_exception_fp_ieee_invalid_op 0
		.amdhsa_exception_fp_denorm_src 0
		.amdhsa_exception_fp_ieee_div_zero 0
		.amdhsa_exception_fp_ieee_overflow 0
		.amdhsa_exception_fp_ieee_underflow 0
		.amdhsa_exception_fp_ieee_inexact 0
		.amdhsa_exception_int_div_zero 0
	.end_amdhsa_kernel
	.section	.text._ZN4vllm3moe10topkGatingILi4ELi256ELi4ELi16ELi64EjfLNS0_11ScoringFuncE0EEEvPKT5_PKbPfiPT4_PiiiibPKf,"axG",@progbits,_ZN4vllm3moe10topkGatingILi4ELi256ELi4ELi16ELi64EjfLNS0_11ScoringFuncE0EEEvPKT5_PKbPfiPT4_PiiiibPKf,comdat
.Lfunc_end40:
	.size	_ZN4vllm3moe10topkGatingILi4ELi256ELi4ELi16ELi64EjfLNS0_11ScoringFuncE0EEEvPKT5_PKbPfiPT4_PiiiibPKf, .Lfunc_end40-_ZN4vllm3moe10topkGatingILi4ELi256ELi4ELi16ELi64EjfLNS0_11ScoringFuncE0EEEvPKT5_PKbPfiPT4_PiiiibPKf
                                        ; -- End function
	.section	.AMDGPU.csdata,"",@progbits
; Kernel info:
; codeLenInByte = 2956
; NumSgprs: 20
; NumVgprs: 30
; ScratchSize: 0
; MemoryBound: 0
; FloatMode: 240
; IeeeMode: 1
; LDSByteSize: 0 bytes/workgroup (compile time only)
; SGPRBlocks: 2
; VGPRBlocks: 3
; NumSGPRsForWavesPerEU: 20
; NumVGPRsForWavesPerEU: 30
; Occupancy: 16
; WaveLimiterHint : 0
; COMPUTE_PGM_RSRC2:SCRATCH_EN: 0
; COMPUTE_PGM_RSRC2:USER_SGPR: 15
; COMPUTE_PGM_RSRC2:TRAP_HANDLER: 0
; COMPUTE_PGM_RSRC2:TGID_X_EN: 1
; COMPUTE_PGM_RSRC2:TGID_Y_EN: 0
; COMPUTE_PGM_RSRC2:TGID_Z_EN: 0
; COMPUTE_PGM_RSRC2:TIDIG_COMP_CNT: 1
	.section	.text._ZN4vllm3moe10topkGatingILi8ELi256ELi4ELi16ELi32EjfLNS0_11ScoringFuncE0EEEvPKT5_PKbPfiPT4_PiiiibPKf,"axG",@progbits,_ZN4vllm3moe10topkGatingILi8ELi256ELi4ELi16ELi32EjfLNS0_11ScoringFuncE0EEEvPKT5_PKbPfiPT4_PiiiibPKf,comdat
	.protected	_ZN4vllm3moe10topkGatingILi8ELi256ELi4ELi16ELi32EjfLNS0_11ScoringFuncE0EEEvPKT5_PKbPfiPT4_PiiiibPKf ; -- Begin function _ZN4vllm3moe10topkGatingILi8ELi256ELi4ELi16ELi32EjfLNS0_11ScoringFuncE0EEEvPKT5_PKbPfiPT4_PiiiibPKf
	.globl	_ZN4vllm3moe10topkGatingILi8ELi256ELi4ELi16ELi32EjfLNS0_11ScoringFuncE0EEEvPKT5_PKbPfiPT4_PiiiibPKf
	.p2align	8
	.type	_ZN4vllm3moe10topkGatingILi8ELi256ELi4ELi16ELi32EjfLNS0_11ScoringFuncE0EEEvPKT5_PKbPfiPT4_PiiiibPKf,@function
_ZN4vllm3moe10topkGatingILi8ELi256ELi4ELi16ELi32EjfLNS0_11ScoringFuncE0EEEvPKT5_PKbPfiPT4_PiiiibPKf: ; @_ZN4vllm3moe10topkGatingILi8ELi256ELi4ELi16ELi32EjfLNS0_11ScoringFuncE0EEEvPKT5_PKbPfiPT4_PiiiibPKf
; %bb.0:
	s_load_b32 s14, s[0:1], 0x18
	v_and_b32_e32 v1, 0x3ff, v0
	v_bfe_u32 v0, v0, 10, 10
	s_lshl_b32 s2, s15, 2
	s_delay_alu instid0(VALU_DEP_2) | instskip(NEXT) | instid1(VALU_DEP_1)
	v_lshrrev_b32_e32 v2, 5, v1
	v_add3_u32 v16, s2, v0, v2
	s_mov_b32 s2, exec_lo
	s_waitcnt lgkmcnt(0)
	s_delay_alu instid0(VALU_DEP_1)
	v_cmpx_gt_i32_e64 s14, v16
	s_cbranch_execz .LBB41_41
; %bb.1:
	s_clause 0x1
	s_load_b128 s[4:7], s[0:1], 0x0
	s_load_b64 s[12:13], s[0:1], 0x10
	s_mov_b32 s8, -1
	s_mov_b32 s15, -1
	s_waitcnt lgkmcnt(0)
	s_cmp_eq_u64 s[6:7], 0
	s_cbranch_scc1 .LBB41_3
; %bb.2:
	v_ashrrev_i32_e32 v0, 31, v16
	v_add_co_u32 v2, vcc_lo, s6, v16
	s_delay_alu instid0(VALU_DEP_2) | instskip(SKIP_3) | instid1(VALU_DEP_1)
	v_add_co_ci_u32_e32 v3, vcc_lo, s7, v0, vcc_lo
	global_load_u8 v0, v[2:3], off
	s_waitcnt vmcnt(0)
	v_and_b32_e32 v0, 1, v0
	v_cmp_eq_u32_e32 vcc_lo, 1, v0
	s_xor_b32 s2, vcc_lo, -1
	s_delay_alu instid0(SALU_CYCLE_1)
	s_or_not1_b32 s15, s2, exec_lo
.LBB41_3:
	v_mbcnt_lo_u32_b32 v10, -1, 0
	v_lshlrev_b32_e32 v2, 8, v16
	v_and_b32_e32 v17, 31, v1
	s_load_b64 s[2:3], s[0:1], 0x40
	s_delay_alu instid0(VALU_DEP_3) | instskip(NEXT) | instid1(VALU_DEP_3)
	v_xor_b32_e32 v11, 8, v10
	v_ashrrev_i32_e32 v3, 31, v2
	s_delay_alu instid0(VALU_DEP_1) | instskip(SKIP_1) | instid1(VALU_DEP_2)
	v_lshlrev_b64 v[0:1], 2, v[2:3]
	v_lshlrev_b32_e32 v2, 4, v17
	v_add_co_u32 v0, vcc_lo, s4, v0
	s_delay_alu instid0(VALU_DEP_3) | instskip(NEXT) | instid1(VALU_DEP_2)
	v_add_co_ci_u32_e32 v1, vcc_lo, s5, v1, vcc_lo
	v_add_co_u32 v4, vcc_lo, v0, v2
	s_delay_alu instid0(VALU_DEP_2)
	v_add_co_ci_u32_e32 v5, vcc_lo, 0, v1, vcc_lo
	s_waitcnt lgkmcnt(0)
	s_cmp_eq_u64 s[2:3], 0
	s_clause 0x1
	global_load_b128 v[0:3], v[4:5], off
	global_load_b128 v[4:7], v[4:5], off offset:512
	s_waitcnt vmcnt(1)
	v_dual_max_f32 v9, v0, v0 :: v_dual_max_f32 v8, v1, v1
	s_delay_alu instid0(VALU_DEP_1) | instskip(SKIP_1) | instid1(VALU_DEP_2)
	v_max_f32_e32 v8, v9, v8
	v_xor_b32_e32 v9, 16, v10
	v_max3_f32 v8, v8, v2, v3
	s_delay_alu instid0(VALU_DEP_2) | instskip(SKIP_1) | instid1(VALU_DEP_2)
	v_cmp_gt_i32_e32 vcc_lo, 32, v9
	s_waitcnt vmcnt(0)
	v_max3_f32 v8, v8, v4, v5
	v_cndmask_b32_e32 v9, v10, v9, vcc_lo
	v_cmp_gt_i32_e32 vcc_lo, 32, v11
	s_delay_alu instid0(VALU_DEP_3) | instskip(SKIP_1) | instid1(VALU_DEP_1)
	v_max3_f32 v8, v8, v6, v7
	v_cndmask_b32_e32 v11, v10, v11, vcc_lo
	v_lshlrev_b32_e32 v19, 2, v11
	v_xor_b32_e32 v11, 4, v10
	s_delay_alu instid0(VALU_DEP_1) | instskip(SKIP_4) | instid1(VALU_DEP_1)
	v_cmp_gt_i32_e32 vcc_lo, 32, v11
	v_dual_cndmask_b32 v11, v10, v11 :: v_dual_lshlrev_b32 v18, 2, v9
	ds_bpermute_b32 v9, v18, v8
	v_lshlrev_b32_e32 v20, 2, v11
	v_xor_b32_e32 v11, 2, v10
	v_cmp_gt_i32_e32 vcc_lo, 32, v11
	v_cndmask_b32_e32 v11, v10, v11, vcc_lo
	s_waitcnt lgkmcnt(0)
	v_max_f32_e32 v9, v9, v9
	s_delay_alu instid0(VALU_DEP_2) | instskip(SKIP_1) | instid1(VALU_DEP_3)
	v_lshlrev_b32_e32 v21, 2, v11
	v_xor_b32_e32 v11, 1, v10
	v_max_f32_e32 v8, v8, v9
	s_delay_alu instid0(VALU_DEP_2) | instskip(SKIP_3) | instid1(VALU_DEP_1)
	v_cmp_gt_i32_e32 vcc_lo, 32, v11
	ds_bpermute_b32 v9, v19, v8
	v_cndmask_b32_e32 v10, v10, v11, vcc_lo
	s_waitcnt lgkmcnt(0)
	v_dual_max_f32 v9, v9, v9 :: v_dual_lshlrev_b32 v22, 2, v10
	s_delay_alu instid0(VALU_DEP_1) | instskip(SKIP_3) | instid1(VALU_DEP_1)
	v_max_f32_e32 v8, v8, v9
	ds_bpermute_b32 v9, v20, v8
	s_waitcnt lgkmcnt(0)
	v_max_f32_e32 v9, v9, v9
	v_max_f32_e32 v8, v8, v9
	ds_bpermute_b32 v9, v21, v8
	s_waitcnt lgkmcnt(0)
	v_max_f32_e32 v9, v9, v9
	s_delay_alu instid0(VALU_DEP_1) | instskip(SKIP_3) | instid1(VALU_DEP_1)
	v_max_f32_e32 v8, v8, v9
	ds_bpermute_b32 v9, v22, v8
	s_waitcnt lgkmcnt(0)
	v_max_f32_e32 v9, v9, v9
	v_max_f32_e32 v8, v8, v9
	s_delay_alu instid0(VALU_DEP_1) | instskip(NEXT) | instid1(VALU_DEP_1)
	v_sub_f32_e32 v7, v7, v8
	v_dual_mul_f32 v15, 0x3fb8aa3b, v7 :: v_dual_sub_f32 v2, v2, v8
	v_sub_f32_e32 v1, v1, v8
	v_sub_f32_e32 v0, v0, v8
	;; [unrolled: 1-line block ×4, first 2 shown]
	v_mul_f32_e32 v10, 0x3fb8aa3b, v2
	v_dual_sub_f32 v4, v4, v8 :: v_dual_mul_f32 v9, 0x3fb8aa3b, v1
	v_sub_f32_e32 v3, v3, v8
	v_cmp_ngt_f32_e32 vcc_lo, 0xc2ce8ed0, v0
	s_delay_alu instid0(VALU_DEP_4) | instskip(SKIP_4) | instid1(VALU_DEP_4)
	v_fma_f32 v27, 0x3fb8aa3b, v2, -v10
	v_rndne_f32_e32 v28, v10
	v_rndne_f32_e32 v26, v9
	v_mul_f32_e32 v8, 0x3fb8aa3b, v0
	v_fma_f32 v25, 0x3fb8aa3b, v1, -v9
	v_dual_fmac_f32 v27, 0x32a5705f, v2 :: v_dual_sub_f32 v10, v10, v28
	s_delay_alu instid0(VALU_DEP_4) | instskip(NEXT) | instid1(VALU_DEP_4)
	v_sub_f32_e32 v9, v9, v26
	v_fma_f32 v23, 0x3fb8aa3b, v0, -v8
	v_rndne_f32_e32 v24, v8
	s_delay_alu instid0(VALU_DEP_4) | instskip(SKIP_1) | instid1(VALU_DEP_4)
	v_dual_fmac_f32 v25, 0x32a5705f, v1 :: v_dual_add_f32 v10, v10, v27
	v_cvt_i32_f32_e32 v26, v26
	v_fmac_f32_e32 v23, 0x32a5705f, v0
	s_delay_alu instid0(VALU_DEP_3) | instskip(SKIP_3) | instid1(VALU_DEP_3)
	v_dual_sub_f32 v8, v8, v24 :: v_dual_add_f32 v9, v9, v25
	v_cvt_i32_f32_e32 v24, v24
	v_exp_f32_e32 v10, v10
	v_cvt_i32_f32_e32 v28, v28
	v_dual_add_f32 v8, v8, v23 :: v_dual_mul_f32 v13, 0x3fb8aa3b, v5
	v_dual_mul_f32 v14, 0x3fb8aa3b, v6 :: v_dual_mul_f32 v11, 0x3fb8aa3b, v3
	v_exp_f32_e32 v9, v9
	s_delay_alu instid0(VALU_DEP_2) | instskip(NEXT) | instid1(VALU_DEP_2)
	v_exp_f32_e32 v8, v8
	v_rndne_f32_e32 v34, v13
	v_fma_f32 v33, 0x3fb8aa3b, v5, -v13
	v_fma_f32 v29, 0x3fb8aa3b, v3, -v11
	v_rndne_f32_e32 v30, v11
	v_mul_f32_e32 v12, 0x3fb8aa3b, v4
	v_fma_f32 v37, 0x3fb8aa3b, v7, -v15
	v_ldexp_f32 v10, v10, v28
	v_rndne_f32_e32 v38, v15
	v_sub_f32_e32 v11, v11, v30
	v_ldexp_f32 v8, v8, v24
	v_rndne_f32_e32 v32, v12
	v_fmac_f32_e32 v29, 0x32a5705f, v3
	v_sub_f32_e32 v13, v13, v34
	v_ldexp_f32 v9, v9, v26
	v_cndmask_b32_e32 v8, 0, v8, vcc_lo
	v_cmp_ngt_f32_e32 vcc_lo, 0xc2ce8ed0, v1
	v_fma_f32 v31, 0x3fb8aa3b, v4, -v12
	v_dual_sub_f32 v12, v12, v32 :: v_dual_add_f32 v11, v11, v29
	v_cvt_i32_f32_e32 v30, v30
	v_cndmask_b32_e32 v9, 0, v9, vcc_lo
	v_cmp_ngt_f32_e32 vcc_lo, 0xc2ce8ed0, v2
	v_fmac_f32_e32 v37, 0x32a5705f, v7
	v_exp_f32_e32 v11, v11
	v_fma_f32 v35, 0x3fb8aa3b, v6, -v14
	v_rndne_f32_e32 v36, v14
	v_cndmask_b32_e32 v10, 0, v10, vcc_lo
	v_cmp_nlt_f32_e32 vcc_lo, 0x42b17218, v0
	v_sub_f32_e32 v15, v15, v38
	s_delay_alu instid0(VALU_DEP_4)
	v_dual_fmac_f32 v33, 0x32a5705f, v5 :: v_dual_sub_f32 v14, v14, v36
	v_cvt_i32_f32_e32 v32, v32
	v_cndmask_b32_e32 v0, 0x7f800000, v8, vcc_lo
	v_cmp_nlt_f32_e32 vcc_lo, 0x42b17218, v1
	v_ldexp_f32 v11, v11, v30
	v_cvt_i32_f32_e32 v34, v34
	v_cvt_i32_f32_e32 v23, v36
	;; [unrolled: 1-line block ×3, first 2 shown]
	v_cndmask_b32_e32 v1, 0x7f800000, v9, vcc_lo
	v_cmp_ngt_f32_e32 vcc_lo, 0xc2ce8ed0, v3
	v_dual_fmac_f32 v35, 0x32a5705f, v6 :: v_dual_cndmask_b32 v8, 0, v11
	s_delay_alu instid0(VALU_DEP_1) | instskip(SKIP_1) | instid1(VALU_DEP_2)
	v_dual_fmac_f32 v31, 0x32a5705f, v4 :: v_dual_add_f32 v14, v14, v35
	v_cmp_nlt_f32_e32 vcc_lo, 0x42b17218, v2
	v_add_f32_e32 v12, v12, v31
	s_delay_alu instid0(VALU_DEP_3) | instskip(SKIP_2) | instid1(VALU_DEP_3)
	v_exp_f32_e32 v14, v14
	v_cndmask_b32_e32 v2, 0x7f800000, v10, vcc_lo
	v_cmp_ngt_f32_e32 vcc_lo, 0xc2ce8ed0, v4
	v_exp_f32_e32 v12, v12
	s_waitcnt_depctr 0xfff
	v_ldexp_f32 v14, v14, v23
	v_add_f32_e32 v9, v0, v1
	v_add_f32_e32 v15, v15, v37
	v_lshlrev_b32_e32 v23, 2, v17
	v_ldexp_f32 v12, v12, v32
	s_delay_alu instid0(VALU_DEP_1) | instskip(SKIP_1) | instid1(VALU_DEP_2)
	v_dual_cndmask_b32 v10, 0, v12 :: v_dual_add_f32 v13, v13, v33
	v_cmp_nlt_f32_e32 vcc_lo, 0x42b17218, v3
	v_exp_f32_e32 v13, v13
	v_cndmask_b32_e32 v3, 0x7f800000, v8, vcc_lo
	v_cmp_ngt_f32_e32 vcc_lo, 0xc2ce8ed0, v5
	v_add_f32_e32 v8, v9, v2
	v_exp_f32_e32 v15, v15
	s_delay_alu instid0(VALU_DEP_1) | instskip(SKIP_3) | instid1(VALU_DEP_2)
	v_add_f32_e32 v8, v8, v3
	s_waitcnt_depctr 0xfff
	v_ldexp_f32 v13, v13, v34
	v_ldexp_f32 v15, v15, v25
	v_cndmask_b32_e32 v9, 0, v13, vcc_lo
	v_cmp_nlt_f32_e32 vcc_lo, 0x42b17218, v4
	v_cndmask_b32_e32 v4, 0x7f800000, v10, vcc_lo
	v_cmp_ngt_f32_e32 vcc_lo, 0xc2ce8ed0, v6
	s_delay_alu instid0(VALU_DEP_2) | instskip(SKIP_4) | instid1(VALU_DEP_2)
	v_add_f32_e32 v8, v8, v4
	v_cndmask_b32_e32 v10, 0, v14, vcc_lo
	v_cmp_nlt_f32_e32 vcc_lo, 0x42b17218, v5
	v_cndmask_b32_e32 v5, 0x7f800000, v9, vcc_lo
	v_cmp_ngt_f32_e32 vcc_lo, 0xc2ce8ed0, v7
	v_dual_add_f32 v8, v8, v5 :: v_dual_cndmask_b32 v9, 0, v15
	v_cmp_nlt_f32_e32 vcc_lo, 0x42b17218, v6
	v_cndmask_b32_e32 v6, 0x7f800000, v10, vcc_lo
	v_cmp_nlt_f32_e32 vcc_lo, 0x42b17218, v7
	s_delay_alu instid0(VALU_DEP_2) | instskip(NEXT) | instid1(VALU_DEP_1)
	v_dual_add_f32 v8, v8, v6 :: v_dual_cndmask_b32 v7, 0x7f800000, v9
	v_add_f32_e32 v8, v8, v7
	ds_bpermute_b32 v9, v18, v8
	s_waitcnt lgkmcnt(0)
	v_add_f32_e32 v8, v8, v9
	ds_bpermute_b32 v9, v19, v8
	s_waitcnt lgkmcnt(0)
	;; [unrolled: 3-line block ×5, first 2 shown]
	v_add_f32_e32 v8, v8, v9
	s_delay_alu instid0(VALU_DEP_1) | instskip(SKIP_1) | instid1(VALU_DEP_2)
	v_div_scale_f32 v9, null, v8, v8, 1.0
	v_div_scale_f32 v12, vcc_lo, 1.0, v8, 1.0
	v_rcp_f32_e32 v10, v9
	s_waitcnt_depctr 0xfff
	v_fma_f32 v11, -v9, v10, 1.0
	s_delay_alu instid0(VALU_DEP_1) | instskip(NEXT) | instid1(VALU_DEP_1)
	v_fmac_f32_e32 v10, v11, v10
	v_mul_f32_e32 v11, v12, v10
	s_delay_alu instid0(VALU_DEP_1) | instskip(NEXT) | instid1(VALU_DEP_1)
	v_fma_f32 v13, -v9, v11, v12
	v_fmac_f32_e32 v11, v13, v10
	s_delay_alu instid0(VALU_DEP_1) | instskip(NEXT) | instid1(VALU_DEP_1)
	v_fma_f32 v9, -v9, v11, v12
	v_div_fmas_f32 v9, v9, v10, v11
	s_delay_alu instid0(VALU_DEP_1) | instskip(NEXT) | instid1(VALU_DEP_1)
	v_div_fixup_f32 v8, v9, v8, 1.0
	v_mul_f32_e32 v0, v8, v0
	v_mul_f32_e32 v2, v8, v2
	;; [unrolled: 1-line block ×5, first 2 shown]
	v_cmp_class_f32_e64 vcc_lo, v0, 0x1f8
	v_mul_f32_e32 v4, v8, v4
	v_mul_f32_e32 v3, v8, v3
	v_dual_mul_f32 v7, v8, v7 :: v_dual_cndmask_b32 v0, 0, v0
	v_cmp_class_f32_e64 vcc_lo, v1, 0x1f8
	v_cndmask_b32_e32 v1, 0, v1, vcc_lo
	v_cmp_class_f32_e64 vcc_lo, v2, 0x1f8
	v_cndmask_b32_e32 v2, 0, v2, vcc_lo
	;; [unrolled: 2-line block ×7, first 2 shown]
	s_cbranch_scc1 .LBB41_35
; %bb.4:
	v_lshlrev_b32_e32 v12, 2, v23
	s_clause 0x1
	global_load_b128 v[8:11], v12, s[2:3]
	global_load_b128 v[12:15], v12, s[2:3] offset:512
	s_waitcnt vmcnt(1)
	v_dual_add_f32 v9, v9, v1 :: v_dual_add_f32 v8, v8, v0
	v_dual_add_f32 v11, v11, v3 :: v_dual_add_f32 v10, v10, v2
	s_waitcnt vmcnt(0)
	v_dual_add_f32 v13, v13, v5 :: v_dual_add_f32 v12, v12, v4
	v_dual_add_f32 v15, v15, v7 :: v_dual_add_f32 v14, v14, v6
	s_cbranch_execnz .LBB41_6
.LBB41_5:
	v_dual_mov_b32 v15, v7 :: v_dual_mov_b32 v14, v6
	v_dual_mov_b32 v13, v5 :: v_dual_mov_b32 v12, v4
	;; [unrolled: 1-line block ×4, first 2 shown]
.LBB41_6:
	s_load_b128 s[4:7], s[0:1], 0x30
	v_cmp_eq_u32_e64 s2, 0, v17
	s_waitcnt lgkmcnt(0)
	s_bitcmp1_b32 s7, 0
	s_mov_b32 s7, 0
	s_cselect_b32 vcc_lo, -1, 0
	s_cmp_gt_i32 s4, 0
	s_cselect_b32 s3, -1, 0
	s_cmp_lt_i32 s4, 1
	s_cbranch_scc1 .LBB41_36
; %bb.7:
	s_load_b128 s[8:11], s[0:1], 0x20
	v_mul_lo_u32 v25, v16, s4
	v_mov_b32_e32 v24, 0
	v_mov_b32_e32 v26, v16
	s_branch .LBB41_10
.LBB41_8:                               ;   in Loop: Header=BB41_10 Depth=1
	s_or_b32 exec_lo, exec_lo, s1
.LBB41_9:                               ;   in Loop: Header=BB41_10 Depth=1
	v_add_nc_u32_e32 v26, s14, v26
	s_cmp_eq_u32 s4, s7
	s_cbranch_scc1 .LBB41_37
.LBB41_10:                              ; =>This Inner Loop Header: Depth=1
	v_cmp_gt_f32_e64 s0, v9, v8
	s_mov_b32 s17, exec_lo
	s_delay_alu instid0(VALU_DEP_1) | instskip(SKIP_2) | instid1(VALU_DEP_3)
	v_cndmask_b32_e64 v27, v8, v9, s0
	v_cndmask_b32_e64 v28, 0, 1, s0
	v_cndmask_b32_e64 v29, v0, v1, s0
	v_cmp_gt_f32_e64 s1, v10, v27
	s_delay_alu instid0(VALU_DEP_1) | instskip(NEXT) | instid1(VALU_DEP_4)
	v_cndmask_b32_e64 v27, v27, v10, s1
	v_cndmask_b32_e64 v28, v28, 2, s1
	s_delay_alu instid0(VALU_DEP_4) | instskip(NEXT) | instid1(VALU_DEP_3)
	v_cndmask_b32_e64 v29, v29, v2, s1
	v_cmp_gt_f32_e64 s0, v11, v27
	s_delay_alu instid0(VALU_DEP_1) | instskip(NEXT) | instid1(VALU_DEP_4)
	v_cndmask_b32_e64 v27, v27, v11, s0
	v_cndmask_b32_e64 v28, v28, 3, s0
	s_delay_alu instid0(VALU_DEP_4) | instskip(NEXT) | instid1(VALU_DEP_3)
	v_cndmask_b32_e64 v29, v29, v3, s0
	;; [unrolled: 6-line block ×4, first 2 shown]
	v_cmp_gt_f32_e64 s1, v14, v27
	s_delay_alu instid0(VALU_DEP_1) | instskip(NEXT) | instid1(VALU_DEP_4)
	v_cndmask_b32_e64 v27, v27, v14, s1
	v_cndmask_b32_e64 v28, v28, 0x82, s1
	s_waitcnt lgkmcnt(0)
	v_cndmask_b32_e64 v30, v29, v6, s1
	s_delay_alu instid0(VALU_DEP_3) | instskip(NEXT) | instid1(VALU_DEP_1)
	v_cmp_gt_f32_e64 s0, v15, v27
	v_cndmask_b32_e64 v29, v27, v15, s0
	v_cndmask_b32_e64 v27, v28, 0x83, s0
	s_delay_alu instid0(VALU_DEP_4)
	v_cndmask_b32_e64 v28, v30, v7, s0
	ds_bpermute_b32 v30, v18, v29
	v_or_b32_e32 v27, v23, v27
	ds_bpermute_b32 v32, v18, v28
	ds_bpermute_b32 v31, v18, v27
	s_waitcnt lgkmcnt(0)
	v_cmp_lt_f32_e64 s16, v29, v30
	v_cmpx_nlt_f32_e32 v29, v30
; %bb.11:                               ;   in Loop: Header=BB41_10 Depth=1
	v_cmp_eq_f32_e64 s0, v29, v30
	v_cmp_lt_i32_e64 s1, v31, v27
	s_delay_alu instid0(VALU_DEP_1) | instskip(SKIP_2) | instid1(SALU_CYCLE_1)
	s_and_b32 s0, s0, s1
	s_and_not1_b32 s1, s16, exec_lo
	s_and_b32 s0, s0, exec_lo
	s_or_b32 s16, s1, s0
; %bb.12:                               ;   in Loop: Header=BB41_10 Depth=1
	s_or_b32 exec_lo, exec_lo, s17
	s_and_saveexec_b32 s0, s16
; %bb.13:                               ;   in Loop: Header=BB41_10 Depth=1
	v_dual_mov_b32 v28, v32 :: v_dual_mov_b32 v29, v30
	v_mov_b32_e32 v27, v31
; %bb.14:                               ;   in Loop: Header=BB41_10 Depth=1
	s_or_b32 exec_lo, exec_lo, s0
	ds_bpermute_b32 v31, v19, v29
	ds_bpermute_b32 v32, v19, v28
	;; [unrolled: 1-line block ×3, first 2 shown]
	s_mov_b32 s17, exec_lo
	s_waitcnt lgkmcnt(2)
	v_cmp_lt_f32_e64 s16, v29, v31
	v_cmpx_nlt_f32_e32 v29, v31
	s_cbranch_execz .LBB41_16
; %bb.15:                               ;   in Loop: Header=BB41_10 Depth=1
	v_cmp_eq_f32_e64 s0, v29, v31
	s_waitcnt lgkmcnt(0)
	v_cmp_lt_i32_e64 s1, v30, v27
	s_delay_alu instid0(VALU_DEP_1) | instskip(SKIP_2) | instid1(SALU_CYCLE_1)
	s_and_b32 s0, s0, s1
	s_and_not1_b32 s1, s16, exec_lo
	s_and_b32 s0, s0, exec_lo
	s_or_b32 s16, s1, s0
.LBB41_16:                              ;   in Loop: Header=BB41_10 Depth=1
	s_or_b32 exec_lo, exec_lo, s17
	s_delay_alu instid0(VALU_DEP_2)
	s_and_saveexec_b32 s0, s16
	s_cbranch_execz .LBB41_18
; %bb.17:                               ;   in Loop: Header=BB41_10 Depth=1
	s_waitcnt lgkmcnt(1)
	v_dual_mov_b32 v28, v32 :: v_dual_mov_b32 v29, v31
	s_waitcnt lgkmcnt(0)
	v_mov_b32_e32 v27, v30
.LBB41_18:                              ;   in Loop: Header=BB41_10 Depth=1
	s_or_b32 exec_lo, exec_lo, s0
	ds_bpermute_b32 v31, v20, v29
	s_waitcnt lgkmcnt(2)
	ds_bpermute_b32 v32, v20, v28
	s_waitcnt lgkmcnt(2)
	ds_bpermute_b32 v30, v20, v27
	s_mov_b32 s17, exec_lo
	s_waitcnt lgkmcnt(2)
	v_cmp_lt_f32_e64 s16, v29, v31
	v_cmpx_nlt_f32_e32 v29, v31
	s_cbranch_execz .LBB41_20
; %bb.19:                               ;   in Loop: Header=BB41_10 Depth=1
	v_cmp_eq_f32_e64 s0, v29, v31
	s_waitcnt lgkmcnt(0)
	v_cmp_lt_i32_e64 s1, v30, v27
	s_delay_alu instid0(VALU_DEP_1) | instskip(SKIP_2) | instid1(SALU_CYCLE_1)
	s_and_b32 s0, s0, s1
	s_and_not1_b32 s1, s16, exec_lo
	s_and_b32 s0, s0, exec_lo
	s_or_b32 s16, s1, s0
.LBB41_20:                              ;   in Loop: Header=BB41_10 Depth=1
	s_or_b32 exec_lo, exec_lo, s17
	s_delay_alu instid0(VALU_DEP_2)
	s_and_saveexec_b32 s0, s16
	s_cbranch_execz .LBB41_22
; %bb.21:                               ;   in Loop: Header=BB41_10 Depth=1
	s_waitcnt lgkmcnt(1)
	v_dual_mov_b32 v28, v32 :: v_dual_mov_b32 v29, v31
	s_waitcnt lgkmcnt(0)
	v_mov_b32_e32 v27, v30
.LBB41_22:                              ;   in Loop: Header=BB41_10 Depth=1
	s_or_b32 exec_lo, exec_lo, s0
	ds_bpermute_b32 v31, v21, v29
	s_waitcnt lgkmcnt(2)
	ds_bpermute_b32 v32, v21, v28
	s_waitcnt lgkmcnt(2)
	ds_bpermute_b32 v30, v21, v27
	s_mov_b32 s17, exec_lo
	s_waitcnt lgkmcnt(2)
	v_cmp_lt_f32_e64 s16, v29, v31
	v_cmpx_nlt_f32_e32 v29, v31
	s_cbranch_execz .LBB41_24
; %bb.23:                               ;   in Loop: Header=BB41_10 Depth=1
	v_cmp_eq_f32_e64 s0, v29, v31
	s_waitcnt lgkmcnt(0)
	v_cmp_lt_i32_e64 s1, v30, v27
	s_delay_alu instid0(VALU_DEP_1) | instskip(SKIP_2) | instid1(SALU_CYCLE_1)
	s_and_b32 s0, s0, s1
	s_and_not1_b32 s1, s16, exec_lo
	s_and_b32 s0, s0, exec_lo
	s_or_b32 s16, s1, s0
.LBB41_24:                              ;   in Loop: Header=BB41_10 Depth=1
	s_or_b32 exec_lo, exec_lo, s17
	s_delay_alu instid0(VALU_DEP_2)
	s_and_saveexec_b32 s0, s16
	s_cbranch_execz .LBB41_26
; %bb.25:                               ;   in Loop: Header=BB41_10 Depth=1
	s_waitcnt lgkmcnt(1)
	v_dual_mov_b32 v28, v32 :: v_dual_mov_b32 v29, v31
	s_waitcnt lgkmcnt(0)
	v_mov_b32_e32 v27, v30
.LBB41_26:                              ;   in Loop: Header=BB41_10 Depth=1
	s_or_b32 exec_lo, exec_lo, s0
	s_waitcnt lgkmcnt(1)
	ds_bpermute_b32 v32, v22, v29
	ds_bpermute_b32 v31, v22, v28
	s_waitcnt lgkmcnt(2)
	ds_bpermute_b32 v30, v22, v27
	s_mov_b32 s17, exec_lo
	s_waitcnt lgkmcnt(2)
	v_cmp_lt_f32_e64 s16, v29, v32
	v_cmpx_nlt_f32_e32 v29, v32
	s_cbranch_execnz .LBB41_30
; %bb.27:                               ;   in Loop: Header=BB41_10 Depth=1
	s_or_b32 exec_lo, exec_lo, s17
	s_delay_alu instid0(VALU_DEP_2)
	s_and_saveexec_b32 s0, s16
	s_cbranch_execnz .LBB41_31
.LBB41_28:                              ;   in Loop: Header=BB41_10 Depth=1
	s_or_b32 exec_lo, exec_lo, s0
	s_and_saveexec_b32 s16, s2
	s_cbranch_execnz .LBB41_32
.LBB41_29:                              ;   in Loop: Header=BB41_10 Depth=1
	s_or_b32 exec_lo, exec_lo, s16
	s_add_i32 s7, s7, 1
	s_delay_alu instid0(SALU_CYCLE_1)
	s_cmp_ge_i32 s7, s4
	s_cbranch_scc1 .LBB41_9
	s_branch .LBB41_33
.LBB41_30:                              ;   in Loop: Header=BB41_10 Depth=1
	v_cmp_eq_f32_e64 s0, v29, v32
	s_waitcnt lgkmcnt(0)
	v_cmp_lt_i32_e64 s1, v30, v27
	s_delay_alu instid0(VALU_DEP_1) | instskip(SKIP_2) | instid1(SALU_CYCLE_1)
	s_and_b32 s0, s0, s1
	s_and_not1_b32 s1, s16, exec_lo
	s_and_b32 s0, s0, exec_lo
	s_or_b32 s16, s1, s0
	s_or_b32 exec_lo, exec_lo, s17
	s_and_saveexec_b32 s0, s16
	s_cbranch_execz .LBB41_28
.LBB41_31:                              ;   in Loop: Header=BB41_10 Depth=1
	s_waitcnt lgkmcnt(0)
	v_dual_mov_b32 v28, v31 :: v_dual_mov_b32 v27, v30
	s_or_b32 exec_lo, exec_lo, s0
	s_and_saveexec_b32 s16, s2
	s_cbranch_execz .LBB41_29
.LBB41_32:                              ;   in Loop: Header=BB41_10 Depth=1
	s_delay_alu instid0(VALU_DEP_1)
	v_dual_add_f32 v36, v24, v28 :: v_dual_add_nc_u32 v29, s7, v25
	v_cmp_le_i32_e64 s0, s5, v27
	v_cmp_gt_i32_e64 s1, s6, v27
	s_waitcnt lgkmcnt(1)
	v_subrev_nc_u32_e32 v31, s5, v27
	s_waitcnt lgkmcnt(0)
	v_ashrrev_i32_e32 v30, 31, v29
	v_cndmask_b32_e32 v24, v24, v36, vcc_lo
	s_and_b32 s0, s0, s1
	s_delay_alu instid0(SALU_CYCLE_1) | instskip(NEXT) | instid1(VALU_DEP_2)
	s_and_b32 s0, s15, s0
	v_lshlrev_b64 v[29:30], 2, v[29:30]
	v_cndmask_b32_e64 v35, 0x100, v31, s0
	s_delay_alu instid0(VALU_DEP_2) | instskip(NEXT) | instid1(VALU_DEP_1)
	v_add_co_u32 v31, s0, s12, v29
	v_add_co_ci_u32_e64 v32, s0, s13, v30, s0
	v_add_co_u32 v33, s0, s8, v29
	s_delay_alu instid0(VALU_DEP_1) | instskip(SKIP_1) | instid1(VALU_DEP_1)
	v_add_co_ci_u32_e64 v34, s0, s9, v30, s0
	v_add_co_u32 v29, s0, s10, v29
	v_add_co_ci_u32_e64 v30, s0, s11, v30, s0
	global_store_b32 v[31:32], v28, off
	global_store_b32 v[33:34], v35, off
	;; [unrolled: 1-line block ×3, first 2 shown]
	s_or_b32 exec_lo, exec_lo, s16
	s_add_i32 s7, s7, 1
	s_delay_alu instid0(SALU_CYCLE_1)
	s_cmp_ge_i32 s7, s4
	s_cbranch_scc1 .LBB41_9
.LBB41_33:                              ;   in Loop: Header=BB41_10 Depth=1
	v_ashrrev_i32_e32 v28, 31, v27
	s_mov_b32 s1, exec_lo
	s_delay_alu instid0(VALU_DEP_1) | instskip(NEXT) | instid1(VALU_DEP_1)
	v_lshrrev_b32_e32 v29, 30, v28
	v_add_nc_u32_e32 v29, v27, v29
	s_waitcnt lgkmcnt(0)
	s_delay_alu instid0(VALU_DEP_1) | instskip(SKIP_1) | instid1(VALU_DEP_2)
	v_ashrrev_i32_e32 v30, 31, v29
	v_ashrrev_i32_e32 v29, 2, v29
	v_lshrrev_b32_e32 v30, 27, v30
	s_delay_alu instid0(VALU_DEP_1) | instskip(NEXT) | instid1(VALU_DEP_1)
	v_add_nc_u32_e32 v30, v29, v30
	v_and_b32_e32 v30, 0xffffffe0, v30
	s_delay_alu instid0(VALU_DEP_1) | instskip(NEXT) | instid1(VALU_DEP_1)
	v_sub_nc_u32_e32 v30, v29, v30
	v_cmpx_eq_u32_e64 v17, v30
	s_cbranch_execz .LBB41_8
; %bb.34:                               ;   in Loop: Header=BB41_10 Depth=1
	v_lshrrev_b32_e32 v28, 25, v28
	v_lshlrev_b32_e32 v29, 2, v29
	s_delay_alu instid0(VALU_DEP_2) | instskip(NEXT) | instid1(VALU_DEP_2)
	v_add_nc_u32_e32 v28, v27, v28
	v_sub_nc_u32_e32 v27, v27, v29
	s_delay_alu instid0(VALU_DEP_2) | instskip(NEXT) | instid1(VALU_DEP_1)
	v_ashrrev_i32_e32 v28, 7, v28
	v_lshl_add_u32 v27, v28, 2, v27
	s_delay_alu instid0(VALU_DEP_1) | instskip(NEXT) | instid1(VALU_DEP_1)
	v_cmp_ne_u32_e64 s0, 7, v27
	v_cndmask_b32_e64 v15, 0xc61c4000, v15, s0
	v_cmp_ne_u32_e64 s0, 6, v27
	s_delay_alu instid0(VALU_DEP_1) | instskip(SKIP_1) | instid1(VALU_DEP_1)
	v_cndmask_b32_e64 v14, 0xc61c4000, v14, s0
	v_cmp_ne_u32_e64 s0, 5, v27
	v_cndmask_b32_e64 v13, 0xc61c4000, v13, s0
	v_cmp_ne_u32_e64 s0, 4, v27
	s_delay_alu instid0(VALU_DEP_1) | instskip(SKIP_1) | instid1(VALU_DEP_1)
	v_cndmask_b32_e64 v12, 0xc61c4000, v12, s0
	;; [unrolled: 5-line block ×3, first 2 shown]
	v_cmp_ne_u32_e64 s0, 1, v27
	v_cndmask_b32_e64 v9, 0xc61c4000, v9, s0
	v_cmp_ne_u32_e64 s0, 0, v27
	s_delay_alu instid0(VALU_DEP_1)
	v_cndmask_b32_e64 v8, 0xc61c4000, v8, s0
	s_branch .LBB41_8
.LBB41_35:
                                        ; implicit-def: $vgpr8_vgpr9_vgpr10_vgpr11_vgpr12_vgpr13_vgpr14_vgpr15
	s_and_not1_b32 vcc_lo, exec_lo, s8
	s_cbranch_vccz .LBB41_5
	s_branch .LBB41_6
.LBB41_36:
	v_mov_b32_e32 v24, 0
.LBB41_37:
	v_cmp_eq_u32_e64 s0, 0, v17
	s_delay_alu instid0(VALU_DEP_1) | instskip(NEXT) | instid1(SALU_CYCLE_1)
	s_and_b32 s0, s0, vcc_lo
	s_and_b32 exec_lo, exec_lo, s0
	s_cbranch_execz .LBB41_41
; %bb.38:
	s_and_not1_b32 vcc_lo, exec_lo, s3
	s_cbranch_vccnz .LBB41_41
; %bb.39:
	v_mul_lo_u32 v0, v16, s4
	v_cmp_lt_f32_e32 vcc_lo, 0, v24
	v_cndmask_b32_e32 v2, 1.0, v24, vcc_lo
	s_delay_alu instid0(VALU_DEP_3) | instskip(NEXT) | instid1(VALU_DEP_1)
	v_ashrrev_i32_e32 v1, 31, v0
	v_lshlrev_b64 v[0:1], 2, v[0:1]
	s_delay_alu instid0(VALU_DEP_1) | instskip(NEXT) | instid1(VALU_DEP_2)
	v_add_co_u32 v0, vcc_lo, s12, v0
	v_add_co_ci_u32_e32 v1, vcc_lo, s13, v1, vcc_lo
	.p2align	6
.LBB41_40:                              ; =>This Inner Loop Header: Depth=1
	global_load_b32 v3, v[0:1], off
	s_add_i32 s4, s4, -1
	s_delay_alu instid0(SALU_CYCLE_1) | instskip(SKIP_3) | instid1(VALU_DEP_2)
	s_cmp_lg_u32 s4, 0
	s_waitcnt vmcnt(0)
	v_div_scale_f32 v4, null, v2, v2, v3
	v_div_scale_f32 v7, vcc_lo, v3, v2, v3
	v_rcp_f32_e32 v5, v4
	s_waitcnt_depctr 0xfff
	v_fma_f32 v6, -v4, v5, 1.0
	s_delay_alu instid0(VALU_DEP_1) | instskip(NEXT) | instid1(VALU_DEP_1)
	v_fmac_f32_e32 v5, v6, v5
	v_mul_f32_e32 v6, v7, v5
	s_delay_alu instid0(VALU_DEP_1) | instskip(NEXT) | instid1(VALU_DEP_1)
	v_fma_f32 v8, -v4, v6, v7
	v_fmac_f32_e32 v6, v8, v5
	s_delay_alu instid0(VALU_DEP_1) | instskip(NEXT) | instid1(VALU_DEP_1)
	v_fma_f32 v4, -v4, v6, v7
	v_div_fmas_f32 v4, v4, v5, v6
	s_delay_alu instid0(VALU_DEP_1)
	v_div_fixup_f32 v3, v4, v2, v3
	global_store_b32 v[0:1], v3, off
	v_add_co_u32 v0, vcc_lo, v0, 4
	v_add_co_ci_u32_e32 v1, vcc_lo, 0, v1, vcc_lo
	s_cbranch_scc1 .LBB41_40
.LBB41_41:
	s_nop 0
	s_sendmsg sendmsg(MSG_DEALLOC_VGPRS)
	s_endpgm
	.section	.rodata,"a",@progbits
	.p2align	6, 0x0
	.amdhsa_kernel _ZN4vllm3moe10topkGatingILi8ELi256ELi4ELi16ELi32EjfLNS0_11ScoringFuncE0EEEvPKT5_PKbPfiPT4_PiiiibPKf
		.amdhsa_group_segment_fixed_size 0
		.amdhsa_private_segment_fixed_size 0
		.amdhsa_kernarg_size 72
		.amdhsa_user_sgpr_count 15
		.amdhsa_user_sgpr_dispatch_ptr 0
		.amdhsa_user_sgpr_queue_ptr 0
		.amdhsa_user_sgpr_kernarg_segment_ptr 1
		.amdhsa_user_sgpr_dispatch_id 0
		.amdhsa_user_sgpr_private_segment_size 0
		.amdhsa_wavefront_size32 1
		.amdhsa_uses_dynamic_stack 0
		.amdhsa_enable_private_segment 0
		.amdhsa_system_sgpr_workgroup_id_x 1
		.amdhsa_system_sgpr_workgroup_id_y 0
		.amdhsa_system_sgpr_workgroup_id_z 0
		.amdhsa_system_sgpr_workgroup_info 0
		.amdhsa_system_vgpr_workitem_id 1
		.amdhsa_next_free_vgpr 39
		.amdhsa_next_free_sgpr 18
		.amdhsa_reserve_vcc 1
		.amdhsa_float_round_mode_32 0
		.amdhsa_float_round_mode_16_64 0
		.amdhsa_float_denorm_mode_32 3
		.amdhsa_float_denorm_mode_16_64 3
		.amdhsa_dx10_clamp 1
		.amdhsa_ieee_mode 1
		.amdhsa_fp16_overflow 0
		.amdhsa_workgroup_processor_mode 1
		.amdhsa_memory_ordered 1
		.amdhsa_forward_progress 0
		.amdhsa_shared_vgpr_count 0
		.amdhsa_exception_fp_ieee_invalid_op 0
		.amdhsa_exception_fp_denorm_src 0
		.amdhsa_exception_fp_ieee_div_zero 0
		.amdhsa_exception_fp_ieee_overflow 0
		.amdhsa_exception_fp_ieee_underflow 0
		.amdhsa_exception_fp_ieee_inexact 0
		.amdhsa_exception_int_div_zero 0
	.end_amdhsa_kernel
	.section	.text._ZN4vllm3moe10topkGatingILi8ELi256ELi4ELi16ELi32EjfLNS0_11ScoringFuncE0EEEvPKT5_PKbPfiPT4_PiiiibPKf,"axG",@progbits,_ZN4vllm3moe10topkGatingILi8ELi256ELi4ELi16ELi32EjfLNS0_11ScoringFuncE0EEEvPKT5_PKbPfiPT4_PiiiibPKf,comdat
.Lfunc_end41:
	.size	_ZN4vllm3moe10topkGatingILi8ELi256ELi4ELi16ELi32EjfLNS0_11ScoringFuncE0EEEvPKT5_PKbPfiPT4_PiiiibPKf, .Lfunc_end41-_ZN4vllm3moe10topkGatingILi8ELi256ELi4ELi16ELi32EjfLNS0_11ScoringFuncE0EEEvPKT5_PKbPfiPT4_PiiiibPKf
                                        ; -- End function
	.section	.AMDGPU.csdata,"",@progbits
; Kernel info:
; codeLenInByte = 3556
; NumSgprs: 20
; NumVgprs: 39
; ScratchSize: 0
; MemoryBound: 0
; FloatMode: 240
; IeeeMode: 1
; LDSByteSize: 0 bytes/workgroup (compile time only)
; SGPRBlocks: 2
; VGPRBlocks: 4
; NumSGPRsForWavesPerEU: 20
; NumVGPRsForWavesPerEU: 39
; Occupancy: 16
; WaveLimiterHint : 1
; COMPUTE_PGM_RSRC2:SCRATCH_EN: 0
; COMPUTE_PGM_RSRC2:USER_SGPR: 15
; COMPUTE_PGM_RSRC2:TRAP_HANDLER: 0
; COMPUTE_PGM_RSRC2:TGID_X_EN: 1
; COMPUTE_PGM_RSRC2:TGID_Y_EN: 0
; COMPUTE_PGM_RSRC2:TGID_Z_EN: 0
; COMPUTE_PGM_RSRC2:TIDIG_COMP_CNT: 1
	.section	.text._ZN4vllm3moe10topkGatingILi8ELi512ELi4ELi16ELi64EjfLNS0_11ScoringFuncE0EEEvPKT5_PKbPfiPT4_PiiiibPKf,"axG",@progbits,_ZN4vllm3moe10topkGatingILi8ELi512ELi4ELi16ELi64EjfLNS0_11ScoringFuncE0EEEvPKT5_PKbPfiPT4_PiiiibPKf,comdat
	.protected	_ZN4vllm3moe10topkGatingILi8ELi512ELi4ELi16ELi64EjfLNS0_11ScoringFuncE0EEEvPKT5_PKbPfiPT4_PiiiibPKf ; -- Begin function _ZN4vllm3moe10topkGatingILi8ELi512ELi4ELi16ELi64EjfLNS0_11ScoringFuncE0EEEvPKT5_PKbPfiPT4_PiiiibPKf
	.globl	_ZN4vllm3moe10topkGatingILi8ELi512ELi4ELi16ELi64EjfLNS0_11ScoringFuncE0EEEvPKT5_PKbPfiPT4_PiiiibPKf
	.p2align	8
	.type	_ZN4vllm3moe10topkGatingILi8ELi512ELi4ELi16ELi64EjfLNS0_11ScoringFuncE0EEEvPKT5_PKbPfiPT4_PiiiibPKf,@function
_ZN4vllm3moe10topkGatingILi8ELi512ELi4ELi16ELi64EjfLNS0_11ScoringFuncE0EEEvPKT5_PKbPfiPT4_PiiiibPKf: ; @_ZN4vllm3moe10topkGatingILi8ELi512ELi4ELi16ELi64EjfLNS0_11ScoringFuncE0EEEvPKT5_PKbPfiPT4_PiiiibPKf
; %bb.0:
	s_load_b32 s14, s[0:1], 0x18
	v_and_b32_e32 v1, 0x3ff, v0
	v_bfe_u32 v0, v0, 10, 10
	s_lshl_b32 s2, s15, 2
	s_delay_alu instid0(VALU_DEP_2) | instskip(NEXT) | instid1(VALU_DEP_1)
	v_lshrrev_b32_e32 v2, 6, v1
	v_add3_u32 v16, s2, v0, v2
	s_mov_b32 s2, exec_lo
	s_waitcnt lgkmcnt(0)
	s_delay_alu instid0(VALU_DEP_1)
	v_cmpx_gt_i32_e64 s14, v16
	s_cbranch_execz .LBB42_45
; %bb.1:
	s_clause 0x1
	s_load_b128 s[4:7], s[0:1], 0x0
	s_load_b64 s[12:13], s[0:1], 0x10
	s_mov_b32 s8, -1
	s_mov_b32 s15, -1
	s_waitcnt lgkmcnt(0)
	s_cmp_eq_u64 s[6:7], 0
	s_cbranch_scc1 .LBB42_3
; %bb.2:
	v_ashrrev_i32_e32 v0, 31, v16
	v_add_co_u32 v2, vcc_lo, s6, v16
	s_delay_alu instid0(VALU_DEP_2) | instskip(SKIP_3) | instid1(VALU_DEP_1)
	v_add_co_ci_u32_e32 v3, vcc_lo, s7, v0, vcc_lo
	global_load_u8 v0, v[2:3], off
	s_waitcnt vmcnt(0)
	v_and_b32_e32 v0, 1, v0
	v_cmp_eq_u32_e32 vcc_lo, 1, v0
	s_xor_b32 s2, vcc_lo, -1
	s_delay_alu instid0(SALU_CYCLE_1)
	s_or_not1_b32 s15, s2, exec_lo
.LBB42_3:
	v_mbcnt_lo_u32_b32 v10, -1, 0
	v_lshlrev_b32_e32 v2, 9, v16
	v_and_b32_e32 v17, 63, v1
	s_load_b64 s[2:3], s[0:1], 0x40
	s_delay_alu instid0(VALU_DEP_3) | instskip(NEXT) | instid1(VALU_DEP_3)
	v_xor_b32_e32 v11, 16, v10
	v_ashrrev_i32_e32 v3, 31, v2
	s_delay_alu instid0(VALU_DEP_1) | instskip(SKIP_1) | instid1(VALU_DEP_2)
	v_lshlrev_b64 v[0:1], 2, v[2:3]
	v_lshlrev_b32_e32 v2, 4, v17
	v_add_co_u32 v0, vcc_lo, s4, v0
	s_delay_alu instid0(VALU_DEP_3) | instskip(NEXT) | instid1(VALU_DEP_2)
	v_add_co_ci_u32_e32 v1, vcc_lo, s5, v1, vcc_lo
	v_add_co_u32 v4, vcc_lo, v0, v2
	s_delay_alu instid0(VALU_DEP_2)
	v_add_co_ci_u32_e32 v5, vcc_lo, 0, v1, vcc_lo
	s_waitcnt lgkmcnt(0)
	s_cmp_eq_u64 s[2:3], 0
	s_clause 0x1
	global_load_b128 v[0:3], v[4:5], off
	global_load_b128 v[4:7], v[4:5], off offset:1024
	s_waitcnt vmcnt(1)
	v_dual_max_f32 v9, v0, v0 :: v_dual_max_f32 v8, v1, v1
	s_delay_alu instid0(VALU_DEP_1) | instskip(SKIP_1) | instid1(VALU_DEP_2)
	v_max_f32_e32 v8, v9, v8
	v_or_b32_e32 v9, 32, v10
	v_max3_f32 v8, v8, v2, v3
	s_delay_alu instid0(VALU_DEP_2) | instskip(SKIP_1) | instid1(VALU_DEP_2)
	v_cmp_gt_i32_e32 vcc_lo, 64, v9
	s_waitcnt vmcnt(0)
	v_max3_f32 v8, v8, v4, v5
	v_cndmask_b32_e32 v9, v10, v9, vcc_lo
	v_cmp_gt_i32_e32 vcc_lo, 64, v11
	s_delay_alu instid0(VALU_DEP_3) | instskip(SKIP_1) | instid1(VALU_DEP_1)
	v_max3_f32 v8, v8, v6, v7
	v_cndmask_b32_e32 v11, v10, v11, vcc_lo
	v_lshlrev_b32_e32 v19, 2, v11
	v_xor_b32_e32 v11, 8, v10
	s_delay_alu instid0(VALU_DEP_1) | instskip(SKIP_4) | instid1(VALU_DEP_1)
	v_cmp_gt_i32_e32 vcc_lo, 64, v11
	v_dual_cndmask_b32 v11, v10, v11 :: v_dual_lshlrev_b32 v18, 2, v9
	ds_bpermute_b32 v9, v18, v8
	v_lshlrev_b32_e32 v20, 2, v11
	v_xor_b32_e32 v11, 4, v10
	v_cmp_gt_i32_e32 vcc_lo, 64, v11
	v_cndmask_b32_e32 v11, v10, v11, vcc_lo
	s_waitcnt lgkmcnt(0)
	v_max_f32_e32 v9, v9, v9
	s_delay_alu instid0(VALU_DEP_2) | instskip(SKIP_1) | instid1(VALU_DEP_3)
	v_lshlrev_b32_e32 v21, 2, v11
	v_xor_b32_e32 v11, 2, v10
	v_max_f32_e32 v8, v8, v9
	s_delay_alu instid0(VALU_DEP_2) | instskip(SKIP_2) | instid1(VALU_DEP_1)
	v_cmp_gt_i32_e32 vcc_lo, 64, v11
	ds_bpermute_b32 v9, v19, v8
	v_cndmask_b32_e32 v11, v10, v11, vcc_lo
	v_lshlrev_b32_e32 v22, 2, v11
	v_xor_b32_e32 v11, 1, v10
	s_delay_alu instid0(VALU_DEP_1) | instskip(SKIP_2) | instid1(VALU_DEP_1)
	v_cmp_gt_i32_e32 vcc_lo, 64, v11
	s_waitcnt lgkmcnt(0)
	v_dual_cndmask_b32 v10, v10, v11 :: v_dual_max_f32 v9, v9, v9
	v_dual_max_f32 v8, v8, v9 :: v_dual_lshlrev_b32 v23, 2, v10
	ds_bpermute_b32 v9, v20, v8
	s_waitcnt lgkmcnt(0)
	v_max_f32_e32 v9, v9, v9
	s_delay_alu instid0(VALU_DEP_1) | instskip(SKIP_3) | instid1(VALU_DEP_1)
	v_max_f32_e32 v8, v8, v9
	ds_bpermute_b32 v9, v21, v8
	s_waitcnt lgkmcnt(0)
	v_max_f32_e32 v9, v9, v9
	v_max_f32_e32 v8, v8, v9
	ds_bpermute_b32 v9, v22, v8
	s_waitcnt lgkmcnt(0)
	v_max_f32_e32 v9, v9, v9
	s_delay_alu instid0(VALU_DEP_1) | instskip(SKIP_3) | instid1(VALU_DEP_1)
	v_max_f32_e32 v8, v8, v9
	ds_bpermute_b32 v9, v23, v8
	s_waitcnt lgkmcnt(0)
	v_max_f32_e32 v9, v9, v9
	v_max_f32_e32 v8, v8, v9
	s_delay_alu instid0(VALU_DEP_1) | instskip(NEXT) | instid1(VALU_DEP_1)
	v_sub_f32_e32 v3, v3, v8
	v_dual_mul_f32 v11, 0x3fb8aa3b, v3 :: v_dual_sub_f32 v2, v2, v8
	v_sub_f32_e32 v1, v1, v8
	v_sub_f32_e32 v0, v0, v8
	;; [unrolled: 1-line block ×3, first 2 shown]
	s_delay_alu instid0(VALU_DEP_4) | instskip(NEXT) | instid1(VALU_DEP_4)
	v_dual_sub_f32 v5, v5, v8 :: v_dual_mul_f32 v10, 0x3fb8aa3b, v2
	v_dual_sub_f32 v6, v6, v8 :: v_dual_mul_f32 v9, 0x3fb8aa3b, v1
	v_rndne_f32_e32 v31, v11
	v_cmp_ngt_f32_e32 vcc_lo, 0xc2ce8ed0, v0
	s_delay_alu instid0(VALU_DEP_4) | instskip(NEXT) | instid1(VALU_DEP_4)
	v_fma_f32 v28, 0x3fb8aa3b, v2, -v10
	v_mul_f32_e32 v14, 0x3fb8aa3b, v6
	v_fma_f32 v26, 0x3fb8aa3b, v1, -v9
	v_sub_f32_e32 v7, v7, v8
	v_mul_f32_e32 v8, 0x3fb8aa3b, v0
	v_rndne_f32_e32 v27, v9
	v_rndne_f32_e32 v29, v10
	v_fma_f32 v30, 0x3fb8aa3b, v3, -v11
	v_fmac_f32_e32 v26, 0x32a5705f, v1
	v_fma_f32 v24, 0x3fb8aa3b, v0, -v8
	v_rndne_f32_e32 v25, v8
	v_dual_sub_f32 v9, v9, v27 :: v_dual_fmac_f32 v28, 0x32a5705f, v2
	s_delay_alu instid0(VALU_DEP_3) | instskip(NEXT) | instid1(VALU_DEP_3)
	v_dual_sub_f32 v11, v11, v31 :: v_dual_fmac_f32 v24, 0x32a5705f, v0
	v_sub_f32_e32 v8, v8, v25
	v_mul_f32_e32 v13, 0x3fb8aa3b, v5
	s_delay_alu instid0(VALU_DEP_4) | instskip(SKIP_1) | instid1(VALU_DEP_4)
	v_dual_fmac_f32 v30, 0x32a5705f, v3 :: v_dual_add_f32 v9, v9, v26
	v_cvt_i32_f32_e32 v25, v25
	v_add_f32_e32 v8, v8, v24
	s_delay_alu instid0(VALU_DEP_4) | instskip(SKIP_4) | instid1(VALU_DEP_2)
	v_rndne_f32_e32 v35, v13
	v_sub_f32_e32 v10, v10, v29
	v_fma_f32 v34, 0x3fb8aa3b, v5, -v13
	v_exp_f32_e32 v9, v9
	v_exp_f32_e32 v8, v8
	v_dual_sub_f32 v13, v13, v35 :: v_dual_add_f32 v10, v10, v28
	v_cvt_i32_f32_e32 v27, v27
	v_dual_mul_f32 v12, 0x3fb8aa3b, v4 :: v_dual_mul_f32 v15, 0x3fb8aa3b, v7
	v_fma_f32 v36, 0x3fb8aa3b, v6, -v14
	s_delay_alu instid0(VALU_DEP_4) | instskip(SKIP_1) | instid1(TRANS32_DEP_3)
	v_exp_f32_e32 v10, v10
	v_cvt_i32_f32_e32 v29, v29
	v_ldexp_f32 v9, v9, v27
	s_delay_alu instid0(TRANS32_DEP_2)
	v_ldexp_f32 v8, v8, v25
	v_rndne_f32_e32 v33, v12
	v_fma_f32 v32, 0x3fb8aa3b, v4, -v12
	v_add_f32_e32 v11, v11, v30
	v_fma_f32 v38, 0x3fb8aa3b, v7, -v15
	v_cndmask_b32_e32 v8, 0, v8, vcc_lo
	v_cmp_ngt_f32_e32 vcc_lo, 0xc2ce8ed0, v1
	v_fmac_f32_e32 v36, 0x32a5705f, v6
	v_ldexp_f32 v10, v10, v29
	v_sub_f32_e32 v12, v12, v33
	v_rndne_f32_e32 v39, v15
	v_cndmask_b32_e32 v9, 0, v9, vcc_lo
	v_cmp_ngt_f32_e32 vcc_lo, 0xc2ce8ed0, v2
	v_fmac_f32_e32 v32, 0x32a5705f, v4
	v_exp_f32_e32 v11, v11
	v_sub_f32_e32 v15, v15, v39
	v_cvt_i32_f32_e32 v31, v31
	v_cndmask_b32_e32 v10, 0, v10, vcc_lo
	v_cmp_nlt_f32_e32 vcc_lo, 0x42b17218, v0
	v_add_f32_e32 v12, v12, v32
	v_rndne_f32_e32 v37, v14
	v_cvt_i32_f32_e32 v33, v33
	v_cvt_i32_f32_e32 v26, v39
	v_cndmask_b32_e32 v0, 0x7f800000, v8, vcc_lo
	v_cmp_nlt_f32_e32 vcc_lo, 0x42b17218, v1
	v_exp_f32_e32 v12, v12
	v_ldexp_f32 v11, v11, v31
	v_cvt_i32_f32_e32 v35, v35
	v_cvt_i32_f32_e32 v24, v37
	v_cndmask_b32_e32 v1, 0x7f800000, v9, vcc_lo
	v_fmac_f32_e32 v38, 0x32a5705f, v7
	v_cmp_ngt_f32_e32 vcc_lo, 0xc2ce8ed0, v3
	s_delay_alu instid0(VALU_DEP_3) | instskip(NEXT) | instid1(VALU_DEP_3)
	v_add_f32_e32 v9, v0, v1
	v_dual_fmac_f32 v34, 0x32a5705f, v5 :: v_dual_add_f32 v15, v15, v38
	v_sub_f32_e32 v14, v14, v37
	v_cndmask_b32_e32 v8, 0, v11, vcc_lo
	v_cmp_nlt_f32_e32 vcc_lo, 0x42b17218, v2
	s_delay_alu instid0(VALU_DEP_4) | instskip(SKIP_3) | instid1(VALU_DEP_3)
	v_add_f32_e32 v13, v13, v34
	v_exp_f32_e32 v15, v15
	v_ldexp_f32 v12, v12, v33
	v_cndmask_b32_e32 v2, 0x7f800000, v10, vcc_lo
	v_exp_f32_e32 v13, v13
	v_cmp_ngt_f32_e32 vcc_lo, 0xc2ce8ed0, v4
	s_waitcnt_depctr 0xfff
	v_ldexp_f32 v15, v15, v26
	v_add_f32_e32 v14, v14, v36
	v_cndmask_b32_e32 v10, 0, v12, vcc_lo
	v_cmp_nlt_f32_e32 vcc_lo, 0x42b17218, v3
	v_ldexp_f32 v13, v13, v35
	s_delay_alu instid0(VALU_DEP_4) | instskip(SKIP_2) | instid1(VALU_DEP_3)
	v_exp_f32_e32 v14, v14
	v_dual_cndmask_b32 v3, 0x7f800000, v8 :: v_dual_add_f32 v8, v9, v2
	v_cmp_ngt_f32_e32 vcc_lo, 0xc2ce8ed0, v5
	v_cndmask_b32_e32 v9, 0, v13, vcc_lo
	v_cmp_nlt_f32_e32 vcc_lo, 0x42b17218, v4
	s_waitcnt_depctr 0xfff
	v_ldexp_f32 v14, v14, v24
	v_lshlrev_b32_e32 v24, 2, v17
	v_cndmask_b32_e32 v4, 0x7f800000, v10, vcc_lo
	v_cmp_ngt_f32_e32 vcc_lo, 0xc2ce8ed0, v6
	s_delay_alu instid0(VALU_DEP_4)
	v_cndmask_b32_e32 v10, 0, v14, vcc_lo
	v_cmp_nlt_f32_e32 vcc_lo, 0x42b17218, v5
	v_cndmask_b32_e32 v5, 0x7f800000, v9, vcc_lo
	v_cmp_ngt_f32_e32 vcc_lo, 0xc2ce8ed0, v7
	v_cndmask_b32_e32 v9, 0, v15, vcc_lo
	v_cmp_nlt_f32_e32 vcc_lo, 0x42b17218, v6
	v_cndmask_b32_e32 v6, 0x7f800000, v10, vcc_lo
	v_cmp_nlt_f32_e32 vcc_lo, 0x42b17218, v7
	s_delay_alu instid0(VALU_DEP_4) | instskip(NEXT) | instid1(VALU_DEP_1)
	v_dual_add_f32 v8, v8, v3 :: v_dual_cndmask_b32 v7, 0x7f800000, v9
	v_add_f32_e32 v8, v8, v4
	s_delay_alu instid0(VALU_DEP_1) | instskip(NEXT) | instid1(VALU_DEP_1)
	v_add_f32_e32 v8, v8, v5
	v_add_f32_e32 v8, v8, v6
	s_delay_alu instid0(VALU_DEP_1)
	v_add_f32_e32 v8, v8, v7
	ds_bpermute_b32 v9, v18, v8
	s_waitcnt lgkmcnt(0)
	v_add_f32_e32 v8, v8, v9
	ds_bpermute_b32 v9, v19, v8
	s_waitcnt lgkmcnt(0)
	;; [unrolled: 3-line block ×6, first 2 shown]
	v_add_f32_e32 v8, v8, v9
	s_delay_alu instid0(VALU_DEP_1) | instskip(SKIP_1) | instid1(VALU_DEP_2)
	v_div_scale_f32 v9, null, v8, v8, 1.0
	v_div_scale_f32 v12, vcc_lo, 1.0, v8, 1.0
	v_rcp_f32_e32 v10, v9
	s_waitcnt_depctr 0xfff
	v_fma_f32 v11, -v9, v10, 1.0
	s_delay_alu instid0(VALU_DEP_1) | instskip(NEXT) | instid1(VALU_DEP_1)
	v_fmac_f32_e32 v10, v11, v10
	v_mul_f32_e32 v11, v12, v10
	s_delay_alu instid0(VALU_DEP_1) | instskip(NEXT) | instid1(VALU_DEP_1)
	v_fma_f32 v13, -v9, v11, v12
	v_fmac_f32_e32 v11, v13, v10
	s_delay_alu instid0(VALU_DEP_1) | instskip(NEXT) | instid1(VALU_DEP_1)
	v_fma_f32 v9, -v9, v11, v12
	v_div_fmas_f32 v9, v9, v10, v11
	s_delay_alu instid0(VALU_DEP_1) | instskip(NEXT) | instid1(VALU_DEP_1)
	v_div_fixup_f32 v8, v9, v8, 1.0
	v_mul_f32_e32 v0, v8, v0
	v_mul_f32_e32 v1, v8, v1
	;; [unrolled: 1-line block ×5, first 2 shown]
	v_cmp_class_f32_e64 vcc_lo, v0, 0x1f8
	v_mul_f32_e32 v4, v8, v4
	v_mul_f32_e32 v5, v8, v5
	;; [unrolled: 1-line block ×3, first 2 shown]
	v_cndmask_b32_e32 v0, 0, v0, vcc_lo
	v_cmp_class_f32_e64 vcc_lo, v1, 0x1f8
	v_cndmask_b32_e32 v1, 0, v1, vcc_lo
	v_cmp_class_f32_e64 vcc_lo, v2, 0x1f8
	;; [unrolled: 2-line block ×7, first 2 shown]
	v_cndmask_b32_e32 v7, 0, v7, vcc_lo
	s_cbranch_scc1 .LBB42_39
; %bb.4:
	v_lshlrev_b32_e32 v12, 2, v24
	s_clause 0x1
	global_load_b128 v[8:11], v12, s[2:3]
	global_load_b128 v[12:15], v12, s[2:3] offset:1024
	s_waitcnt vmcnt(1)
	v_dual_add_f32 v9, v9, v1 :: v_dual_add_f32 v8, v8, v0
	v_dual_add_f32 v11, v11, v3 :: v_dual_add_f32 v10, v10, v2
	s_waitcnt vmcnt(0)
	v_dual_add_f32 v13, v13, v5 :: v_dual_add_f32 v12, v12, v4
	v_dual_add_f32 v15, v15, v7 :: v_dual_add_f32 v14, v14, v6
	s_cbranch_execnz .LBB42_6
.LBB42_5:
	v_dual_mov_b32 v15, v7 :: v_dual_mov_b32 v14, v6
	v_dual_mov_b32 v13, v5 :: v_dual_mov_b32 v12, v4
	;; [unrolled: 1-line block ×4, first 2 shown]
.LBB42_6:
	s_load_b128 s[4:7], s[0:1], 0x30
	v_cmp_eq_u32_e64 s2, 0, v17
	s_waitcnt lgkmcnt(0)
	s_bitcmp1_b32 s7, 0
	s_mov_b32 s7, 0
	s_cselect_b32 vcc_lo, -1, 0
	s_cmp_gt_i32 s4, 0
	s_cselect_b32 s3, -1, 0
	s_cmp_lt_i32 s4, 1
	s_cbranch_scc1 .LBB42_40
; %bb.7:
	s_load_b128 s[8:11], s[0:1], 0x20
	v_mul_lo_u32 v26, v16, s4
	v_mov_b32_e32 v25, 0
	v_mov_b32_e32 v27, v16
	s_branch .LBB42_10
.LBB42_8:                               ;   in Loop: Header=BB42_10 Depth=1
	s_or_b32 exec_lo, exec_lo, s1
.LBB42_9:                               ;   in Loop: Header=BB42_10 Depth=1
	v_add_nc_u32_e32 v27, s14, v27
	s_cmp_eq_u32 s4, s7
	s_cbranch_scc1 .LBB42_41
.LBB42_10:                              ; =>This Inner Loop Header: Depth=1
	v_cmp_gt_f32_e64 s0, v9, v8
	s_mov_b32 s17, exec_lo
	s_delay_alu instid0(VALU_DEP_1) | instskip(SKIP_2) | instid1(VALU_DEP_3)
	v_cndmask_b32_e64 v28, v8, v9, s0
	v_cndmask_b32_e64 v29, 0, 1, s0
	;; [unrolled: 1-line block ×3, first 2 shown]
	v_cmp_gt_f32_e64 s1, v10, v28
	s_delay_alu instid0(VALU_DEP_1) | instskip(NEXT) | instid1(VALU_DEP_4)
	v_cndmask_b32_e64 v28, v28, v10, s1
	v_cndmask_b32_e64 v29, v29, 2, s1
	s_delay_alu instid0(VALU_DEP_4) | instskip(NEXT) | instid1(VALU_DEP_3)
	v_cndmask_b32_e64 v30, v30, v2, s1
	v_cmp_gt_f32_e64 s0, v11, v28
	s_delay_alu instid0(VALU_DEP_1) | instskip(NEXT) | instid1(VALU_DEP_4)
	v_cndmask_b32_e64 v28, v28, v11, s0
	v_cndmask_b32_e64 v29, v29, 3, s0
	s_delay_alu instid0(VALU_DEP_4) | instskip(NEXT) | instid1(VALU_DEP_3)
	v_cndmask_b32_e64 v30, v30, v3, s0
	;; [unrolled: 6-line block ×4, first 2 shown]
	v_cmp_gt_f32_e64 s1, v14, v28
	s_delay_alu instid0(VALU_DEP_1) | instskip(NEXT) | instid1(VALU_DEP_4)
	v_cndmask_b32_e64 v28, v28, v14, s1
	v_cndmask_b32_e64 v29, v29, 0x102, s1
	s_waitcnt lgkmcnt(0)
	v_cndmask_b32_e64 v31, v30, v6, s1
	s_delay_alu instid0(VALU_DEP_3) | instskip(NEXT) | instid1(VALU_DEP_1)
	v_cmp_gt_f32_e64 s0, v15, v28
	v_cndmask_b32_e64 v30, v28, v15, s0
	v_cndmask_b32_e64 v28, v29, 0x103, s0
	s_delay_alu instid0(VALU_DEP_4)
	v_cndmask_b32_e64 v29, v31, v7, s0
	ds_bpermute_b32 v31, v18, v30
	v_or_b32_e32 v28, v24, v28
	ds_bpermute_b32 v33, v18, v29
	ds_bpermute_b32 v32, v18, v28
	s_waitcnt lgkmcnt(0)
	v_cmp_lt_f32_e64 s16, v30, v31
	v_cmpx_nlt_f32_e32 v30, v31
; %bb.11:                               ;   in Loop: Header=BB42_10 Depth=1
	v_cmp_eq_f32_e64 s0, v30, v31
	v_cmp_lt_i32_e64 s1, v32, v28
	s_delay_alu instid0(VALU_DEP_1) | instskip(SKIP_2) | instid1(SALU_CYCLE_1)
	s_and_b32 s0, s0, s1
	s_and_not1_b32 s1, s16, exec_lo
	s_and_b32 s0, s0, exec_lo
	s_or_b32 s16, s1, s0
; %bb.12:                               ;   in Loop: Header=BB42_10 Depth=1
	s_or_b32 exec_lo, exec_lo, s17
	s_and_saveexec_b32 s0, s16
; %bb.13:                               ;   in Loop: Header=BB42_10 Depth=1
	v_dual_mov_b32 v29, v33 :: v_dual_mov_b32 v30, v31
	v_mov_b32_e32 v28, v32
; %bb.14:                               ;   in Loop: Header=BB42_10 Depth=1
	s_or_b32 exec_lo, exec_lo, s0
	ds_bpermute_b32 v32, v19, v30
	ds_bpermute_b32 v33, v19, v29
	;; [unrolled: 1-line block ×3, first 2 shown]
	s_mov_b32 s17, exec_lo
	s_waitcnt lgkmcnt(2)
	v_cmp_lt_f32_e64 s16, v30, v32
	v_cmpx_nlt_f32_e32 v30, v32
	s_cbranch_execz .LBB42_16
; %bb.15:                               ;   in Loop: Header=BB42_10 Depth=1
	v_cmp_eq_f32_e64 s0, v30, v32
	s_waitcnt lgkmcnt(0)
	v_cmp_lt_i32_e64 s1, v31, v28
	s_delay_alu instid0(VALU_DEP_1) | instskip(SKIP_2) | instid1(SALU_CYCLE_1)
	s_and_b32 s0, s0, s1
	s_and_not1_b32 s1, s16, exec_lo
	s_and_b32 s0, s0, exec_lo
	s_or_b32 s16, s1, s0
.LBB42_16:                              ;   in Loop: Header=BB42_10 Depth=1
	s_or_b32 exec_lo, exec_lo, s17
	s_delay_alu instid0(VALU_DEP_2)
	s_and_saveexec_b32 s0, s16
	s_cbranch_execz .LBB42_18
; %bb.17:                               ;   in Loop: Header=BB42_10 Depth=1
	s_waitcnt lgkmcnt(1)
	v_dual_mov_b32 v29, v33 :: v_dual_mov_b32 v30, v32
	s_waitcnt lgkmcnt(0)
	v_mov_b32_e32 v28, v31
.LBB42_18:                              ;   in Loop: Header=BB42_10 Depth=1
	s_or_b32 exec_lo, exec_lo, s0
	ds_bpermute_b32 v32, v20, v30
	s_waitcnt lgkmcnt(2)
	ds_bpermute_b32 v33, v20, v29
	s_waitcnt lgkmcnt(2)
	ds_bpermute_b32 v31, v20, v28
	s_mov_b32 s17, exec_lo
	s_waitcnt lgkmcnt(2)
	v_cmp_lt_f32_e64 s16, v30, v32
	v_cmpx_nlt_f32_e32 v30, v32
	s_cbranch_execz .LBB42_20
; %bb.19:                               ;   in Loop: Header=BB42_10 Depth=1
	v_cmp_eq_f32_e64 s0, v30, v32
	s_waitcnt lgkmcnt(0)
	v_cmp_lt_i32_e64 s1, v31, v28
	s_delay_alu instid0(VALU_DEP_1) | instskip(SKIP_2) | instid1(SALU_CYCLE_1)
	s_and_b32 s0, s0, s1
	s_and_not1_b32 s1, s16, exec_lo
	s_and_b32 s0, s0, exec_lo
	s_or_b32 s16, s1, s0
.LBB42_20:                              ;   in Loop: Header=BB42_10 Depth=1
	s_or_b32 exec_lo, exec_lo, s17
	s_delay_alu instid0(VALU_DEP_2)
	s_and_saveexec_b32 s0, s16
	s_cbranch_execz .LBB42_22
; %bb.21:                               ;   in Loop: Header=BB42_10 Depth=1
	s_waitcnt lgkmcnt(1)
	v_dual_mov_b32 v29, v33 :: v_dual_mov_b32 v30, v32
	s_waitcnt lgkmcnt(0)
	v_mov_b32_e32 v28, v31
.LBB42_22:                              ;   in Loop: Header=BB42_10 Depth=1
	s_or_b32 exec_lo, exec_lo, s0
	ds_bpermute_b32 v32, v21, v30
	s_waitcnt lgkmcnt(2)
	ds_bpermute_b32 v33, v21, v29
	s_waitcnt lgkmcnt(2)
	ds_bpermute_b32 v31, v21, v28
	;; [unrolled: 31-line block ×3, first 2 shown]
	s_mov_b32 s17, exec_lo
	s_waitcnt lgkmcnt(2)
	v_cmp_lt_f32_e64 s16, v30, v32
	v_cmpx_nlt_f32_e32 v30, v32
	s_cbranch_execz .LBB42_28
; %bb.27:                               ;   in Loop: Header=BB42_10 Depth=1
	v_cmp_eq_f32_e64 s0, v30, v32
	s_waitcnt lgkmcnt(0)
	v_cmp_lt_i32_e64 s1, v31, v28
	s_delay_alu instid0(VALU_DEP_1) | instskip(SKIP_2) | instid1(SALU_CYCLE_1)
	s_and_b32 s0, s0, s1
	s_and_not1_b32 s1, s16, exec_lo
	s_and_b32 s0, s0, exec_lo
	s_or_b32 s16, s1, s0
.LBB42_28:                              ;   in Loop: Header=BB42_10 Depth=1
	s_or_b32 exec_lo, exec_lo, s17
	s_delay_alu instid0(VALU_DEP_2)
	s_and_saveexec_b32 s0, s16
	s_cbranch_execz .LBB42_30
; %bb.29:                               ;   in Loop: Header=BB42_10 Depth=1
	s_waitcnt lgkmcnt(1)
	v_dual_mov_b32 v29, v33 :: v_dual_mov_b32 v30, v32
	s_waitcnt lgkmcnt(0)
	v_mov_b32_e32 v28, v31
.LBB42_30:                              ;   in Loop: Header=BB42_10 Depth=1
	s_or_b32 exec_lo, exec_lo, s0
	s_waitcnt lgkmcnt(1)
	ds_bpermute_b32 v33, v23, v30
	ds_bpermute_b32 v32, v23, v29
	s_waitcnt lgkmcnt(2)
	ds_bpermute_b32 v31, v23, v28
	s_mov_b32 s17, exec_lo
	s_waitcnt lgkmcnt(2)
	v_cmp_lt_f32_e64 s16, v30, v33
	v_cmpx_nlt_f32_e32 v30, v33
	s_cbranch_execnz .LBB42_34
; %bb.31:                               ;   in Loop: Header=BB42_10 Depth=1
	s_or_b32 exec_lo, exec_lo, s17
	s_delay_alu instid0(VALU_DEP_2)
	s_and_saveexec_b32 s0, s16
	s_cbranch_execnz .LBB42_35
.LBB42_32:                              ;   in Loop: Header=BB42_10 Depth=1
	s_or_b32 exec_lo, exec_lo, s0
	s_and_saveexec_b32 s16, s2
	s_cbranch_execnz .LBB42_36
.LBB42_33:                              ;   in Loop: Header=BB42_10 Depth=1
	s_or_b32 exec_lo, exec_lo, s16
	s_add_i32 s7, s7, 1
	s_delay_alu instid0(SALU_CYCLE_1)
	s_cmp_ge_i32 s7, s4
	s_cbranch_scc1 .LBB42_9
	s_branch .LBB42_37
.LBB42_34:                              ;   in Loop: Header=BB42_10 Depth=1
	v_cmp_eq_f32_e64 s0, v30, v33
	s_waitcnt lgkmcnt(0)
	v_cmp_lt_i32_e64 s1, v31, v28
	s_delay_alu instid0(VALU_DEP_1) | instskip(SKIP_2) | instid1(SALU_CYCLE_1)
	s_and_b32 s0, s0, s1
	s_and_not1_b32 s1, s16, exec_lo
	s_and_b32 s0, s0, exec_lo
	s_or_b32 s16, s1, s0
	s_or_b32 exec_lo, exec_lo, s17
	s_and_saveexec_b32 s0, s16
	s_cbranch_execz .LBB42_32
.LBB42_35:                              ;   in Loop: Header=BB42_10 Depth=1
	s_waitcnt lgkmcnt(0)
	v_dual_mov_b32 v29, v32 :: v_dual_mov_b32 v28, v31
	s_or_b32 exec_lo, exec_lo, s0
	s_and_saveexec_b32 s16, s2
	s_cbranch_execz .LBB42_33
.LBB42_36:                              ;   in Loop: Header=BB42_10 Depth=1
	s_delay_alu instid0(VALU_DEP_1)
	v_dual_add_f32 v37, v25, v29 :: v_dual_add_nc_u32 v30, s7, v26
	v_cmp_le_i32_e64 s0, s5, v28
	v_cmp_gt_i32_e64 s1, s6, v28
	s_waitcnt lgkmcnt(1)
	v_subrev_nc_u32_e32 v32, s5, v28
	s_waitcnt lgkmcnt(0)
	v_ashrrev_i32_e32 v31, 31, v30
	v_cndmask_b32_e32 v25, v25, v37, vcc_lo
	s_and_b32 s0, s0, s1
	s_delay_alu instid0(SALU_CYCLE_1) | instskip(NEXT) | instid1(VALU_DEP_2)
	s_and_b32 s0, s15, s0
	v_lshlrev_b64 v[30:31], 2, v[30:31]
	v_cndmask_b32_e64 v36, 0x200, v32, s0
	s_delay_alu instid0(VALU_DEP_2) | instskip(NEXT) | instid1(VALU_DEP_1)
	v_add_co_u32 v32, s0, s12, v30
	v_add_co_ci_u32_e64 v33, s0, s13, v31, s0
	v_add_co_u32 v34, s0, s8, v30
	s_delay_alu instid0(VALU_DEP_1) | instskip(SKIP_1) | instid1(VALU_DEP_1)
	v_add_co_ci_u32_e64 v35, s0, s9, v31, s0
	v_add_co_u32 v30, s0, s10, v30
	v_add_co_ci_u32_e64 v31, s0, s11, v31, s0
	global_store_b32 v[32:33], v29, off
	global_store_b32 v[34:35], v36, off
	;; [unrolled: 1-line block ×3, first 2 shown]
	s_or_b32 exec_lo, exec_lo, s16
	s_add_i32 s7, s7, 1
	s_delay_alu instid0(SALU_CYCLE_1)
	s_cmp_ge_i32 s7, s4
	s_cbranch_scc1 .LBB42_9
.LBB42_37:                              ;   in Loop: Header=BB42_10 Depth=1
	v_ashrrev_i32_e32 v29, 31, v28
	s_mov_b32 s1, exec_lo
	s_delay_alu instid0(VALU_DEP_1) | instskip(NEXT) | instid1(VALU_DEP_1)
	v_lshrrev_b32_e32 v30, 30, v29
	v_add_nc_u32_e32 v30, v28, v30
	s_waitcnt lgkmcnt(0)
	s_delay_alu instid0(VALU_DEP_1) | instskip(SKIP_1) | instid1(VALU_DEP_2)
	v_ashrrev_i32_e32 v31, 31, v30
	v_ashrrev_i32_e32 v30, 2, v30
	v_lshrrev_b32_e32 v31, 26, v31
	s_delay_alu instid0(VALU_DEP_1) | instskip(NEXT) | instid1(VALU_DEP_1)
	v_add_nc_u32_e32 v31, v30, v31
	v_and_b32_e32 v31, 0xffffffc0, v31
	s_delay_alu instid0(VALU_DEP_1) | instskip(NEXT) | instid1(VALU_DEP_1)
	v_sub_nc_u32_e32 v31, v30, v31
	v_cmpx_eq_u32_e64 v17, v31
	s_cbranch_execz .LBB42_8
; %bb.38:                               ;   in Loop: Header=BB42_10 Depth=1
	v_lshrrev_b32_e32 v29, 24, v29
	v_lshlrev_b32_e32 v30, 2, v30
	s_delay_alu instid0(VALU_DEP_2) | instskip(NEXT) | instid1(VALU_DEP_2)
	v_add_nc_u32_e32 v29, v28, v29
	v_sub_nc_u32_e32 v28, v28, v30
	s_delay_alu instid0(VALU_DEP_2) | instskip(NEXT) | instid1(VALU_DEP_1)
	v_ashrrev_i32_e32 v29, 8, v29
	v_lshl_add_u32 v28, v29, 2, v28
	s_delay_alu instid0(VALU_DEP_1) | instskip(NEXT) | instid1(VALU_DEP_1)
	v_cmp_ne_u32_e64 s0, 7, v28
	v_cndmask_b32_e64 v15, 0xc61c4000, v15, s0
	v_cmp_ne_u32_e64 s0, 6, v28
	s_delay_alu instid0(VALU_DEP_1) | instskip(SKIP_1) | instid1(VALU_DEP_1)
	v_cndmask_b32_e64 v14, 0xc61c4000, v14, s0
	v_cmp_ne_u32_e64 s0, 5, v28
	v_cndmask_b32_e64 v13, 0xc61c4000, v13, s0
	v_cmp_ne_u32_e64 s0, 4, v28
	s_delay_alu instid0(VALU_DEP_1) | instskip(SKIP_1) | instid1(VALU_DEP_1)
	v_cndmask_b32_e64 v12, 0xc61c4000, v12, s0
	;; [unrolled: 5-line block ×3, first 2 shown]
	v_cmp_ne_u32_e64 s0, 1, v28
	v_cndmask_b32_e64 v9, 0xc61c4000, v9, s0
	v_cmp_ne_u32_e64 s0, 0, v28
	s_delay_alu instid0(VALU_DEP_1)
	v_cndmask_b32_e64 v8, 0xc61c4000, v8, s0
	s_branch .LBB42_8
.LBB42_39:
                                        ; implicit-def: $vgpr8_vgpr9_vgpr10_vgpr11_vgpr12_vgpr13_vgpr14_vgpr15
	s_and_not1_b32 vcc_lo, exec_lo, s8
	s_cbranch_vccz .LBB42_5
	s_branch .LBB42_6
.LBB42_40:
	v_mov_b32_e32 v25, 0
.LBB42_41:
	v_cmp_eq_u32_e64 s0, 0, v17
	s_delay_alu instid0(VALU_DEP_1) | instskip(NEXT) | instid1(SALU_CYCLE_1)
	s_and_b32 s0, s0, vcc_lo
	s_and_b32 exec_lo, exec_lo, s0
	s_cbranch_execz .LBB42_45
; %bb.42:
	s_and_not1_b32 vcc_lo, exec_lo, s3
	s_cbranch_vccnz .LBB42_45
; %bb.43:
	v_mul_lo_u32 v0, v16, s4
	v_cmp_lt_f32_e32 vcc_lo, 0, v25
	v_cndmask_b32_e32 v2, 1.0, v25, vcc_lo
	s_delay_alu instid0(VALU_DEP_3) | instskip(NEXT) | instid1(VALU_DEP_1)
	v_ashrrev_i32_e32 v1, 31, v0
	v_lshlrev_b64 v[0:1], 2, v[0:1]
	s_delay_alu instid0(VALU_DEP_1) | instskip(NEXT) | instid1(VALU_DEP_2)
	v_add_co_u32 v0, vcc_lo, s12, v0
	v_add_co_ci_u32_e32 v1, vcc_lo, s13, v1, vcc_lo
	.p2align	6
.LBB42_44:                              ; =>This Inner Loop Header: Depth=1
	global_load_b32 v3, v[0:1], off
	s_add_i32 s4, s4, -1
	s_delay_alu instid0(SALU_CYCLE_1) | instskip(SKIP_3) | instid1(VALU_DEP_2)
	s_cmp_lg_u32 s4, 0
	s_waitcnt vmcnt(0)
	v_div_scale_f32 v4, null, v2, v2, v3
	v_div_scale_f32 v7, vcc_lo, v3, v2, v3
	v_rcp_f32_e32 v5, v4
	s_waitcnt_depctr 0xfff
	v_fma_f32 v6, -v4, v5, 1.0
	s_delay_alu instid0(VALU_DEP_1) | instskip(NEXT) | instid1(VALU_DEP_1)
	v_fmac_f32_e32 v5, v6, v5
	v_mul_f32_e32 v6, v7, v5
	s_delay_alu instid0(VALU_DEP_1) | instskip(NEXT) | instid1(VALU_DEP_1)
	v_fma_f32 v8, -v4, v6, v7
	v_fmac_f32_e32 v6, v8, v5
	s_delay_alu instid0(VALU_DEP_1) | instskip(NEXT) | instid1(VALU_DEP_1)
	v_fma_f32 v4, -v4, v6, v7
	v_div_fmas_f32 v4, v4, v5, v6
	s_delay_alu instid0(VALU_DEP_1)
	v_div_fixup_f32 v3, v4, v2, v3
	global_store_b32 v[0:1], v3, off
	v_add_co_u32 v0, vcc_lo, v0, 4
	v_add_co_ci_u32_e32 v1, vcc_lo, 0, v1, vcc_lo
	s_cbranch_scc1 .LBB42_44
.LBB42_45:
	s_nop 0
	s_sendmsg sendmsg(MSG_DEALLOC_VGPRS)
	s_endpgm
	.section	.rodata,"a",@progbits
	.p2align	6, 0x0
	.amdhsa_kernel _ZN4vllm3moe10topkGatingILi8ELi512ELi4ELi16ELi64EjfLNS0_11ScoringFuncE0EEEvPKT5_PKbPfiPT4_PiiiibPKf
		.amdhsa_group_segment_fixed_size 0
		.amdhsa_private_segment_fixed_size 0
		.amdhsa_kernarg_size 72
		.amdhsa_user_sgpr_count 15
		.amdhsa_user_sgpr_dispatch_ptr 0
		.amdhsa_user_sgpr_queue_ptr 0
		.amdhsa_user_sgpr_kernarg_segment_ptr 1
		.amdhsa_user_sgpr_dispatch_id 0
		.amdhsa_user_sgpr_private_segment_size 0
		.amdhsa_wavefront_size32 1
		.amdhsa_uses_dynamic_stack 0
		.amdhsa_enable_private_segment 0
		.amdhsa_system_sgpr_workgroup_id_x 1
		.amdhsa_system_sgpr_workgroup_id_y 0
		.amdhsa_system_sgpr_workgroup_id_z 0
		.amdhsa_system_sgpr_workgroup_info 0
		.amdhsa_system_vgpr_workitem_id 1
		.amdhsa_next_free_vgpr 40
		.amdhsa_next_free_sgpr 18
		.amdhsa_reserve_vcc 1
		.amdhsa_float_round_mode_32 0
		.amdhsa_float_round_mode_16_64 0
		.amdhsa_float_denorm_mode_32 3
		.amdhsa_float_denorm_mode_16_64 3
		.amdhsa_dx10_clamp 1
		.amdhsa_ieee_mode 1
		.amdhsa_fp16_overflow 0
		.amdhsa_workgroup_processor_mode 1
		.amdhsa_memory_ordered 1
		.amdhsa_forward_progress 0
		.amdhsa_shared_vgpr_count 0
		.amdhsa_exception_fp_ieee_invalid_op 0
		.amdhsa_exception_fp_denorm_src 0
		.amdhsa_exception_fp_ieee_div_zero 0
		.amdhsa_exception_fp_ieee_overflow 0
		.amdhsa_exception_fp_ieee_underflow 0
		.amdhsa_exception_fp_ieee_inexact 0
		.amdhsa_exception_int_div_zero 0
	.end_amdhsa_kernel
	.section	.text._ZN4vllm3moe10topkGatingILi8ELi512ELi4ELi16ELi64EjfLNS0_11ScoringFuncE0EEEvPKT5_PKbPfiPT4_PiiiibPKf,"axG",@progbits,_ZN4vllm3moe10topkGatingILi8ELi512ELi4ELi16ELi64EjfLNS0_11ScoringFuncE0EEEvPKT5_PKbPfiPT4_PiiiibPKf,comdat
.Lfunc_end42:
	.size	_ZN4vllm3moe10topkGatingILi8ELi512ELi4ELi16ELi64EjfLNS0_11ScoringFuncE0EEEvPKT5_PKbPfiPT4_PiiiibPKf, .Lfunc_end42-_ZN4vllm3moe10topkGatingILi8ELi512ELi4ELi16ELi64EjfLNS0_11ScoringFuncE0EEEvPKT5_PKbPfiPT4_PiiiibPKf
                                        ; -- End function
	.section	.AMDGPU.csdata,"",@progbits
; Kernel info:
; codeLenInByte = 3756
; NumSgprs: 20
; NumVgprs: 40
; ScratchSize: 0
; MemoryBound: 0
; FloatMode: 240
; IeeeMode: 1
; LDSByteSize: 0 bytes/workgroup (compile time only)
; SGPRBlocks: 2
; VGPRBlocks: 4
; NumSGPRsForWavesPerEU: 20
; NumVGPRsForWavesPerEU: 40
; Occupancy: 16
; WaveLimiterHint : 1
; COMPUTE_PGM_RSRC2:SCRATCH_EN: 0
; COMPUTE_PGM_RSRC2:USER_SGPR: 15
; COMPUTE_PGM_RSRC2:TRAP_HANDLER: 0
; COMPUTE_PGM_RSRC2:TGID_X_EN: 1
; COMPUTE_PGM_RSRC2:TGID_Y_EN: 0
; COMPUTE_PGM_RSRC2:TGID_Z_EN: 0
; COMPUTE_PGM_RSRC2:TIDIG_COMP_CNT: 1
	.section	.text._ZN4vllm3moe10topkGatingILi16ELi512ELi4ELi16ELi32EjfLNS0_11ScoringFuncE0EEEvPKT5_PKbPfiPT4_PiiiibPKf,"axG",@progbits,_ZN4vllm3moe10topkGatingILi16ELi512ELi4ELi16ELi32EjfLNS0_11ScoringFuncE0EEEvPKT5_PKbPfiPT4_PiiiibPKf,comdat
	.protected	_ZN4vllm3moe10topkGatingILi16ELi512ELi4ELi16ELi32EjfLNS0_11ScoringFuncE0EEEvPKT5_PKbPfiPT4_PiiiibPKf ; -- Begin function _ZN4vllm3moe10topkGatingILi16ELi512ELi4ELi16ELi32EjfLNS0_11ScoringFuncE0EEEvPKT5_PKbPfiPT4_PiiiibPKf
	.globl	_ZN4vllm3moe10topkGatingILi16ELi512ELi4ELi16ELi32EjfLNS0_11ScoringFuncE0EEEvPKT5_PKbPfiPT4_PiiiibPKf
	.p2align	8
	.type	_ZN4vllm3moe10topkGatingILi16ELi512ELi4ELi16ELi32EjfLNS0_11ScoringFuncE0EEEvPKT5_PKbPfiPT4_PiiiibPKf,@function
_ZN4vllm3moe10topkGatingILi16ELi512ELi4ELi16ELi32EjfLNS0_11ScoringFuncE0EEEvPKT5_PKbPfiPT4_PiiiibPKf: ; @_ZN4vllm3moe10topkGatingILi16ELi512ELi4ELi16ELi32EjfLNS0_11ScoringFuncE0EEEvPKT5_PKbPfiPT4_PiiiibPKf
; %bb.0:
	s_load_b32 s14, s[0:1], 0x18
	v_and_b32_e32 v1, 0x3ff, v0
	v_bfe_u32 v0, v0, 10, 10
	s_lshl_b32 s2, s15, 2
	s_delay_alu instid0(VALU_DEP_2) | instskip(NEXT) | instid1(VALU_DEP_1)
	v_lshrrev_b32_e32 v2, 5, v1
	v_add3_u32 v32, s2, v0, v2
	s_mov_b32 s2, exec_lo
	s_waitcnt lgkmcnt(0)
	s_delay_alu instid0(VALU_DEP_1)
	v_cmpx_gt_i32_e64 s14, v32
	s_cbranch_execz .LBB43_41
; %bb.1:
	s_clause 0x1
	s_load_b128 s[4:7], s[0:1], 0x0
	s_load_b64 s[12:13], s[0:1], 0x10
	s_mov_b32 s8, -1
	s_mov_b32 s15, -1
	s_waitcnt lgkmcnt(0)
	s_cmp_eq_u64 s[6:7], 0
	s_cbranch_scc1 .LBB43_3
; %bb.2:
	v_ashrrev_i32_e32 v0, 31, v32
	v_add_co_u32 v2, vcc_lo, s6, v32
	s_delay_alu instid0(VALU_DEP_2) | instskip(SKIP_3) | instid1(VALU_DEP_1)
	v_add_co_ci_u32_e32 v3, vcc_lo, s7, v0, vcc_lo
	global_load_u8 v0, v[2:3], off
	s_waitcnt vmcnt(0)
	v_and_b32_e32 v0, 1, v0
	v_cmp_eq_u32_e32 vcc_lo, 1, v0
	s_xor_b32 s2, vcc_lo, -1
	s_delay_alu instid0(SALU_CYCLE_1)
	s_or_not1_b32 s15, s2, exec_lo
.LBB43_3:
	v_lshlrev_b32_e32 v2, 9, v32
	v_and_b32_e32 v33, 31, v1
	s_load_b64 s[2:3], s[0:1], 0x40
	s_delay_alu instid0(VALU_DEP_2) | instskip(NEXT) | instid1(VALU_DEP_1)
	v_ashrrev_i32_e32 v3, 31, v2
	v_lshlrev_b64 v[0:1], 2, v[2:3]
	s_delay_alu instid0(VALU_DEP_3) | instskip(NEXT) | instid1(VALU_DEP_2)
	v_lshlrev_b32_e32 v2, 4, v33
	v_add_co_u32 v0, vcc_lo, s4, v0
	s_delay_alu instid0(VALU_DEP_3) | instskip(NEXT) | instid1(VALU_DEP_2)
	v_add_co_ci_u32_e32 v1, vcc_lo, s5, v1, vcc_lo
	v_add_co_u32 v12, vcc_lo, v0, v2
	s_delay_alu instid0(VALU_DEP_2)
	v_add_co_ci_u32_e32 v13, vcc_lo, 0, v1, vcc_lo
	s_waitcnt lgkmcnt(0)
	s_cmp_eq_u64 s[2:3], 0
	s_clause 0x3
	global_load_b128 v[0:3], v[12:13], off
	global_load_b128 v[4:7], v[12:13], off offset:512
	global_load_b128 v[8:11], v[12:13], off offset:1024
	;; [unrolled: 1-line block ×3, first 2 shown]
	s_waitcnt vmcnt(3)
	v_dual_max_f32 v17, v0, v0 :: v_dual_max_f32 v16, v1, v1
	s_delay_alu instid0(VALU_DEP_1) | instskip(SKIP_1) | instid1(VALU_DEP_2)
	v_max_f32_e32 v16, v17, v16
	v_mbcnt_lo_u32_b32 v17, -1, 0
	v_max3_f32 v16, v16, v2, v3
	s_delay_alu instid0(VALU_DEP_2) | instskip(SKIP_2) | instid1(VALU_DEP_3)
	v_xor_b32_e32 v18, 16, v17
	v_xor_b32_e32 v19, 8, v17
	s_waitcnt vmcnt(2)
	v_max3_f32 v16, v16, v4, v5
	s_delay_alu instid0(VALU_DEP_3) | instskip(NEXT) | instid1(VALU_DEP_2)
	v_cmp_gt_i32_e32 vcc_lo, 32, v18
	v_max3_f32 v16, v16, v6, v7
	v_cndmask_b32_e32 v18, v17, v18, vcc_lo
	v_cmp_gt_i32_e32 vcc_lo, 32, v19
	s_waitcnt vmcnt(1)
	s_delay_alu instid0(VALU_DEP_3) | instskip(SKIP_1) | instid1(VALU_DEP_2)
	v_max3_f32 v16, v16, v8, v9
	v_cndmask_b32_e32 v19, v17, v19, vcc_lo
	v_max3_f32 v16, v16, v10, v11
	s_delay_alu instid0(VALU_DEP_2) | instskip(SKIP_2) | instid1(VALU_DEP_3)
	v_lshlrev_b32_e32 v35, 2, v19
	v_xor_b32_e32 v19, 4, v17
	s_waitcnt vmcnt(0)
	v_max3_f32 v16, v16, v12, v13
	s_delay_alu instid0(VALU_DEP_2) | instskip(NEXT) | instid1(VALU_DEP_2)
	v_cmp_gt_i32_e32 vcc_lo, 32, v19
	v_max3_f32 v16, v16, v14, v15
	v_cndmask_b32_e32 v19, v17, v19, vcc_lo
	s_delay_alu instid0(VALU_DEP_1) | instskip(SKIP_1) | instid1(VALU_DEP_1)
	v_lshlrev_b32_e32 v36, 2, v19
	v_xor_b32_e32 v19, 2, v17
	v_cmp_gt_i32_e32 vcc_lo, 32, v19
	v_cndmask_b32_e32 v19, v17, v19, vcc_lo
	s_delay_alu instid0(VALU_DEP_1) | instskip(SKIP_1) | instid1(VALU_DEP_1)
	v_lshlrev_b32_e32 v37, 2, v19
	v_xor_b32_e32 v19, 1, v17
	v_cmp_gt_i32_e32 vcc_lo, 32, v19
	v_dual_cndmask_b32 v17, v17, v19 :: v_dual_lshlrev_b32 v34, 2, v18
	ds_bpermute_b32 v18, v34, v16
	v_lshlrev_b32_e32 v38, 2, v17
	s_waitcnt lgkmcnt(0)
	v_max_f32_e32 v18, v18, v18
	s_delay_alu instid0(VALU_DEP_1) | instskip(SKIP_3) | instid1(VALU_DEP_1)
	v_max_f32_e32 v16, v16, v18
	ds_bpermute_b32 v18, v35, v16
	s_waitcnt lgkmcnt(0)
	v_max_f32_e32 v18, v18, v18
	v_max_f32_e32 v16, v16, v18
	ds_bpermute_b32 v18, v36, v16
	s_waitcnt lgkmcnt(0)
	v_max_f32_e32 v18, v18, v18
	s_delay_alu instid0(VALU_DEP_1) | instskip(SKIP_3) | instid1(VALU_DEP_1)
	v_max_f32_e32 v16, v16, v18
	ds_bpermute_b32 v18, v37, v16
	s_waitcnt lgkmcnt(0)
	v_max_f32_e32 v18, v18, v18
	v_max_f32_e32 v16, v16, v18
	ds_bpermute_b32 v17, v38, v16
	s_waitcnt lgkmcnt(0)
	v_max_f32_e32 v17, v17, v17
	s_delay_alu instid0(VALU_DEP_1) | instskip(NEXT) | instid1(VALU_DEP_1)
	v_max_f32_e32 v16, v16, v17
	v_sub_f32_e32 v11, v11, v16
	s_delay_alu instid0(VALU_DEP_1) | instskip(SKIP_4) | instid1(VALU_DEP_4)
	v_mul_f32_e32 v27, 0x3fb8aa3b, v11
	v_sub_f32_e32 v3, v3, v16
	v_sub_f32_e32 v1, v1, v16
	v_sub_f32_e32 v5, v5, v16
	v_sub_f32_e32 v15, v15, v16
	v_dual_sub_f32 v4, v4, v16 :: v_dual_mul_f32 v19, 0x3fb8aa3b, v3
	s_delay_alu instid0(VALU_DEP_4) | instskip(NEXT) | instid1(VALU_DEP_4)
	v_mul_f32_e32 v17, 0x3fb8aa3b, v1
	v_mul_f32_e32 v21, 0x3fb8aa3b, v5
	v_rndne_f32_e32 v62, v27
	s_delay_alu instid0(VALU_DEP_4)
	v_rndne_f32_e32 v46, v19
	v_sub_f32_e32 v14, v14, v16
	v_fma_f32 v41, 0x3fb8aa3b, v1, -v17
	v_sub_f32_e32 v6, v6, v16
	v_fma_f32 v45, 0x3fb8aa3b, v3, -v19
	v_sub_f32_e32 v19, v19, v46
	v_dual_sub_f32 v13, v13, v16 :: v_dual_mul_f32 v30, 0x3fb8aa3b, v14
	v_dual_sub_f32 v2, v2, v16 :: v_dual_fmac_f32 v41, 0x32a5705f, v1
	v_dual_sub_f32 v9, v9, v16 :: v_dual_mul_f32 v22, 0x3fb8aa3b, v6
	s_delay_alu instid0(VALU_DEP_3) | instskip(NEXT) | instid1(VALU_DEP_3)
	v_dual_sub_f32 v0, v0, v16 :: v_dual_mul_f32 v29, 0x3fb8aa3b, v13
	v_dual_sub_f32 v7, v7, v16 :: v_dual_mul_f32 v18, 0x3fb8aa3b, v2
	v_dual_sub_f32 v12, v12, v16 :: v_dual_fmac_f32 v45, 0x32a5705f, v3
	s_delay_alu instid0(VALU_DEP_4)
	v_mul_f32_e32 v25, 0x3fb8aa3b, v9
	v_rndne_f32_e32 v42, v17
	v_sub_f32_e32 v8, v8, v16
	v_fma_f32 v43, 0x3fb8aa3b, v2, -v18
	v_sub_f32_e32 v10, v10, v16
	v_rndne_f32_e32 v50, v21
	v_mul_f32_e32 v16, 0x3fb8aa3b, v0
	v_rndne_f32_e32 v44, v18
	v_fma_f32 v49, 0x3fb8aa3b, v5, -v21
	v_fma_f32 v51, 0x3fb8aa3b, v6, -v22
	v_sub_f32_e32 v21, v21, v50
	v_fma_f32 v39, 0x3fb8aa3b, v0, -v16
	v_rndne_f32_e32 v40, v16
	v_rndne_f32_e32 v58, v25
	v_dual_sub_f32 v17, v17, v42 :: v_dual_mul_f32 v24, 0x3fb8aa3b, v8
	v_fmac_f32_e32 v43, 0x32a5705f, v2
	v_mul_f32_e32 v26, 0x3fb8aa3b, v10
	v_fma_f32 v57, 0x3fb8aa3b, v9, -v25
	v_sub_f32_e32 v25, v25, v58
	v_rndne_f32_e32 v56, v24
	v_dual_sub_f32 v16, v16, v40 :: v_dual_fmac_f32 v49, 0x32a5705f, v5
	v_fma_f32 v59, 0x3fb8aa3b, v10, -v26
	v_rndne_f32_e32 v60, v26
	v_dual_sub_f32 v18, v18, v44 :: v_dual_fmac_f32 v51, 0x32a5705f, v6
	v_fmac_f32_e32 v39, 0x32a5705f, v0
	v_fma_f32 v55, 0x3fb8aa3b, v8, -v24
	v_fma_f32 v61, 0x3fb8aa3b, v11, -v27
	s_delay_alu instid0(VALU_DEP_4)
	v_add_f32_e32 v18, v18, v43
	v_rndne_f32_e32 v66, v29
	v_fma_f32 v67, 0x3fb8aa3b, v14, -v30
	v_rndne_f32_e32 v68, v30
	v_dual_sub_f32 v24, v24, v56 :: v_dual_fmac_f32 v59, 0x32a5705f, v10
	v_dual_sub_f32 v26, v26, v60 :: v_dual_fmac_f32 v61, 0x32a5705f, v11
	v_add_f32_e32 v16, v16, v39
	v_fma_f32 v65, 0x3fb8aa3b, v13, -v29
	v_dual_sub_f32 v29, v29, v66 :: v_dual_sub_f32 v30, v30, v68
	s_delay_alu instid0(VALU_DEP_4) | instskip(SKIP_3) | instid1(VALU_DEP_3)
	v_dual_fmac_f32 v67, 0x32a5705f, v14 :: v_dual_add_f32 v26, v26, v59
	v_add_f32_e32 v17, v17, v41
	v_exp_f32_e32 v16, v16
	v_mul_f32_e32 v31, 0x3fb8aa3b, v15
	v_add_f32_e32 v30, v30, v67
	v_cvt_i32_f32_e32 v40, v40
	v_exp_f32_e32 v17, v17
	v_mul_f32_e32 v23, 0x3fb8aa3b, v7
	v_fma_f32 v69, 0x3fb8aa3b, v15, -v31
	v_cvt_i32_f32_e32 v42, v42
	v_exp_f32_e32 v18, v18
	v_cmp_ngt_f32_e32 vcc_lo, 0xc2ce8ed0, v0
	v_ldexp_f32 v16, v16, v40
	v_rndne_f32_e32 v54, v23
	v_mul_f32_e32 v20, 0x3fb8aa3b, v4
	v_cvt_i32_f32_e32 v44, v44
	s_delay_alu instid0(VALU_DEP_4)
	v_dual_fmac_f32 v69, 0x32a5705f, v15 :: v_dual_cndmask_b32 v16, 0, v16
	v_ldexp_f32 v17, v17, v42
	v_cmp_ngt_f32_e32 vcc_lo, 0xc2ce8ed0, v1
	v_rndne_f32_e32 v52, v22
	v_fma_f32 v53, 0x3fb8aa3b, v7, -v23
	v_sub_f32_e32 v23, v23, v54
	v_fma_f32 v47, 0x3fb8aa3b, v4, -v20
	v_rndne_f32_e32 v48, v20
	v_ldexp_f32 v18, v18, v44
	v_cndmask_b32_e32 v17, 0, v17, vcc_lo
	v_cmp_ngt_f32_e32 vcc_lo, 0xc2ce8ed0, v2
	s_delay_alu instid0(VALU_DEP_4) | instskip(SKIP_3) | instid1(VALU_DEP_4)
	v_dual_add_f32 v19, v19, v45 :: v_dual_sub_f32 v20, v20, v48
	v_dual_fmac_f32 v53, 0x32a5705f, v7 :: v_dual_sub_f32 v22, v22, v52
	v_fmac_f32_e32 v57, 0x32a5705f, v9
	v_dual_fmac_f32 v47, 0x32a5705f, v4 :: v_dual_cndmask_b32 v18, 0, v18
	v_exp_f32_e32 v19, v19
	s_delay_alu instid0(VALU_DEP_3)
	v_add_f32_e32 v22, v22, v51
	v_cmp_nlt_f32_e32 vcc_lo, 0x42b17218, v0
	v_cvt_i32_f32_e32 v46, v46
	v_dual_fmac_f32 v55, 0x32a5705f, v8 :: v_dual_add_f32 v20, v20, v47
	v_dual_add_f32 v21, v21, v49 :: v_dual_cndmask_b32 v0, 0x7f800000, v16
	v_cmp_nlt_f32_e32 vcc_lo, 0x42b17218, v1
	v_dual_mul_f32 v28, 0x3fb8aa3b, v12 :: v_dual_sub_f32 v27, v27, v62
	s_delay_alu instid0(VALU_DEP_4) | instskip(NEXT) | instid1(TRANS32_DEP_2)
	v_exp_f32_e32 v20, v20
	v_ldexp_f32 v19, v19, v46
	v_cndmask_b32_e32 v1, 0x7f800000, v17, vcc_lo
	v_cmp_ngt_f32_e32 vcc_lo, 0xc2ce8ed0, v3
	v_fma_f32 v63, 0x3fb8aa3b, v12, -v28
	v_cvt_i32_f32_e32 v48, v48
	v_dual_add_f32 v23, v23, v53 :: v_dual_add_f32 v24, v24, v55
	v_cndmask_b32_e32 v16, 0, v19, vcc_lo
	v_cmp_nlt_f32_e32 vcc_lo, 0x42b17218, v2
	v_fmac_f32_e32 v63, 0x32a5705f, v12
	v_add_f32_e32 v25, v25, v57
	v_exp_f32_e32 v21, v21
	v_exp_f32_e32 v22, v22
	v_cndmask_b32_e32 v2, 0x7f800000, v18, vcc_lo
	v_ldexp_f32 v20, v20, v48
	v_cmp_ngt_f32_e32 vcc_lo, 0xc2ce8ed0, v4
	v_rndne_f32_e32 v64, v28
	v_rndne_f32_e32 v70, v31
	v_cvt_i32_f32_e32 v50, v50
	v_cvt_i32_f32_e32 v52, v52
	v_dual_add_f32 v27, v27, v61 :: v_dual_cndmask_b32 v18, 0, v20
	v_exp_f32_e32 v24, v24
	v_cmp_nlt_f32_e32 vcc_lo, 0x42b17218, v3
	v_cvt_i32_f32_e32 v56, v56
	v_dual_sub_f32 v28, v28, v64 :: v_dual_fmac_f32 v65, 0x32a5705f, v13
	v_sub_f32_e32 v31, v31, v70
	v_ldexp_f32 v21, v21, v50
	v_ldexp_f32 v22, v22, v52
	s_delay_alu instid0(VALU_DEP_4)
	v_add_f32_e32 v28, v28, v63
	v_add_f32_e32 v17, v0, v1
	v_cndmask_b32_e32 v3, 0x7f800000, v16, vcc_lo
	v_cmp_ngt_f32_e32 vcc_lo, 0xc2ce8ed0, v5
	v_add_f32_e32 v31, v31, v69
	v_ldexp_f32 v24, v24, v56
	v_add_f32_e32 v16, v17, v2
	v_exp_f32_e32 v23, v23
	v_cndmask_b32_e32 v17, 0, v21, vcc_lo
	v_cmp_nlt_f32_e32 vcc_lo, 0x42b17218, v4
	v_add_f32_e32 v29, v29, v65
	v_cvt_i32_f32_e32 v54, v54
	v_exp_f32_e32 v26, v26
	v_cvt_i32_f32_e32 v60, v60
	v_cndmask_b32_e32 v4, 0x7f800000, v18, vcc_lo
	v_cmp_ngt_f32_e32 vcc_lo, 0xc2ce8ed0, v6
	v_exp_f32_e32 v25, v25
	v_ldexp_f32 v23, v23, v54
	v_add_f32_e32 v16, v16, v3
	v_cvt_i32_f32_e32 v58, v58
	v_cndmask_b32_e32 v18, 0, v22, vcc_lo
	v_cmp_nlt_f32_e32 vcc_lo, 0x42b17218, v5
	v_ldexp_f32 v26, v26, v60
	v_dual_add_f32 v16, v16, v4 :: v_dual_lshlrev_b32 v39, 2, v33
	v_exp_f32_e32 v27, v27
	v_cndmask_b32_e32 v5, 0x7f800000, v17, vcc_lo
	v_cmp_ngt_f32_e32 vcc_lo, 0xc2ce8ed0, v7
	v_ldexp_f32 v25, v25, v58
	v_cvt_i32_f32_e32 v62, v62
	v_exp_f32_e32 v28, v28
	v_dual_add_f32 v16, v16, v5 :: v_dual_cndmask_b32 v17, 0, v23
	v_cmp_nlt_f32_e32 vcc_lo, 0x42b17218, v6
	v_cvt_i32_f32_e32 v64, v64
	s_delay_alu instid0(TRANS32_DEP_2) | instskip(SKIP_4) | instid1(TRANS32_DEP_2)
	v_ldexp_f32 v27, v27, v62
	v_exp_f32_e32 v29, v29
	v_cvt_i32_f32_e32 v66, v66
	v_cndmask_b32_e32 v6, 0x7f800000, v18, vcc_lo
	v_cmp_ngt_f32_e32 vcc_lo, 0xc2ce8ed0, v8
	v_ldexp_f32 v28, v28, v64
	v_exp_f32_e32 v30, v30
	v_cvt_i32_f32_e32 v68, v68
	v_add_f32_e32 v16, v16, v6
	v_cndmask_b32_e32 v18, 0, v24, vcc_lo
	v_cmp_nlt_f32_e32 vcc_lo, 0x42b17218, v7
	v_ldexp_f32 v29, v29, v66
	v_exp_f32_e32 v31, v31
	v_cvt_i32_f32_e32 v70, v70
	v_cndmask_b32_e32 v7, 0x7f800000, v17, vcc_lo
	v_cmp_ngt_f32_e32 vcc_lo, 0xc2ce8ed0, v9
	v_ldexp_f32 v30, v30, v68
	s_delay_alu instid0(VALU_DEP_3) | instskip(SKIP_1) | instid1(TRANS32_DEP_1)
	v_dual_add_f32 v16, v16, v7 :: v_dual_cndmask_b32 v17, 0, v25
	v_cmp_nlt_f32_e32 vcc_lo, 0x42b17218, v8
	v_ldexp_f32 v31, v31, v70
	v_cndmask_b32_e32 v8, 0x7f800000, v18, vcc_lo
	v_cmp_ngt_f32_e32 vcc_lo, 0xc2ce8ed0, v10
	s_delay_alu instid0(VALU_DEP_2) | instskip(SKIP_4) | instid1(VALU_DEP_2)
	v_add_f32_e32 v16, v16, v8
	v_cndmask_b32_e32 v18, 0, v26, vcc_lo
	v_cmp_nlt_f32_e32 vcc_lo, 0x42b17218, v9
	v_cndmask_b32_e32 v9, 0x7f800000, v17, vcc_lo
	v_cmp_ngt_f32_e32 vcc_lo, 0xc2ce8ed0, v11
	v_dual_add_f32 v16, v16, v9 :: v_dual_cndmask_b32 v17, 0, v27
	v_cmp_nlt_f32_e32 vcc_lo, 0x42b17218, v10
	v_cndmask_b32_e32 v10, 0x7f800000, v18, vcc_lo
	v_cmp_ngt_f32_e32 vcc_lo, 0xc2ce8ed0, v12
	s_delay_alu instid0(VALU_DEP_2)
	v_add_f32_e32 v16, v16, v10
	v_cndmask_b32_e32 v18, 0, v28, vcc_lo
	v_cmp_nlt_f32_e32 vcc_lo, 0x42b17218, v11
	v_cndmask_b32_e32 v11, 0x7f800000, v17, vcc_lo
	v_cmp_ngt_f32_e32 vcc_lo, 0xc2ce8ed0, v13
	v_cndmask_b32_e32 v17, 0, v29, vcc_lo
	v_cmp_nlt_f32_e32 vcc_lo, 0x42b17218, v12
	v_cndmask_b32_e32 v12, 0x7f800000, v18, vcc_lo
	v_cmp_ngt_f32_e32 vcc_lo, 0xc2ce8ed0, v14
	v_cndmask_b32_e32 v18, 0, v30, vcc_lo
	v_cmp_nlt_f32_e32 vcc_lo, 0x42b17218, v13
	v_dual_add_f32 v16, v16, v11 :: v_dual_cndmask_b32 v13, 0x7f800000, v17
	v_cmp_ngt_f32_e32 vcc_lo, 0xc2ce8ed0, v15
	s_delay_alu instid0(VALU_DEP_2) | instskip(SKIP_1) | instid1(VALU_DEP_2)
	v_dual_add_f32 v16, v16, v12 :: v_dual_cndmask_b32 v17, 0, v31
	v_cmp_nlt_f32_e32 vcc_lo, 0x42b17218, v14
	v_add_f32_e32 v16, v16, v13
	v_cndmask_b32_e32 v14, 0x7f800000, v18, vcc_lo
	v_cmp_nlt_f32_e32 vcc_lo, 0x42b17218, v15
	s_delay_alu instid0(VALU_DEP_2) | instskip(NEXT) | instid1(VALU_DEP_1)
	v_dual_add_f32 v16, v16, v14 :: v_dual_cndmask_b32 v15, 0x7f800000, v17
	v_add_f32_e32 v16, v16, v15
	ds_bpermute_b32 v17, v34, v16
	s_waitcnt lgkmcnt(0)
	v_add_f32_e32 v16, v16, v17
	ds_bpermute_b32 v17, v35, v16
	s_waitcnt lgkmcnt(0)
	;; [unrolled: 3-line block ×5, first 2 shown]
	v_add_f32_e32 v16, v16, v17
	s_delay_alu instid0(VALU_DEP_1) | instskip(SKIP_1) | instid1(VALU_DEP_2)
	v_div_scale_f32 v17, null, v16, v16, 1.0
	v_div_scale_f32 v20, vcc_lo, 1.0, v16, 1.0
	v_rcp_f32_e32 v18, v17
	s_waitcnt_depctr 0xfff
	v_fma_f32 v19, -v17, v18, 1.0
	s_delay_alu instid0(VALU_DEP_1) | instskip(NEXT) | instid1(VALU_DEP_1)
	v_fmac_f32_e32 v18, v19, v18
	v_mul_f32_e32 v19, v20, v18
	s_delay_alu instid0(VALU_DEP_1) | instskip(NEXT) | instid1(VALU_DEP_1)
	v_fma_f32 v21, -v17, v19, v20
	v_fmac_f32_e32 v19, v21, v18
	s_delay_alu instid0(VALU_DEP_1) | instskip(NEXT) | instid1(VALU_DEP_1)
	v_fma_f32 v17, -v17, v19, v20
	v_div_fmas_f32 v17, v17, v18, v19
	s_delay_alu instid0(VALU_DEP_1) | instskip(NEXT) | instid1(VALU_DEP_1)
	v_div_fixup_f32 v16, v17, v16, 1.0
	v_mul_f32_e32 v5, v16, v5
	v_mul_f32_e32 v0, v16, v0
	;; [unrolled: 1-line block ×6, first 2 shown]
	v_cmp_class_f32_e64 vcc_lo, v0, 0x1f8
	v_mul_f32_e32 v13, v16, v13
	v_mul_f32_e32 v4, v16, v4
	;; [unrolled: 1-line block ×3, first 2 shown]
	v_dual_mul_f32 v7, v16, v7 :: v_dual_cndmask_b32 v0, 0, v0
	v_cmp_class_f32_e64 vcc_lo, v1, 0x1f8
	v_mul_f32_e32 v8, v16, v8
	v_mul_f32_e32 v10, v16, v10
	;; [unrolled: 1-line block ×3, first 2 shown]
	v_dual_mul_f32 v14, v16, v14 :: v_dual_cndmask_b32 v1, 0, v1
	v_cmp_class_f32_e64 vcc_lo, v2, 0x1f8
	v_dual_mul_f32 v11, v16, v11 :: v_dual_cndmask_b32 v2, 0, v2
	v_cmp_class_f32_e64 vcc_lo, v3, 0x1f8
	v_cndmask_b32_e32 v3, 0, v3, vcc_lo
	v_cmp_class_f32_e64 vcc_lo, v4, 0x1f8
	v_cndmask_b32_e32 v4, 0, v4, vcc_lo
	;; [unrolled: 2-line block ×3, first 2 shown]
	v_cmp_class_f32_e64 vcc_lo, v6, 0x1f8
	v_dual_mul_f32 v15, v16, v15 :: v_dual_cndmask_b32 v6, 0, v6
	v_cmp_class_f32_e64 vcc_lo, v7, 0x1f8
	v_cndmask_b32_e32 v7, 0, v7, vcc_lo
	v_cmp_class_f32_e64 vcc_lo, v8, 0x1f8
	v_cndmask_b32_e32 v8, 0, v8, vcc_lo
	v_cmp_class_f32_e64 vcc_lo, v9, 0x1f8
	v_cndmask_b32_e32 v9, 0, v9, vcc_lo
	v_cmp_class_f32_e64 vcc_lo, v10, 0x1f8
	v_cndmask_b32_e32 v10, 0, v10, vcc_lo
	v_cmp_class_f32_e64 vcc_lo, v11, 0x1f8
	v_cndmask_b32_e32 v11, 0, v11, vcc_lo
	v_cmp_class_f32_e64 vcc_lo, v12, 0x1f8
	v_cndmask_b32_e32 v12, 0, v12, vcc_lo
	v_cmp_class_f32_e64 vcc_lo, v13, 0x1f8
	v_cndmask_b32_e32 v13, 0, v13, vcc_lo
	v_cmp_class_f32_e64 vcc_lo, v14, 0x1f8
	v_cndmask_b32_e32 v14, 0, v14, vcc_lo
	v_cmp_class_f32_e64 vcc_lo, v15, 0x1f8
	v_cndmask_b32_e32 v15, 0, v15, vcc_lo
	s_cbranch_scc1 .LBB43_35
; %bb.4:
	v_lshlrev_b32_e32 v28, 2, v39
	s_clause 0x3
	global_load_b128 v[16:19], v28, s[2:3]
	global_load_b128 v[20:23], v28, s[2:3] offset:512
	global_load_b128 v[24:27], v28, s[2:3] offset:1024
	;; [unrolled: 1-line block ×3, first 2 shown]
	s_waitcnt vmcnt(3)
	v_dual_add_f32 v17, v17, v1 :: v_dual_add_f32 v16, v16, v0
	v_dual_add_f32 v19, v19, v3 :: v_dual_add_f32 v18, v18, v2
	s_waitcnt vmcnt(2)
	v_dual_add_f32 v21, v21, v5 :: v_dual_add_f32 v20, v20, v4
	v_dual_add_f32 v23, v23, v7 :: v_dual_add_f32 v22, v22, v6
	;; [unrolled: 3-line block ×4, first 2 shown]
	s_cbranch_execnz .LBB43_6
.LBB43_5:
	v_dual_mov_b32 v31, v15 :: v_dual_mov_b32 v30, v14
	v_dual_mov_b32 v29, v13 :: v_dual_mov_b32 v28, v12
	v_dual_mov_b32 v27, v11 :: v_dual_mov_b32 v26, v10
	v_dual_mov_b32 v25, v9 :: v_dual_mov_b32 v24, v8
	v_dual_mov_b32 v23, v7 :: v_dual_mov_b32 v22, v6
	v_dual_mov_b32 v21, v5 :: v_dual_mov_b32 v20, v4
	v_dual_mov_b32 v19, v3 :: v_dual_mov_b32 v18, v2
	v_dual_mov_b32 v17, v1 :: v_dual_mov_b32 v16, v0
.LBB43_6:
	s_load_b128 s[4:7], s[0:1], 0x30
	v_cmp_eq_u32_e64 s2, 0, v33
	s_waitcnt lgkmcnt(0)
	s_bitcmp1_b32 s7, 0
	s_mov_b32 s7, 0
	s_cselect_b32 vcc_lo, -1, 0
	s_cmp_gt_i32 s4, 0
	s_cselect_b32 s3, -1, 0
	s_cmp_lt_i32 s4, 1
	s_cbranch_scc1 .LBB43_36
; %bb.7:
	s_load_b128 s[8:11], s[0:1], 0x20
	v_mul_lo_u32 v41, v32, s4
	v_mov_b32_e32 v40, 0
	v_mov_b32_e32 v42, v32
	s_branch .LBB43_10
.LBB43_8:                               ;   in Loop: Header=BB43_10 Depth=1
	s_or_b32 exec_lo, exec_lo, s1
.LBB43_9:                               ;   in Loop: Header=BB43_10 Depth=1
	v_add_nc_u32_e32 v42, s14, v42
	s_cmp_eq_u32 s4, s7
	s_cbranch_scc1 .LBB43_37
.LBB43_10:                              ; =>This Inner Loop Header: Depth=1
	v_cmp_gt_f32_e64 s0, v17, v16
	s_mov_b32 s17, exec_lo
	s_delay_alu instid0(VALU_DEP_1) | instskip(SKIP_2) | instid1(VALU_DEP_3)
	v_cndmask_b32_e64 v43, v16, v17, s0
	v_cndmask_b32_e64 v44, 0, 1, s0
	;; [unrolled: 1-line block ×3, first 2 shown]
	v_cmp_gt_f32_e64 s1, v18, v43
	s_delay_alu instid0(VALU_DEP_1) | instskip(NEXT) | instid1(VALU_DEP_4)
	v_cndmask_b32_e64 v43, v43, v18, s1
	v_cndmask_b32_e64 v44, v44, 2, s1
	s_delay_alu instid0(VALU_DEP_4) | instskip(NEXT) | instid1(VALU_DEP_3)
	v_cndmask_b32_e64 v45, v45, v2, s1
	v_cmp_gt_f32_e64 s0, v19, v43
	s_delay_alu instid0(VALU_DEP_1) | instskip(NEXT) | instid1(VALU_DEP_4)
	v_cndmask_b32_e64 v43, v43, v19, s0
	v_cndmask_b32_e64 v44, v44, 3, s0
	s_delay_alu instid0(VALU_DEP_4) | instskip(NEXT) | instid1(VALU_DEP_3)
	v_cndmask_b32_e64 v45, v45, v3, s0
	;; [unrolled: 6-line block ×12, first 2 shown]
	v_cmp_gt_f32_e64 s1, v30, v43
	s_delay_alu instid0(VALU_DEP_1) | instskip(NEXT) | instid1(VALU_DEP_4)
	v_cndmask_b32_e64 v43, v43, v30, s1
	v_cndmask_b32_e64 v44, v44, 0x182, s1
	s_waitcnt lgkmcnt(0)
	v_cndmask_b32_e64 v46, v45, v14, s1
	s_delay_alu instid0(VALU_DEP_3) | instskip(NEXT) | instid1(VALU_DEP_1)
	v_cmp_gt_f32_e64 s0, v31, v43
	v_cndmask_b32_e64 v45, v43, v31, s0
	v_cndmask_b32_e64 v43, v44, 0x183, s0
	s_delay_alu instid0(VALU_DEP_4)
	v_cndmask_b32_e64 v44, v46, v15, s0
	ds_bpermute_b32 v46, v34, v45
	v_or_b32_e32 v43, v39, v43
	ds_bpermute_b32 v48, v34, v44
	ds_bpermute_b32 v47, v34, v43
	s_waitcnt lgkmcnt(0)
	v_cmp_lt_f32_e64 s16, v45, v46
	v_cmpx_nlt_f32_e32 v45, v46
; %bb.11:                               ;   in Loop: Header=BB43_10 Depth=1
	v_cmp_eq_f32_e64 s0, v45, v46
	v_cmp_lt_i32_e64 s1, v47, v43
	s_delay_alu instid0(VALU_DEP_1) | instskip(SKIP_2) | instid1(SALU_CYCLE_1)
	s_and_b32 s0, s0, s1
	s_and_not1_b32 s1, s16, exec_lo
	s_and_b32 s0, s0, exec_lo
	s_or_b32 s16, s1, s0
; %bb.12:                               ;   in Loop: Header=BB43_10 Depth=1
	s_or_b32 exec_lo, exec_lo, s17
	s_and_saveexec_b32 s0, s16
; %bb.13:                               ;   in Loop: Header=BB43_10 Depth=1
	v_dual_mov_b32 v44, v48 :: v_dual_mov_b32 v45, v46
	v_mov_b32_e32 v43, v47
; %bb.14:                               ;   in Loop: Header=BB43_10 Depth=1
	s_or_b32 exec_lo, exec_lo, s0
	ds_bpermute_b32 v47, v35, v45
	ds_bpermute_b32 v48, v35, v44
	ds_bpermute_b32 v46, v35, v43
	s_mov_b32 s17, exec_lo
	s_waitcnt lgkmcnt(2)
	v_cmp_lt_f32_e64 s16, v45, v47
	v_cmpx_nlt_f32_e32 v45, v47
	s_cbranch_execz .LBB43_16
; %bb.15:                               ;   in Loop: Header=BB43_10 Depth=1
	v_cmp_eq_f32_e64 s0, v45, v47
	s_waitcnt lgkmcnt(0)
	v_cmp_lt_i32_e64 s1, v46, v43
	s_delay_alu instid0(VALU_DEP_1) | instskip(SKIP_2) | instid1(SALU_CYCLE_1)
	s_and_b32 s0, s0, s1
	s_and_not1_b32 s1, s16, exec_lo
	s_and_b32 s0, s0, exec_lo
	s_or_b32 s16, s1, s0
.LBB43_16:                              ;   in Loop: Header=BB43_10 Depth=1
	s_or_b32 exec_lo, exec_lo, s17
	s_delay_alu instid0(VALU_DEP_2)
	s_and_saveexec_b32 s0, s16
	s_cbranch_execz .LBB43_18
; %bb.17:                               ;   in Loop: Header=BB43_10 Depth=1
	s_waitcnt lgkmcnt(1)
	v_dual_mov_b32 v44, v48 :: v_dual_mov_b32 v45, v47
	s_waitcnt lgkmcnt(0)
	v_mov_b32_e32 v43, v46
.LBB43_18:                              ;   in Loop: Header=BB43_10 Depth=1
	s_or_b32 exec_lo, exec_lo, s0
	ds_bpermute_b32 v47, v36, v45
	s_waitcnt lgkmcnt(2)
	ds_bpermute_b32 v48, v36, v44
	s_waitcnt lgkmcnt(2)
	ds_bpermute_b32 v46, v36, v43
	s_mov_b32 s17, exec_lo
	s_waitcnt lgkmcnt(2)
	v_cmp_lt_f32_e64 s16, v45, v47
	v_cmpx_nlt_f32_e32 v45, v47
	s_cbranch_execz .LBB43_20
; %bb.19:                               ;   in Loop: Header=BB43_10 Depth=1
	v_cmp_eq_f32_e64 s0, v45, v47
	s_waitcnt lgkmcnt(0)
	v_cmp_lt_i32_e64 s1, v46, v43
	s_delay_alu instid0(VALU_DEP_1) | instskip(SKIP_2) | instid1(SALU_CYCLE_1)
	s_and_b32 s0, s0, s1
	s_and_not1_b32 s1, s16, exec_lo
	s_and_b32 s0, s0, exec_lo
	s_or_b32 s16, s1, s0
.LBB43_20:                              ;   in Loop: Header=BB43_10 Depth=1
	s_or_b32 exec_lo, exec_lo, s17
	s_delay_alu instid0(VALU_DEP_2)
	s_and_saveexec_b32 s0, s16
	s_cbranch_execz .LBB43_22
; %bb.21:                               ;   in Loop: Header=BB43_10 Depth=1
	s_waitcnt lgkmcnt(1)
	v_dual_mov_b32 v44, v48 :: v_dual_mov_b32 v45, v47
	s_waitcnt lgkmcnt(0)
	v_mov_b32_e32 v43, v46
.LBB43_22:                              ;   in Loop: Header=BB43_10 Depth=1
	s_or_b32 exec_lo, exec_lo, s0
	ds_bpermute_b32 v47, v37, v45
	s_waitcnt lgkmcnt(2)
	ds_bpermute_b32 v48, v37, v44
	s_waitcnt lgkmcnt(2)
	ds_bpermute_b32 v46, v37, v43
	s_mov_b32 s17, exec_lo
	s_waitcnt lgkmcnt(2)
	v_cmp_lt_f32_e64 s16, v45, v47
	v_cmpx_nlt_f32_e32 v45, v47
	s_cbranch_execz .LBB43_24
; %bb.23:                               ;   in Loop: Header=BB43_10 Depth=1
	v_cmp_eq_f32_e64 s0, v45, v47
	s_waitcnt lgkmcnt(0)
	v_cmp_lt_i32_e64 s1, v46, v43
	s_delay_alu instid0(VALU_DEP_1) | instskip(SKIP_2) | instid1(SALU_CYCLE_1)
	s_and_b32 s0, s0, s1
	s_and_not1_b32 s1, s16, exec_lo
	s_and_b32 s0, s0, exec_lo
	s_or_b32 s16, s1, s0
.LBB43_24:                              ;   in Loop: Header=BB43_10 Depth=1
	s_or_b32 exec_lo, exec_lo, s17
	s_delay_alu instid0(VALU_DEP_2)
	s_and_saveexec_b32 s0, s16
	s_cbranch_execz .LBB43_26
; %bb.25:                               ;   in Loop: Header=BB43_10 Depth=1
	s_waitcnt lgkmcnt(1)
	v_dual_mov_b32 v44, v48 :: v_dual_mov_b32 v45, v47
	s_waitcnt lgkmcnt(0)
	v_mov_b32_e32 v43, v46
.LBB43_26:                              ;   in Loop: Header=BB43_10 Depth=1
	s_or_b32 exec_lo, exec_lo, s0
	s_waitcnt lgkmcnt(1)
	ds_bpermute_b32 v48, v38, v45
	ds_bpermute_b32 v47, v38, v44
	s_waitcnt lgkmcnt(2)
	ds_bpermute_b32 v46, v38, v43
	s_mov_b32 s17, exec_lo
	s_waitcnt lgkmcnt(2)
	v_cmp_lt_f32_e64 s16, v45, v48
	v_cmpx_nlt_f32_e32 v45, v48
	s_cbranch_execnz .LBB43_30
; %bb.27:                               ;   in Loop: Header=BB43_10 Depth=1
	s_or_b32 exec_lo, exec_lo, s17
	s_delay_alu instid0(VALU_DEP_2)
	s_and_saveexec_b32 s0, s16
	s_cbranch_execnz .LBB43_31
.LBB43_28:                              ;   in Loop: Header=BB43_10 Depth=1
	s_or_b32 exec_lo, exec_lo, s0
	s_and_saveexec_b32 s16, s2
	s_cbranch_execnz .LBB43_32
.LBB43_29:                              ;   in Loop: Header=BB43_10 Depth=1
	s_or_b32 exec_lo, exec_lo, s16
	s_add_i32 s7, s7, 1
	s_delay_alu instid0(SALU_CYCLE_1)
	s_cmp_ge_i32 s7, s4
	s_cbranch_scc1 .LBB43_9
	s_branch .LBB43_33
.LBB43_30:                              ;   in Loop: Header=BB43_10 Depth=1
	v_cmp_eq_f32_e64 s0, v45, v48
	s_waitcnt lgkmcnt(0)
	v_cmp_lt_i32_e64 s1, v46, v43
	s_delay_alu instid0(VALU_DEP_1) | instskip(SKIP_2) | instid1(SALU_CYCLE_1)
	s_and_b32 s0, s0, s1
	s_and_not1_b32 s1, s16, exec_lo
	s_and_b32 s0, s0, exec_lo
	s_or_b32 s16, s1, s0
	s_or_b32 exec_lo, exec_lo, s17
	s_and_saveexec_b32 s0, s16
	s_cbranch_execz .LBB43_28
.LBB43_31:                              ;   in Loop: Header=BB43_10 Depth=1
	s_waitcnt lgkmcnt(0)
	v_dual_mov_b32 v44, v47 :: v_dual_mov_b32 v43, v46
	s_or_b32 exec_lo, exec_lo, s0
	s_and_saveexec_b32 s16, s2
	s_cbranch_execz .LBB43_29
.LBB43_32:                              ;   in Loop: Header=BB43_10 Depth=1
	s_delay_alu instid0(VALU_DEP_1)
	v_dual_add_f32 v52, v40, v44 :: v_dual_add_nc_u32 v45, s7, v41
	v_cmp_le_i32_e64 s0, s5, v43
	v_cmp_gt_i32_e64 s1, s6, v43
	s_waitcnt lgkmcnt(1)
	v_subrev_nc_u32_e32 v47, s5, v43
	s_waitcnt lgkmcnt(0)
	v_ashrrev_i32_e32 v46, 31, v45
	v_cndmask_b32_e32 v40, v40, v52, vcc_lo
	s_and_b32 s0, s0, s1
	s_delay_alu instid0(SALU_CYCLE_1) | instskip(NEXT) | instid1(VALU_DEP_2)
	s_and_b32 s0, s15, s0
	v_lshlrev_b64 v[45:46], 2, v[45:46]
	v_cndmask_b32_e64 v51, 0x200, v47, s0
	s_delay_alu instid0(VALU_DEP_2) | instskip(NEXT) | instid1(VALU_DEP_1)
	v_add_co_u32 v47, s0, s12, v45
	v_add_co_ci_u32_e64 v48, s0, s13, v46, s0
	v_add_co_u32 v49, s0, s8, v45
	s_delay_alu instid0(VALU_DEP_1) | instskip(SKIP_1) | instid1(VALU_DEP_1)
	v_add_co_ci_u32_e64 v50, s0, s9, v46, s0
	v_add_co_u32 v45, s0, s10, v45
	v_add_co_ci_u32_e64 v46, s0, s11, v46, s0
	global_store_b32 v[47:48], v44, off
	global_store_b32 v[49:50], v51, off
	;; [unrolled: 1-line block ×3, first 2 shown]
	s_or_b32 exec_lo, exec_lo, s16
	s_add_i32 s7, s7, 1
	s_delay_alu instid0(SALU_CYCLE_1)
	s_cmp_ge_i32 s7, s4
	s_cbranch_scc1 .LBB43_9
.LBB43_33:                              ;   in Loop: Header=BB43_10 Depth=1
	v_ashrrev_i32_e32 v44, 31, v43
	s_mov_b32 s1, exec_lo
	s_delay_alu instid0(VALU_DEP_1) | instskip(NEXT) | instid1(VALU_DEP_1)
	v_lshrrev_b32_e32 v45, 30, v44
	v_add_nc_u32_e32 v45, v43, v45
	s_waitcnt lgkmcnt(0)
	s_delay_alu instid0(VALU_DEP_1) | instskip(SKIP_1) | instid1(VALU_DEP_2)
	v_ashrrev_i32_e32 v46, 31, v45
	v_ashrrev_i32_e32 v45, 2, v45
	v_lshrrev_b32_e32 v46, 27, v46
	s_delay_alu instid0(VALU_DEP_1) | instskip(NEXT) | instid1(VALU_DEP_1)
	v_add_nc_u32_e32 v46, v45, v46
	v_and_b32_e32 v46, 0xffffffe0, v46
	s_delay_alu instid0(VALU_DEP_1) | instskip(NEXT) | instid1(VALU_DEP_1)
	v_sub_nc_u32_e32 v46, v45, v46
	v_cmpx_eq_u32_e64 v33, v46
	s_cbranch_execz .LBB43_8
; %bb.34:                               ;   in Loop: Header=BB43_10 Depth=1
	v_lshrrev_b32_e32 v44, 25, v44
	v_lshlrev_b32_e32 v45, 2, v45
	s_delay_alu instid0(VALU_DEP_2) | instskip(NEXT) | instid1(VALU_DEP_2)
	v_add_nc_u32_e32 v44, v43, v44
	v_sub_nc_u32_e32 v43, v43, v45
	s_delay_alu instid0(VALU_DEP_2) | instskip(NEXT) | instid1(VALU_DEP_1)
	v_ashrrev_i32_e32 v44, 7, v44
	v_lshl_add_u32 v43, v44, 2, v43
	s_delay_alu instid0(VALU_DEP_1) | instskip(NEXT) | instid1(VALU_DEP_1)
	v_cmp_ne_u32_e64 s0, 15, v43
	v_cndmask_b32_e64 v31, 0xc61c4000, v31, s0
	v_cmp_ne_u32_e64 s0, 14, v43
	s_delay_alu instid0(VALU_DEP_1) | instskip(SKIP_1) | instid1(VALU_DEP_1)
	v_cndmask_b32_e64 v30, 0xc61c4000, v30, s0
	v_cmp_ne_u32_e64 s0, 13, v43
	v_cndmask_b32_e64 v29, 0xc61c4000, v29, s0
	v_cmp_ne_u32_e64 s0, 12, v43
	s_delay_alu instid0(VALU_DEP_1) | instskip(SKIP_1) | instid1(VALU_DEP_1)
	v_cndmask_b32_e64 v28, 0xc61c4000, v28, s0
	v_cmp_ne_u32_e64 s0, 11, v43
	v_cndmask_b32_e64 v27, 0xc61c4000, v27, s0
	v_cmp_ne_u32_e64 s0, 10, v43
	s_delay_alu instid0(VALU_DEP_1) | instskip(SKIP_1) | instid1(VALU_DEP_1)
	v_cndmask_b32_e64 v26, 0xc61c4000, v26, s0
	v_cmp_ne_u32_e64 s0, 9, v43
	v_cndmask_b32_e64 v25, 0xc61c4000, v25, s0
	v_cmp_ne_u32_e64 s0, 8, v43
	s_delay_alu instid0(VALU_DEP_1) | instskip(SKIP_1) | instid1(VALU_DEP_1)
	v_cndmask_b32_e64 v24, 0xc61c4000, v24, s0
	v_cmp_ne_u32_e64 s0, 7, v43
	v_cndmask_b32_e64 v23, 0xc61c4000, v23, s0
	v_cmp_ne_u32_e64 s0, 6, v43
	s_delay_alu instid0(VALU_DEP_1) | instskip(SKIP_1) | instid1(VALU_DEP_1)
	v_cndmask_b32_e64 v22, 0xc61c4000, v22, s0
	v_cmp_ne_u32_e64 s0, 5, v43
	v_cndmask_b32_e64 v21, 0xc61c4000, v21, s0
	v_cmp_ne_u32_e64 s0, 4, v43
	s_delay_alu instid0(VALU_DEP_1) | instskip(SKIP_1) | instid1(VALU_DEP_1)
	v_cndmask_b32_e64 v20, 0xc61c4000, v20, s0
	v_cmp_ne_u32_e64 s0, 3, v43
	v_cndmask_b32_e64 v19, 0xc61c4000, v19, s0
	v_cmp_ne_u32_e64 s0, 2, v43
	s_delay_alu instid0(VALU_DEP_1) | instskip(SKIP_1) | instid1(VALU_DEP_1)
	v_cndmask_b32_e64 v18, 0xc61c4000, v18, s0
	v_cmp_ne_u32_e64 s0, 1, v43
	v_cndmask_b32_e64 v17, 0xc61c4000, v17, s0
	v_cmp_ne_u32_e64 s0, 0, v43
	s_delay_alu instid0(VALU_DEP_1)
	v_cndmask_b32_e64 v16, 0xc61c4000, v16, s0
	s_branch .LBB43_8
.LBB43_35:
                                        ; implicit-def: $vgpr16_vgpr17_vgpr18_vgpr19_vgpr20_vgpr21_vgpr22_vgpr23_vgpr24_vgpr25_vgpr26_vgpr27_vgpr28_vgpr29_vgpr30_vgpr31
	s_and_not1_b32 vcc_lo, exec_lo, s8
	s_cbranch_vccz .LBB43_5
	s_branch .LBB43_6
.LBB43_36:
	v_mov_b32_e32 v40, 0
.LBB43_37:
	v_cmp_eq_u32_e64 s0, 0, v33
	s_delay_alu instid0(VALU_DEP_1) | instskip(NEXT) | instid1(SALU_CYCLE_1)
	s_and_b32 s0, s0, vcc_lo
	s_and_b32 exec_lo, exec_lo, s0
	s_cbranch_execz .LBB43_41
; %bb.38:
	s_and_not1_b32 vcc_lo, exec_lo, s3
	s_cbranch_vccnz .LBB43_41
; %bb.39:
	v_mul_lo_u32 v0, v32, s4
	v_cmp_lt_f32_e32 vcc_lo, 0, v40
	v_cndmask_b32_e32 v2, 1.0, v40, vcc_lo
	s_delay_alu instid0(VALU_DEP_3) | instskip(NEXT) | instid1(VALU_DEP_1)
	v_ashrrev_i32_e32 v1, 31, v0
	v_lshlrev_b64 v[0:1], 2, v[0:1]
	s_delay_alu instid0(VALU_DEP_1) | instskip(NEXT) | instid1(VALU_DEP_2)
	v_add_co_u32 v0, vcc_lo, s12, v0
	v_add_co_ci_u32_e32 v1, vcc_lo, s13, v1, vcc_lo
	.p2align	6
.LBB43_40:                              ; =>This Inner Loop Header: Depth=1
	global_load_b32 v3, v[0:1], off
	s_add_i32 s4, s4, -1
	s_delay_alu instid0(SALU_CYCLE_1) | instskip(SKIP_3) | instid1(VALU_DEP_2)
	s_cmp_lg_u32 s4, 0
	s_waitcnt vmcnt(0)
	v_div_scale_f32 v4, null, v2, v2, v3
	v_div_scale_f32 v7, vcc_lo, v3, v2, v3
	v_rcp_f32_e32 v5, v4
	s_waitcnt_depctr 0xfff
	v_fma_f32 v6, -v4, v5, 1.0
	s_delay_alu instid0(VALU_DEP_1) | instskip(NEXT) | instid1(VALU_DEP_1)
	v_fmac_f32_e32 v5, v6, v5
	v_mul_f32_e32 v6, v7, v5
	s_delay_alu instid0(VALU_DEP_1) | instskip(NEXT) | instid1(VALU_DEP_1)
	v_fma_f32 v8, -v4, v6, v7
	v_fmac_f32_e32 v6, v8, v5
	s_delay_alu instid0(VALU_DEP_1) | instskip(NEXT) | instid1(VALU_DEP_1)
	v_fma_f32 v4, -v4, v6, v7
	v_div_fmas_f32 v4, v4, v5, v6
	s_delay_alu instid0(VALU_DEP_1)
	v_div_fixup_f32 v3, v4, v2, v3
	global_store_b32 v[0:1], v3, off
	v_add_co_u32 v0, vcc_lo, v0, 4
	v_add_co_ci_u32_e32 v1, vcc_lo, 0, v1, vcc_lo
	s_cbranch_scc1 .LBB43_40
.LBB43_41:
	s_nop 0
	s_sendmsg sendmsg(MSG_DEALLOC_VGPRS)
	s_endpgm
	.section	.rodata,"a",@progbits
	.p2align	6, 0x0
	.amdhsa_kernel _ZN4vllm3moe10topkGatingILi16ELi512ELi4ELi16ELi32EjfLNS0_11ScoringFuncE0EEEvPKT5_PKbPfiPT4_PiiiibPKf
		.amdhsa_group_segment_fixed_size 0
		.amdhsa_private_segment_fixed_size 0
		.amdhsa_kernarg_size 72
		.amdhsa_user_sgpr_count 15
		.amdhsa_user_sgpr_dispatch_ptr 0
		.amdhsa_user_sgpr_queue_ptr 0
		.amdhsa_user_sgpr_kernarg_segment_ptr 1
		.amdhsa_user_sgpr_dispatch_id 0
		.amdhsa_user_sgpr_private_segment_size 0
		.amdhsa_wavefront_size32 1
		.amdhsa_uses_dynamic_stack 0
		.amdhsa_enable_private_segment 0
		.amdhsa_system_sgpr_workgroup_id_x 1
		.amdhsa_system_sgpr_workgroup_id_y 0
		.amdhsa_system_sgpr_workgroup_id_z 0
		.amdhsa_system_sgpr_workgroup_info 0
		.amdhsa_system_vgpr_workitem_id 1
		.amdhsa_next_free_vgpr 71
		.amdhsa_next_free_sgpr 18
		.amdhsa_reserve_vcc 1
		.amdhsa_float_round_mode_32 0
		.amdhsa_float_round_mode_16_64 0
		.amdhsa_float_denorm_mode_32 3
		.amdhsa_float_denorm_mode_16_64 3
		.amdhsa_dx10_clamp 1
		.amdhsa_ieee_mode 1
		.amdhsa_fp16_overflow 0
		.amdhsa_workgroup_processor_mode 1
		.amdhsa_memory_ordered 1
		.amdhsa_forward_progress 0
		.amdhsa_shared_vgpr_count 0
		.amdhsa_exception_fp_ieee_invalid_op 0
		.amdhsa_exception_fp_denorm_src 0
		.amdhsa_exception_fp_ieee_div_zero 0
		.amdhsa_exception_fp_ieee_overflow 0
		.amdhsa_exception_fp_ieee_underflow 0
		.amdhsa_exception_fp_ieee_inexact 0
		.amdhsa_exception_int_div_zero 0
	.end_amdhsa_kernel
	.section	.text._ZN4vllm3moe10topkGatingILi16ELi512ELi4ELi16ELi32EjfLNS0_11ScoringFuncE0EEEvPKT5_PKbPfiPT4_PiiiibPKf,"axG",@progbits,_ZN4vllm3moe10topkGatingILi16ELi512ELi4ELi16ELi32EjfLNS0_11ScoringFuncE0EEEvPKT5_PKbPfiPT4_PiiiibPKf,comdat
.Lfunc_end43:
	.size	_ZN4vllm3moe10topkGatingILi16ELi512ELi4ELi16ELi32EjfLNS0_11ScoringFuncE0EEEvPKT5_PKbPfiPT4_PiiiibPKf, .Lfunc_end43-_ZN4vllm3moe10topkGatingILi16ELi512ELi4ELi16ELi32EjfLNS0_11ScoringFuncE0EEEvPKT5_PKbPfiPT4_PiiiibPKf
                                        ; -- End function
	.section	.AMDGPU.csdata,"",@progbits
; Kernel info:
; codeLenInByte = 5152
; NumSgprs: 20
; NumVgprs: 71
; ScratchSize: 0
; MemoryBound: 0
; FloatMode: 240
; IeeeMode: 1
; LDSByteSize: 0 bytes/workgroup (compile time only)
; SGPRBlocks: 2
; VGPRBlocks: 8
; NumSGPRsForWavesPerEU: 20
; NumVGPRsForWavesPerEU: 71
; Occupancy: 16
; WaveLimiterHint : 1
; COMPUTE_PGM_RSRC2:SCRATCH_EN: 0
; COMPUTE_PGM_RSRC2:USER_SGPR: 15
; COMPUTE_PGM_RSRC2:TRAP_HANDLER: 0
; COMPUTE_PGM_RSRC2:TGID_X_EN: 1
; COMPUTE_PGM_RSRC2:TGID_Y_EN: 0
; COMPUTE_PGM_RSRC2:TGID_Z_EN: 0
; COMPUTE_PGM_RSRC2:TIDIG_COMP_CNT: 1
	.section	.text._ZN4vllm3moe7moeTopKILi256EjEEvPKfPKbPfPT0_PiiiiibS3_,"axG",@progbits,_ZN4vllm3moe7moeTopKILi256EjEEvPKfPKbPfPT0_PiiiiibS3_,comdat
	.protected	_ZN4vllm3moe7moeTopKILi256EjEEvPKfPKbPfPT0_PiiiiibS3_ ; -- Begin function _ZN4vllm3moe7moeTopKILi256EjEEvPKfPKbPfPT0_PiiiiibS3_
	.globl	_ZN4vllm3moe7moeTopKILi256EjEEvPKfPKbPfPT0_PiiiiibS3_
	.p2align	8
	.type	_ZN4vllm3moe7moeTopKILi256EjEEvPKfPKbPfPT0_PiiiiibS3_,@function
_ZN4vllm3moe7moeTopKILi256EjEEvPKfPKbPfPT0_PiiiiibS3_: ; @_ZN4vllm3moe7moeTopKILi256EjEEvPKfPKbPfPT0_PiiiiibS3_
; %bb.0:
	s_clause 0x1
	s_load_b256 s[16:23], s[0:1], 0x0
	s_load_b64 s[12:13], s[0:1], 0x20
	s_mov_b32 s3, -1
	s_mov_b32 s28, -1
	s_waitcnt lgkmcnt(0)
	s_cmp_eq_u64 s[18:19], 0
	s_cbranch_scc1 .LBB44_2
; %bb.1:
	v_mov_b32_e32 v1, 0
	s_ashr_i32 s2, s15, 31
	s_add_u32 s4, s18, s15
	s_addc_u32 s5, s19, s2
	global_load_u8 v1, v1, s[4:5]
	s_waitcnt vmcnt(0)
	v_readfirstlane_b32 s2, v1
	s_delay_alu instid0(VALU_DEP_1) | instskip(SKIP_1) | instid1(SALU_CYCLE_1)
	s_bitcmp1_b32 s2, 0
	s_cselect_b32 s2, -1, 0
	s_xor_b32 s28, s2, -1
.LBB44_2:
	s_clause 0x1
	s_load_b32 s2, s[0:1], 0x38
	s_load_b128 s[8:11], s[0:1], 0x28
	s_waitcnt lgkmcnt(0)
	s_bitcmp1_b32 s2, 0
	s_cselect_b32 s2, -1, 0
	s_cmp_gt_i32 s9, 0
	s_cselect_b32 s14, -1, 0
	s_delay_alu instid0(SALU_CYCLE_1)
	s_and_b32 vcc_lo, exec_lo, s14
	s_cbranch_vccnz .LBB44_4
; %bb.3:
	s_mov_b32 s4, 0
	s_delay_alu instid0(SALU_CYCLE_1)
	v_mov_b32_e32 v5, s4
	s_cbranch_execz .LBB44_5
	s_branch .LBB44_24
.LBB44_4:
                                        ; implicit-def: $sgpr4
	v_mov_b32_e32 v5, s4
	s_and_not1_b32 vcc_lo, exec_lo, s3
	s_cbranch_vccnz .LBB44_24
.LBB44_5:
	v_mbcnt_lo_u32_b32 v1, -1, 0
	v_lshrrev_b32_e32 v2, 2, v0
	v_mov_b32_e32 v3, 0x7c
	s_clause 0x1
	s_load_b64 s[18:19], s[0:1], 0x40
	s_load_b32 s29, s[0:1], 0x48
	v_and_b32_e32 v5, 7, v1
	v_and_b32_e32 v4, 56, v2
	s_mul_i32 s24, s15, s9
	v_cmp_gt_i32_e64 s0, s8, v0
	v_cmp_eq_u32_e64 s1, 0, v1
	v_cmp_gt_u32_e32 vcc_lo, 6, v5
	v_cmp_gt_u32_e64 s3, 32, v0
	v_cmp_eq_u32_e64 s4, 0, v0
	s_mul_i32 s30, s15, s8
	v_cndmask_b32_e64 v2, 0, 1, vcc_lo
	s_delay_alu instid0(VALU_DEP_1) | instskip(SKIP_3) | instid1(VALU_DEP_1)
	v_lshlrev_b32_e32 v2, 1, v2
	s_waitcnt lgkmcnt(0)
	s_cmp_lg_u64 s[18:19], 0
	s_cselect_b32 s31, -1, 0
	v_add_lshl_u32 v8, v2, v1, 2
	v_mov_b32_e32 v2, 0
	v_cmp_gt_u32_e32 vcc_lo, 4, v5
	s_ashr_i32 s25, s24, 31
	s_delay_alu instid0(SALU_CYCLE_1)
	s_lshl_b64 s[6:7], s[24:25], 2
	s_mov_b32 s25, 0
	v_cndmask_b32_e64 v6, 0, 1, vcc_lo
	v_cmp_ne_u32_e32 vcc_lo, 7, v5
	s_add_u32 s26, s22, s6
	s_addc_u32 s27, s23, s7
	s_delay_alu instid0(VALU_DEP_2) | instskip(SKIP_2) | instid1(VALU_DEP_3)
	v_lshlrev_b32_e32 v9, 2, v6
	v_add_co_ci_u32_e32 v7, vcc_lo, 0, v1, vcc_lo
	v_dual_mov_b32 v5, 0 :: v_dual_lshlrev_b32 v6, 3, v5
	v_add_lshl_u32 v9, v9, v1, 2
	s_delay_alu instid0(VALU_DEP_3)
	v_lshlrev_b32_e32 v7, 2, v7
	s_branch .LBB44_7
.LBB44_6:                               ;   in Loop: Header=BB44_7 Depth=1
	s_or_b32 exec_lo, exec_lo, s6
	s_add_i32 s25, s25, 1
	s_waitcnt_vscnt null, 0x0
	s_cmp_eq_u32 s25, s9
	s_barrier
	buffer_gl0_inv
	s_cbranch_scc1 .LBB44_24
.LBB44_7:                               ; =>This Loop Header: Depth=1
                                        ;     Child Loop BB44_10 Depth 2
                                        ;       Child Loop BB44_14 Depth 3
	v_dual_mov_b32 v10, -1.0 :: v_dual_mov_b32 v11, v2
	s_and_saveexec_b32 s33, s0
	s_cbranch_execz .LBB44_18
; %bb.8:                                ;   in Loop: Header=BB44_7 Depth=1
	v_dual_mov_b32 v10, -1.0 :: v_dual_mov_b32 v11, 0
	v_mov_b32_e32 v1, v0
	s_cmp_lg_u32 s25, 0
	s_mov_b32 s35, 0
	s_cselect_b32 s34, -1, 0
	s_branch .LBB44_10
.LBB44_9:                               ;   in Loop: Header=BB44_10 Depth=2
	s_or_b32 exec_lo, exec_lo, s6
	v_add_nc_u32_e32 v1, 0x100, v1
	s_delay_alu instid0(VALU_DEP_1) | instskip(SKIP_1) | instid1(SALU_CYCLE_1)
	v_cmp_le_i32_e32 vcc_lo, s8, v1
	s_or_b32 s35, vcc_lo, s35
	s_and_not1_b32 exec_lo, exec_lo, s35
	s_cbranch_execz .LBB44_17
.LBB44_10:                              ;   Parent Loop BB44_7 Depth=1
                                        ; =>  This Loop Header: Depth=2
                                        ;       Child Loop BB44_14 Depth 3
	v_add_nc_u32_e32 v12, s30, v1
	s_delay_alu instid0(VALU_DEP_1) | instskip(NEXT) | instid1(VALU_DEP_1)
	v_ashrrev_i32_e32 v13, 31, v12
	v_lshlrev_b64 v[12:13], 2, v[12:13]
	s_delay_alu instid0(VALU_DEP_1) | instskip(NEXT) | instid1(VALU_DEP_2)
	v_add_co_u32 v12, vcc_lo, s16, v12
	v_add_co_ci_u32_e32 v13, vcc_lo, s17, v13, vcc_lo
	s_and_not1_b32 vcc_lo, exec_lo, s31
	global_load_b32 v12, v[12:13], off
	s_cbranch_vccnz .LBB44_12
; %bb.11:                               ;   in Loop: Header=BB44_10 Depth=2
	v_lshlrev_b64 v[13:14], 2, v[1:2]
	s_delay_alu instid0(VALU_DEP_1) | instskip(NEXT) | instid1(VALU_DEP_2)
	v_add_co_u32 v13, vcc_lo, s18, v13
	v_add_co_ci_u32_e32 v14, vcc_lo, s19, v14, vcc_lo
	global_load_b32 v13, v[13:14], off
	s_waitcnt vmcnt(0)
	v_add_f32_e32 v12, v12, v13
.LBB44_12:                              ;   in Loop: Header=BB44_10 Depth=2
	v_mov_b32_e32 v13, v1
	s_and_not1_b32 vcc_lo, exec_lo, s34
	s_cbranch_vccnz .LBB44_15
; %bb.13:                               ;   in Loop: Header=BB44_10 Depth=2
	s_mov_b32 s5, 0
	s_mov_b64 s[6:7], s[26:27]
.LBB44_14:                              ;   Parent Loop BB44_7 Depth=1
                                        ;     Parent Loop BB44_10 Depth=2
                                        ; =>    This Inner Loop Header: Depth=3
	global_load_b32 v14, v2, s[6:7]
	s_add_i32 s5, s5, 1
	s_add_u32 s6, s6, 4
	s_addc_u32 s7, s7, 0
	s_cmp_ge_u32 s5, s25
	s_waitcnt vmcnt(0)
	v_cmp_eq_u32_e32 vcc_lo, v14, v1
	v_dual_cndmask_b32 v13, v13, v11 :: v_dual_cndmask_b32 v12, v12, v10
	s_cbranch_scc0 .LBB44_14
.LBB44_15:                              ;   in Loop: Header=BB44_10 Depth=2
	s_mov_b32 s6, exec_lo
	s_waitcnt vmcnt(0)
	s_delay_alu instid0(VALU_DEP_1)
	v_cmpx_ngt_f32_e32 v10, v12
	s_cbranch_execz .LBB44_9
; %bb.16:                               ;   in Loop: Header=BB44_10 Depth=2
	v_cmp_eq_f32_e32 vcc_lo, v12, v10
	v_cmp_lt_i32_e64 s5, v11, v13
	s_delay_alu instid0(VALU_DEP_1)
	s_and_b32 vcc_lo, vcc_lo, s5
	v_dual_cndmask_b32 v10, v12, v10 :: v_dual_cndmask_b32 v11, v13, v11
	s_branch .LBB44_9
.LBB44_17:                              ;   in Loop: Header=BB44_7 Depth=1
	s_or_b32 exec_lo, exec_lo, s35
.LBB44_18:                              ;   in Loop: Header=BB44_7 Depth=1
	s_delay_alu instid0(SALU_CYCLE_1) | instskip(NEXT) | instid1(VALU_DEP_1)
	s_or_b32 exec_lo, exec_lo, s33
	v_mov_b32_dpp v1, v10 quad_perm:[1,0,3,2] row_mask:0xf bank_mask:0xf
	v_mov_b32_dpp v12, v11 quad_perm:[1,0,3,2] row_mask:0xf bank_mask:0xf
	s_delay_alu instid0(VALU_DEP_2) | instskip(NEXT) | instid1(VALU_DEP_2)
	v_cmp_eq_f32_e32 vcc_lo, v10, v1
	v_cmp_lt_i32_e64 s5, v11, v12
	s_delay_alu instid0(VALU_DEP_1) | instskip(SKIP_2) | instid1(VALU_DEP_2)
	s_and_b32 vcc_lo, vcc_lo, s5
	v_cmp_gt_f32_e64 s5, v10, v1
	v_cndmask_b32_e32 v13, v1, v10, vcc_lo
	s_or_b32 vcc_lo, s5, vcc_lo
	s_delay_alu instid0(VALU_DEP_1) | instskip(SKIP_1) | instid1(VALU_DEP_2)
	v_cndmask_b32_e64 v1, v13, v10, s5
	v_cndmask_b32_e32 v10, v12, v11, vcc_lo
	v_mov_b32_dpp v11, v1 quad_perm:[2,3,0,1] row_mask:0xf bank_mask:0xf
	s_delay_alu instid0(VALU_DEP_2) | instskip(NEXT) | instid1(VALU_DEP_2)
	v_mov_b32_dpp v12, v10 quad_perm:[2,3,0,1] row_mask:0xf bank_mask:0xf
	v_cmp_eq_f32_e32 vcc_lo, v1, v11
	s_delay_alu instid0(VALU_DEP_2) | instskip(NEXT) | instid1(VALU_DEP_1)
	v_cmp_lt_i32_e64 s5, v10, v12
	s_and_b32 vcc_lo, vcc_lo, s5
	v_cmp_gt_f32_e64 s5, v1, v11
	v_cndmask_b32_e32 v13, v11, v1, vcc_lo
	s_delay_alu instid0(VALU_DEP_2) | instskip(SKIP_1) | instid1(VALU_DEP_2)
	s_or_b32 vcc_lo, s5, vcc_lo
	v_cndmask_b32_e32 v10, v12, v10, vcc_lo
	v_cndmask_b32_e64 v1, v13, v1, s5
	s_delay_alu instid0(VALU_DEP_2) | instskip(NEXT) | instid1(VALU_DEP_2)
	v_mov_b32_dpp v12, v10 row_ror:4 row_mask:0xf bank_mask:0xf
	v_mov_b32_dpp v11, v1 row_ror:4 row_mask:0xf bank_mask:0xf
	s_delay_alu instid0(VALU_DEP_2) | instskip(NEXT) | instid1(VALU_DEP_2)
	v_cmp_lt_i32_e64 s5, v10, v12
	v_cmp_eq_f32_e32 vcc_lo, v1, v11
	s_delay_alu instid0(VALU_DEP_2) | instskip(SKIP_2) | instid1(VALU_DEP_2)
	s_and_b32 vcc_lo, vcc_lo, s5
	v_cmp_gt_f32_e64 s5, v1, v11
	v_cndmask_b32_e32 v13, v11, v1, vcc_lo
	s_or_b32 vcc_lo, s5, vcc_lo
	v_cndmask_b32_e32 v10, v12, v10, vcc_lo
	s_delay_alu instid0(VALU_DEP_2) | instskip(NEXT) | instid1(VALU_DEP_2)
	v_cndmask_b32_e64 v1, v13, v1, s5
	v_mov_b32_dpp v12, v10 row_ror:8 row_mask:0xf bank_mask:0xf
	s_delay_alu instid0(VALU_DEP_2) | instskip(NEXT) | instid1(VALU_DEP_2)
	v_mov_b32_dpp v11, v1 row_ror:8 row_mask:0xf bank_mask:0xf
	v_cmp_lt_i32_e64 s5, v10, v12
	s_delay_alu instid0(VALU_DEP_2) | instskip(NEXT) | instid1(VALU_DEP_2)
	v_cmp_eq_f32_e32 vcc_lo, v1, v11
	s_and_b32 vcc_lo, vcc_lo, s5
	v_cmp_gt_f32_e64 s5, v1, v11
	v_cndmask_b32_e32 v13, v11, v1, vcc_lo
	s_delay_alu instid0(VALU_DEP_2) | instskip(SKIP_1) | instid1(VALU_DEP_2)
	s_or_b32 vcc_lo, s5, vcc_lo
	v_cndmask_b32_e32 v10, v12, v10, vcc_lo
	v_cndmask_b32_e64 v1, v13, v1, s5
	ds_swizzle_b32 v12, v10 offset:swizzle(BROADCAST,32,15)
	ds_swizzle_b32 v11, v1 offset:swizzle(BROADCAST,32,15)
	s_waitcnt lgkmcnt(1)
	v_cmp_lt_i32_e64 s5, v10, v12
	s_waitcnt lgkmcnt(0)
	v_cmp_eq_f32_e32 vcc_lo, v1, v11
	s_delay_alu instid0(VALU_DEP_2) | instskip(SKIP_2) | instid1(VALU_DEP_2)
	s_and_b32 vcc_lo, vcc_lo, s5
	v_cmp_gt_f32_e64 s5, v1, v11
	v_cndmask_b32_e32 v13, v11, v1, vcc_lo
	s_or_b32 vcc_lo, s5, vcc_lo
	s_delay_alu instid0(VALU_DEP_1)
	v_cndmask_b32_e64 v11, v13, v1, s5
	v_cndmask_b32_e32 v1, v12, v10, vcc_lo
	ds_bpermute_b32 v10, v3, v11
	ds_bpermute_b32 v1, v3, v1
	s_and_saveexec_b32 s5, s1
	s_cbranch_execz .LBB44_20
; %bb.19:                               ;   in Loop: Header=BB44_7 Depth=1
	s_waitcnt lgkmcnt(0)
	ds_store_2addr_b32 v4, v1, v10 offset1:1
.LBB44_20:                              ;   in Loop: Header=BB44_7 Depth=1
	s_or_b32 exec_lo, exec_lo, s5
	s_waitcnt lgkmcnt(0)
	s_barrier
	buffer_gl0_inv
	s_and_saveexec_b32 s7, s3
	s_cbranch_execz .LBB44_22
; %bb.21:                               ;   in Loop: Header=BB44_7 Depth=1
	ds_load_2addr_b32 v[10:11], v6 offset1:1
	s_waitcnt lgkmcnt(0)
	ds_bpermute_b32 v1, v7, v11
	ds_bpermute_b32 v12, v7, v10
	s_waitcnt lgkmcnt(1)
	v_cmp_eq_f32_e32 vcc_lo, v11, v1
	s_waitcnt lgkmcnt(0)
	v_cmp_lt_i32_e64 s5, v12, v10
	v_cmp_lt_f32_e64 s6, v11, v1
	s_delay_alu instid0(VALU_DEP_2)
	s_and_b32 s5, vcc_lo, s5
	s_delay_alu instid0(VALU_DEP_1) | instid1(SALU_CYCLE_1)
	s_or_b32 vcc_lo, s6, s5
	v_dual_cndmask_b32 v1, v11, v1 :: v_dual_cndmask_b32 v10, v10, v12
	ds_bpermute_b32 v11, v8, v1
	ds_bpermute_b32 v12, v8, v10
	s_waitcnt lgkmcnt(1)
	v_cmp_eq_f32_e32 vcc_lo, v1, v11
	s_waitcnt lgkmcnt(0)
	v_cmp_lt_i32_e64 s5, v12, v10
	v_cmp_lt_f32_e64 s6, v1, v11
	s_delay_alu instid0(VALU_DEP_2)
	s_and_b32 s5, vcc_lo, s5
	s_delay_alu instid0(VALU_DEP_1) | instid1(SALU_CYCLE_1)
	s_or_b32 vcc_lo, s6, s5
	v_dual_cndmask_b32 v1, v1, v11 :: v_dual_cndmask_b32 v10, v10, v12
	ds_bpermute_b32 v11, v9, v1
	ds_bpermute_b32 v12, v9, v10
	s_waitcnt lgkmcnt(1)
	v_cmp_eq_f32_e32 vcc_lo, v1, v11
	s_waitcnt lgkmcnt(0)
	v_cmp_lt_i32_e64 s5, v12, v10
	v_cmp_lt_f32_e64 s6, v1, v11
	s_delay_alu instid0(VALU_DEP_2)
	s_and_b32 s5, vcc_lo, s5
	s_delay_alu instid0(VALU_DEP_1) | instid1(SALU_CYCLE_1)
	s_or_b32 vcc_lo, s6, s5
	v_cndmask_b32_e32 v1, v10, v12, vcc_lo
.LBB44_22:                              ;   in Loop: Header=BB44_7 Depth=1
	s_or_b32 exec_lo, exec_lo, s7
	s_and_saveexec_b32 s6, s4
	s_cbranch_execz .LBB44_6
; %bb.23:                               ;   in Loop: Header=BB44_7 Depth=1
	s_delay_alu instid0(VALU_DEP_1) | instskip(SKIP_2) | instid1(SALU_CYCLE_1)
	v_add_nc_u32_e32 v10, s30, v1
	v_cmp_gt_i32_e64 s5, s11, v1
	s_add_i32 s34, s25, s24
	s_ashr_i32 s35, s34, 31
	s_delay_alu instid0(VALU_DEP_2) | instskip(SKIP_1) | instid1(VALU_DEP_1)
	v_ashrrev_i32_e32 v11, 31, v10
	s_lshl_b64 s[34:35], s[34:35], 2
	v_lshlrev_b64 v[10:11], 2, v[10:11]
	s_delay_alu instid0(VALU_DEP_1) | instskip(NEXT) | instid1(VALU_DEP_2)
	v_add_co_u32 v10, vcc_lo, s16, v10
	v_add_co_ci_u32_e32 v11, vcc_lo, s17, v11, vcc_lo
	v_cmp_le_i32_e32 vcc_lo, s10, v1
	v_subrev_nc_u32_e32 v1, s10, v1
	global_load_b32 v10, v[10:11], off
	s_and_b32 s5, vcc_lo, s5
	s_delay_alu instid0(SALU_CYCLE_1)
	s_and_b32 vcc_lo, s28, s5
	s_add_u32 s36, s20, s34
	s_addc_u32 s37, s21, s35
	s_mul_i32 s5, s25, s29
	s_add_u32 s38, s22, s34
	s_addc_u32 s39, s23, s35
	s_add_i32 s5, s5, s15
	v_cndmask_b32_e32 v1, s8, v1, vcc_lo
	s_add_u32 s34, s12, s34
	s_addc_u32 s35, s13, s35
	v_mov_b32_e32 v12, s5
	s_waitcnt vmcnt(0)
	s_clause 0x2
	global_store_b32 v2, v10, s[36:37]
	global_store_b32 v2, v1, s[38:39]
	;; [unrolled: 1-line block ×3, first 2 shown]
	v_add_f32_e32 v11, v5, v10
	s_delay_alu instid0(VALU_DEP_1)
	v_cndmask_b32_e64 v5, v5, v11, s2
	s_branch .LBB44_6
.LBB44_24:
	v_cmp_eq_u32_e32 vcc_lo, 0, v0
	s_and_b32 s0, vcc_lo, s2
	s_delay_alu instid0(SALU_CYCLE_1)
	s_and_saveexec_b32 s1, s0
	s_cbranch_execz .LBB44_28
; %bb.25:
	s_and_not1_b32 vcc_lo, exec_lo, s14
	s_cbranch_vccnz .LBB44_28
; %bb.26:
	v_cmp_lt_f32_e32 vcc_lo, 0, v5
	s_mul_i32 s0, s15, s9
	v_mov_b32_e32 v1, 0
	s_ashr_i32 s1, s0, 31
	v_cndmask_b32_e32 v0, 1.0, v5, vcc_lo
	s_lshl_b64 s[0:1], s[0:1], 2
	s_delay_alu instid0(SALU_CYCLE_1)
	s_add_u32 s0, s20, s0
	s_addc_u32 s1, s21, s1
	.p2align	6
.LBB44_27:                              ; =>This Inner Loop Header: Depth=1
	global_load_b32 v2, v1, s[0:1]
	s_add_i32 s9, s9, -1
	s_waitcnt vmcnt(0)
	v_div_scale_f32 v3, null, v0, v0, v2
	v_div_scale_f32 v6, vcc_lo, v2, v0, v2
	s_delay_alu instid0(VALU_DEP_2) | instskip(SKIP_2) | instid1(VALU_DEP_1)
	v_rcp_f32_e32 v4, v3
	s_waitcnt_depctr 0xfff
	v_fma_f32 v5, -v3, v4, 1.0
	v_fmac_f32_e32 v4, v5, v4
	s_delay_alu instid0(VALU_DEP_1) | instskip(NEXT) | instid1(VALU_DEP_1)
	v_mul_f32_e32 v5, v6, v4
	v_fma_f32 v7, -v3, v5, v6
	s_delay_alu instid0(VALU_DEP_1) | instskip(NEXT) | instid1(VALU_DEP_1)
	v_fmac_f32_e32 v5, v7, v4
	v_fma_f32 v3, -v3, v5, v6
	s_delay_alu instid0(VALU_DEP_1) | instskip(NEXT) | instid1(VALU_DEP_1)
	v_div_fmas_f32 v3, v3, v4, v5
	v_div_fixup_f32 v2, v3, v0, v2
	global_store_b32 v1, v2, s[0:1]
	s_add_u32 s0, s0, 4
	s_addc_u32 s1, s1, 0
	s_cmp_lg_u32 s9, 0
	s_cbranch_scc1 .LBB44_27
.LBB44_28:
	s_nop 0
	s_sendmsg sendmsg(MSG_DEALLOC_VGPRS)
	s_endpgm
	.section	.rodata,"a",@progbits
	.p2align	6, 0x0
	.amdhsa_kernel _ZN4vllm3moe7moeTopKILi256EjEEvPKfPKbPfPT0_PiiiiibS3_
		.amdhsa_group_segment_fixed_size 64
		.amdhsa_private_segment_fixed_size 0
		.amdhsa_kernarg_size 328
		.amdhsa_user_sgpr_count 15
		.amdhsa_user_sgpr_dispatch_ptr 0
		.amdhsa_user_sgpr_queue_ptr 0
		.amdhsa_user_sgpr_kernarg_segment_ptr 1
		.amdhsa_user_sgpr_dispatch_id 0
		.amdhsa_user_sgpr_private_segment_size 0
		.amdhsa_wavefront_size32 1
		.amdhsa_uses_dynamic_stack 0
		.amdhsa_enable_private_segment 0
		.amdhsa_system_sgpr_workgroup_id_x 1
		.amdhsa_system_sgpr_workgroup_id_y 0
		.amdhsa_system_sgpr_workgroup_id_z 0
		.amdhsa_system_sgpr_workgroup_info 0
		.amdhsa_system_vgpr_workitem_id 0
		.amdhsa_next_free_vgpr 15
		.amdhsa_next_free_sgpr 40
		.amdhsa_reserve_vcc 1
		.amdhsa_float_round_mode_32 0
		.amdhsa_float_round_mode_16_64 0
		.amdhsa_float_denorm_mode_32 3
		.amdhsa_float_denorm_mode_16_64 3
		.amdhsa_dx10_clamp 1
		.amdhsa_ieee_mode 1
		.amdhsa_fp16_overflow 0
		.amdhsa_workgroup_processor_mode 1
		.amdhsa_memory_ordered 1
		.amdhsa_forward_progress 0
		.amdhsa_shared_vgpr_count 0
		.amdhsa_exception_fp_ieee_invalid_op 0
		.amdhsa_exception_fp_denorm_src 0
		.amdhsa_exception_fp_ieee_div_zero 0
		.amdhsa_exception_fp_ieee_overflow 0
		.amdhsa_exception_fp_ieee_underflow 0
		.amdhsa_exception_fp_ieee_inexact 0
		.amdhsa_exception_int_div_zero 0
	.end_amdhsa_kernel
	.section	.text._ZN4vllm3moe7moeTopKILi256EjEEvPKfPKbPfPT0_PiiiiibS3_,"axG",@progbits,_ZN4vllm3moe7moeTopKILi256EjEEvPKfPKbPfPT0_PiiiiibS3_,comdat
.Lfunc_end44:
	.size	_ZN4vllm3moe7moeTopKILi256EjEEvPKfPKbPfPT0_PiiiiibS3_, .Lfunc_end44-_ZN4vllm3moe7moeTopKILi256EjEEvPKfPKbPfPT0_PiiiiibS3_
                                        ; -- End function
	.section	.AMDGPU.csdata,"",@progbits
; Kernel info:
; codeLenInByte = 1756
; NumSgprs: 42
; NumVgprs: 15
; ScratchSize: 0
; MemoryBound: 0
; FloatMode: 240
; IeeeMode: 1
; LDSByteSize: 64 bytes/workgroup (compile time only)
; SGPRBlocks: 5
; VGPRBlocks: 1
; NumSGPRsForWavesPerEU: 42
; NumVGPRsForWavesPerEU: 15
; Occupancy: 16
; WaveLimiterHint : 0
; COMPUTE_PGM_RSRC2:SCRATCH_EN: 0
; COMPUTE_PGM_RSRC2:USER_SGPR: 15
; COMPUTE_PGM_RSRC2:TRAP_HANDLER: 0
; COMPUTE_PGM_RSRC2:TGID_X_EN: 1
; COMPUTE_PGM_RSRC2:TGID_Y_EN: 0
; COMPUTE_PGM_RSRC2:TGID_Z_EN: 0
; COMPUTE_PGM_RSRC2:TIDIG_COMP_CNT: 0
	.section	.text._ZN4vllm3moe10topkGatingILi1ELi1ELi4ELi4ELi64ElfLNS0_11ScoringFuncE0EEEvPKT5_PKbPfiPT4_PiiiibPKf,"axG",@progbits,_ZN4vllm3moe10topkGatingILi1ELi1ELi4ELi4ELi64ElfLNS0_11ScoringFuncE0EEEvPKT5_PKbPfiPT4_PiiiibPKf,comdat
	.protected	_ZN4vllm3moe10topkGatingILi1ELi1ELi4ELi4ELi64ElfLNS0_11ScoringFuncE0EEEvPKT5_PKbPfiPT4_PiiiibPKf ; -- Begin function _ZN4vllm3moe10topkGatingILi1ELi1ELi4ELi4ELi64ElfLNS0_11ScoringFuncE0EEEvPKT5_PKbPfiPT4_PiiiibPKf
	.globl	_ZN4vllm3moe10topkGatingILi1ELi1ELi4ELi4ELi64ElfLNS0_11ScoringFuncE0EEEvPKT5_PKbPfiPT4_PiiiibPKf
	.p2align	8
	.type	_ZN4vllm3moe10topkGatingILi1ELi1ELi4ELi4ELi64ElfLNS0_11ScoringFuncE0EEEvPKT5_PKbPfiPT4_PiiiibPKf,@function
_ZN4vllm3moe10topkGatingILi1ELi1ELi4ELi4ELi64ElfLNS0_11ScoringFuncE0EEEvPKT5_PKbPfiPT4_PiiiibPKf: ; @_ZN4vllm3moe10topkGatingILi1ELi1ELi4ELi4ELi64ElfLNS0_11ScoringFuncE0EEEvPKT5_PKbPfiPT4_PiiiibPKf
; %bb.0:
	s_load_b32 s3, s[0:1], 0x18
	v_bfe_u32 v1, v0, 10, 10
	v_and_b32_e32 v0, 0x3ff, v0
	s_lshl_b32 s2, s15, 8
	s_delay_alu instid0(VALU_DEP_2) | instskip(NEXT) | instid1(VALU_DEP_1)
	v_lshlrev_b32_e32 v1, 6, v1
	v_add3_u32 v0, v1, v0, s2
	s_mov_b32 s2, exec_lo
	s_waitcnt lgkmcnt(0)
	s_delay_alu instid0(VALU_DEP_1)
	v_cmpx_gt_i32_e64 s3, v0
	s_cbranch_execz .LBB45_12
; %bb.1:
	s_clause 0x1
	s_load_b128 s[8:11], s[0:1], 0x0
	s_load_b64 s[12:13], s[0:1], 0x10
	v_ashrrev_i32_e32 v1, 31, v0
	s_waitcnt lgkmcnt(0)
	s_cmp_eq_u64 s[10:11], 0
	s_cbranch_scc1 .LBB45_3
; %bb.2:
	v_add_co_u32 v2, vcc_lo, s10, v0
	v_add_co_ci_u32_e32 v3, vcc_lo, s11, v1, vcc_lo
	global_load_u8 v2, v[2:3], off
	s_waitcnt vmcnt(0)
	v_and_b32_e32 v2, 1, v2
	s_delay_alu instid0(VALU_DEP_1) | instskip(SKIP_1) | instid1(SALU_CYCLE_1)
	v_cmp_eq_u32_e32 vcc_lo, 1, v2
	s_xor_b32 s2, vcc_lo, -1
	s_or_not1_b32 s14, s2, exec_lo
	s_branch .LBB45_4
.LBB45_3:
	s_mov_b32 s14, -1
.LBB45_4:
	s_load_b128 s[4:7], s[0:1], 0x30
	s_waitcnt lgkmcnt(0)
	s_bitcmp1_b32 s7, 0
	s_cselect_b32 s2, -1, 0
	s_cmp_gt_i32 s4, 0
	s_cselect_b32 s7, -1, 0
	s_cmp_lt_i32 s4, 1
	s_cbranch_scc1 .LBB45_8
; %bb.5:
	v_lshlrev_b64 v[1:2], 2, v[0:1]
	s_cmp_lt_i32 s5, 1
	v_mov_b32_e32 v9, 0
	s_delay_alu instid0(VALU_DEP_2) | instskip(NEXT) | instid1(VALU_DEP_3)
	v_add_co_u32 v1, vcc_lo, s8, v1
	v_add_co_ci_u32_e32 v2, vcc_lo, s9, v2, vcc_lo
	s_load_b128 s[8:11], s[0:1], 0x20
	s_cselect_b32 s0, -1, 0
	s_cmp_gt_i32 s6, 0
	global_load_b32 v1, v[1:2], off
	s_cselect_b32 s1, -1, 0
	s_sub_i32 s5, 0, s5
	s_and_b32 s0, s0, s1
	s_ashr_i32 s1, s5, 31
	s_and_b32 s0, s14, s0
	s_waitcnt vmcnt(0)
	v_sub_f32_e32 v1, v1, v1
	s_delay_alu instid0(VALU_DEP_1) | instskip(NEXT) | instid1(VALU_DEP_1)
	v_mul_f32_e32 v2, 0x3fb8aa3b, v1
	v_fma_f32 v3, 0x3fb8aa3b, v1, -v2
	v_rndne_f32_e32 v4, v2
	s_delay_alu instid0(VALU_DEP_1) | instskip(SKIP_1) | instid1(VALU_DEP_4)
	v_sub_f32_e32 v2, v2, v4
	v_cmp_ngt_f32_e32 vcc_lo, 0xc2ce8ed0, v1
	v_fmamk_f32 v3, v1, 0x32a5705f, v3
	s_delay_alu instid0(VALU_DEP_1) | instskip(SKIP_1) | instid1(VALU_DEP_2)
	v_add_f32_e32 v2, v2, v3
	v_cvt_i32_f32_e32 v3, v4
	v_exp_f32_e32 v2, v2
	s_waitcnt_depctr 0xfff
	v_ldexp_f32 v2, v2, v3
	v_mul_lo_u32 v3, v0, s4
	s_delay_alu instid0(VALU_DEP_2) | instskip(SKIP_1) | instid1(VALU_DEP_3)
	v_cndmask_b32_e32 v2, 0, v2, vcc_lo
	v_cmp_nlt_f32_e32 vcc_lo, 0x42b17218, v1
	v_ashrrev_i32_e32 v4, 31, v3
	s_delay_alu instid0(VALU_DEP_3) | instskip(SKIP_1) | instid1(VALU_DEP_3)
	v_cndmask_b32_e32 v10, 0x7f800000, v2, vcc_lo
	v_cndmask_b32_e64 v2, 0, s1, s0
	v_lshlrev_b64 v[7:8], 2, v[3:4]
	s_delay_alu instid0(VALU_DEP_3) | instskip(SKIP_1) | instid1(VALU_DEP_2)
	v_div_scale_f32 v5, null, v10, v10, 1.0
	v_div_scale_f32 v6, vcc_lo, 1.0, v10, 1.0
	v_rcp_f32_e32 v11, v5
	s_waitcnt_depctr 0xfff
	v_fma_f32 v1, -v5, v11, 1.0
	s_delay_alu instid0(VALU_DEP_1) | instskip(NEXT) | instid1(VALU_DEP_1)
	v_fmac_f32_e32 v11, v1, v11
	v_mul_f32_e32 v12, v6, v11
	s_delay_alu instid0(VALU_DEP_1) | instskip(NEXT) | instid1(VALU_DEP_1)
	v_fma_f32 v1, -v5, v12, v6
	v_fmac_f32_e32 v12, v1, v11
	v_cndmask_b32_e64 v1, 1, s5, s0
	s_mov_b32 s0, s4
	s_delay_alu instid0(VALU_DEP_2) | instskip(SKIP_1) | instid1(VALU_DEP_2)
	v_fma_f32 v13, -v5, v12, v6
	v_lshlrev_b64 v[5:6], 3, v[3:4]
	v_div_fmas_f32 v11, v13, v11, v12
	v_add_co_u32 v3, vcc_lo, s12, v7
	v_add_co_ci_u32_e32 v4, vcc_lo, s13, v8, vcc_lo
	s_delay_alu instid0(VALU_DEP_3) | instskip(SKIP_3) | instid1(VALU_DEP_3)
	v_div_fixup_f32 v11, v11, v10, 1.0
	s_waitcnt lgkmcnt(0)
	v_add_co_u32 v5, vcc_lo, s8, v5
	v_add_co_ci_u32_e32 v6, vcc_lo, s9, v6, vcc_lo
	v_dual_mul_f32 v10, v10, v11 :: v_dual_mov_b32 v11, v0
	v_add_co_u32 v7, vcc_lo, s10, v7
	v_add_co_ci_u32_e32 v8, vcc_lo, s11, v8, vcc_lo
	s_delay_alu instid0(VALU_DEP_3)
	v_cmp_class_f32_e64 vcc_lo, v10, 0x1f8
	v_cndmask_b32_e32 v10, 0, v10, vcc_lo
	.p2align	6
.LBB45_6:                               ; =>This Inner Loop Header: Depth=1
	global_store_b32 v[3:4], v10, off
	global_store_b64 v[5:6], v[1:2], off
	global_store_b32 v[7:8], v11, off
	v_add_co_u32 v3, vcc_lo, v3, 4
	v_add_co_ci_u32_e32 v4, vcc_lo, 0, v4, vcc_lo
	v_dual_add_f32 v12, v9, v10 :: v_dual_add_nc_u32 v11, s3, v11
	v_add_co_u32 v5, vcc_lo, v5, 8
	v_add_co_ci_u32_e32 v6, vcc_lo, 0, v6, vcc_lo
	v_add_co_u32 v7, vcc_lo, v7, 4
	s_delay_alu instid0(VALU_DEP_4) | instskip(SKIP_2) | instid1(SALU_CYCLE_1)
	v_cndmask_b32_e64 v9, v9, v12, s2
	v_add_co_ci_u32_e32 v8, vcc_lo, 0, v8, vcc_lo
	s_add_i32 s0, s0, -1
	s_cmp_lg_u32 s0, 0
	s_cbranch_scc1 .LBB45_6
; %bb.7:
	s_and_not1_b32 vcc_lo, exec_lo, s2
	s_cbranch_vccz .LBB45_9
	s_branch .LBB45_12
.LBB45_8:
	v_mov_b32_e32 v9, 0
	s_and_not1_b32 vcc_lo, exec_lo, s2
	s_cbranch_vccnz .LBB45_12
.LBB45_9:
	s_and_not1_b32 vcc_lo, exec_lo, s7
	s_cbranch_vccnz .LBB45_12
; %bb.10:
	v_mul_lo_u32 v0, v0, s4
	v_cmp_lt_f32_e32 vcc_lo, 0, v9
	v_cndmask_b32_e32 v2, 1.0, v9, vcc_lo
	s_delay_alu instid0(VALU_DEP_3) | instskip(NEXT) | instid1(VALU_DEP_1)
	v_ashrrev_i32_e32 v1, 31, v0
	v_lshlrev_b64 v[0:1], 2, v[0:1]
	s_delay_alu instid0(VALU_DEP_1) | instskip(NEXT) | instid1(VALU_DEP_2)
	v_add_co_u32 v0, vcc_lo, s12, v0
	v_add_co_ci_u32_e32 v1, vcc_lo, s13, v1, vcc_lo
	.p2align	6
.LBB45_11:                              ; =>This Inner Loop Header: Depth=1
	global_load_b32 v3, v[0:1], off
	s_add_i32 s4, s4, -1
	s_delay_alu instid0(SALU_CYCLE_1) | instskip(SKIP_3) | instid1(VALU_DEP_2)
	s_cmp_lg_u32 s4, 0
	s_waitcnt vmcnt(0)
	v_div_scale_f32 v4, null, v2, v2, v3
	v_div_scale_f32 v7, vcc_lo, v3, v2, v3
	v_rcp_f32_e32 v5, v4
	s_waitcnt_depctr 0xfff
	v_fma_f32 v6, -v4, v5, 1.0
	s_delay_alu instid0(VALU_DEP_1) | instskip(NEXT) | instid1(VALU_DEP_1)
	v_fmac_f32_e32 v5, v6, v5
	v_mul_f32_e32 v6, v7, v5
	s_delay_alu instid0(VALU_DEP_1) | instskip(NEXT) | instid1(VALU_DEP_1)
	v_fma_f32 v8, -v4, v6, v7
	v_fmac_f32_e32 v6, v8, v5
	s_delay_alu instid0(VALU_DEP_1) | instskip(NEXT) | instid1(VALU_DEP_1)
	v_fma_f32 v4, -v4, v6, v7
	v_div_fmas_f32 v4, v4, v5, v6
	s_delay_alu instid0(VALU_DEP_1)
	v_div_fixup_f32 v3, v4, v2, v3
	global_store_b32 v[0:1], v3, off
	v_add_co_u32 v0, vcc_lo, v0, 4
	v_add_co_ci_u32_e32 v1, vcc_lo, 0, v1, vcc_lo
	s_cbranch_scc1 .LBB45_11
.LBB45_12:
	s_nop 0
	s_sendmsg sendmsg(MSG_DEALLOC_VGPRS)
	s_endpgm
	.section	.rodata,"a",@progbits
	.p2align	6, 0x0
	.amdhsa_kernel _ZN4vllm3moe10topkGatingILi1ELi1ELi4ELi4ELi64ElfLNS0_11ScoringFuncE0EEEvPKT5_PKbPfiPT4_PiiiibPKf
		.amdhsa_group_segment_fixed_size 0
		.amdhsa_private_segment_fixed_size 0
		.amdhsa_kernarg_size 72
		.amdhsa_user_sgpr_count 15
		.amdhsa_user_sgpr_dispatch_ptr 0
		.amdhsa_user_sgpr_queue_ptr 0
		.amdhsa_user_sgpr_kernarg_segment_ptr 1
		.amdhsa_user_sgpr_dispatch_id 0
		.amdhsa_user_sgpr_private_segment_size 0
		.amdhsa_wavefront_size32 1
		.amdhsa_uses_dynamic_stack 0
		.amdhsa_enable_private_segment 0
		.amdhsa_system_sgpr_workgroup_id_x 1
		.amdhsa_system_sgpr_workgroup_id_y 0
		.amdhsa_system_sgpr_workgroup_id_z 0
		.amdhsa_system_sgpr_workgroup_info 0
		.amdhsa_system_vgpr_workitem_id 1
		.amdhsa_next_free_vgpr 14
		.amdhsa_next_free_sgpr 16
		.amdhsa_reserve_vcc 1
		.amdhsa_float_round_mode_32 0
		.amdhsa_float_round_mode_16_64 0
		.amdhsa_float_denorm_mode_32 3
		.amdhsa_float_denorm_mode_16_64 3
		.amdhsa_dx10_clamp 1
		.amdhsa_ieee_mode 1
		.amdhsa_fp16_overflow 0
		.amdhsa_workgroup_processor_mode 1
		.amdhsa_memory_ordered 1
		.amdhsa_forward_progress 0
		.amdhsa_shared_vgpr_count 0
		.amdhsa_exception_fp_ieee_invalid_op 0
		.amdhsa_exception_fp_denorm_src 0
		.amdhsa_exception_fp_ieee_div_zero 0
		.amdhsa_exception_fp_ieee_overflow 0
		.amdhsa_exception_fp_ieee_underflow 0
		.amdhsa_exception_fp_ieee_inexact 0
		.amdhsa_exception_int_div_zero 0
	.end_amdhsa_kernel
	.section	.text._ZN4vllm3moe10topkGatingILi1ELi1ELi4ELi4ELi64ElfLNS0_11ScoringFuncE0EEEvPKT5_PKbPfiPT4_PiiiibPKf,"axG",@progbits,_ZN4vllm3moe10topkGatingILi1ELi1ELi4ELi4ELi64ElfLNS0_11ScoringFuncE0EEEvPKT5_PKbPfiPT4_PiiiibPKf,comdat
.Lfunc_end45:
	.size	_ZN4vllm3moe10topkGatingILi1ELi1ELi4ELi4ELi64ElfLNS0_11ScoringFuncE0EEEvPKT5_PKbPfiPT4_PiiiibPKf, .Lfunc_end45-_ZN4vllm3moe10topkGatingILi1ELi1ELi4ELi4ELi64ElfLNS0_11ScoringFuncE0EEEvPKT5_PKbPfiPT4_PiiiibPKf
                                        ; -- End function
	.section	.AMDGPU.csdata,"",@progbits
; Kernel info:
; codeLenInByte = 920
; NumSgprs: 18
; NumVgprs: 14
; ScratchSize: 0
; MemoryBound: 0
; FloatMode: 240
; IeeeMode: 1
; LDSByteSize: 0 bytes/workgroup (compile time only)
; SGPRBlocks: 2
; VGPRBlocks: 1
; NumSGPRsForWavesPerEU: 18
; NumVGPRsForWavesPerEU: 14
; Occupancy: 16
; WaveLimiterHint : 0
; COMPUTE_PGM_RSRC2:SCRATCH_EN: 0
; COMPUTE_PGM_RSRC2:USER_SGPR: 15
; COMPUTE_PGM_RSRC2:TRAP_HANDLER: 0
; COMPUTE_PGM_RSRC2:TGID_X_EN: 1
; COMPUTE_PGM_RSRC2:TGID_Y_EN: 0
; COMPUTE_PGM_RSRC2:TGID_Z_EN: 0
; COMPUTE_PGM_RSRC2:TIDIG_COMP_CNT: 1
	.section	.text._ZN4vllm3moe10topkGatingILi1ELi1ELi4ELi4ELi32ElfLNS0_11ScoringFuncE0EEEvPKT5_PKbPfiPT4_PiiiibPKf,"axG",@progbits,_ZN4vllm3moe10topkGatingILi1ELi1ELi4ELi4ELi32ElfLNS0_11ScoringFuncE0EEEvPKT5_PKbPfiPT4_PiiiibPKf,comdat
	.protected	_ZN4vllm3moe10topkGatingILi1ELi1ELi4ELi4ELi32ElfLNS0_11ScoringFuncE0EEEvPKT5_PKbPfiPT4_PiiiibPKf ; -- Begin function _ZN4vllm3moe10topkGatingILi1ELi1ELi4ELi4ELi32ElfLNS0_11ScoringFuncE0EEEvPKT5_PKbPfiPT4_PiiiibPKf
	.globl	_ZN4vllm3moe10topkGatingILi1ELi1ELi4ELi4ELi32ElfLNS0_11ScoringFuncE0EEEvPKT5_PKbPfiPT4_PiiiibPKf
	.p2align	8
	.type	_ZN4vllm3moe10topkGatingILi1ELi1ELi4ELi4ELi32ElfLNS0_11ScoringFuncE0EEEvPKT5_PKbPfiPT4_PiiiibPKf,@function
_ZN4vllm3moe10topkGatingILi1ELi1ELi4ELi4ELi32ElfLNS0_11ScoringFuncE0EEEvPKT5_PKbPfiPT4_PiiiibPKf: ; @_ZN4vllm3moe10topkGatingILi1ELi1ELi4ELi4ELi32ElfLNS0_11ScoringFuncE0EEEvPKT5_PKbPfiPT4_PiiiibPKf
; %bb.0:
	s_load_b32 s3, s[0:1], 0x18
	v_bfe_u32 v1, v0, 10, 10
	v_and_b32_e32 v0, 0x3ff, v0
	s_lshl_b32 s2, s15, 7
	s_delay_alu instid0(VALU_DEP_2) | instskip(NEXT) | instid1(VALU_DEP_1)
	v_lshlrev_b32_e32 v1, 5, v1
	v_add3_u32 v0, v1, v0, s2
	s_mov_b32 s2, exec_lo
	s_waitcnt lgkmcnt(0)
	s_delay_alu instid0(VALU_DEP_1)
	v_cmpx_gt_i32_e64 s3, v0
	s_cbranch_execz .LBB46_12
; %bb.1:
	s_clause 0x1
	s_load_b128 s[8:11], s[0:1], 0x0
	s_load_b64 s[12:13], s[0:1], 0x10
	v_ashrrev_i32_e32 v1, 31, v0
	s_waitcnt lgkmcnt(0)
	s_cmp_eq_u64 s[10:11], 0
	s_cbranch_scc1 .LBB46_3
; %bb.2:
	v_add_co_u32 v2, vcc_lo, s10, v0
	v_add_co_ci_u32_e32 v3, vcc_lo, s11, v1, vcc_lo
	global_load_u8 v2, v[2:3], off
	s_waitcnt vmcnt(0)
	v_and_b32_e32 v2, 1, v2
	s_delay_alu instid0(VALU_DEP_1) | instskip(SKIP_1) | instid1(SALU_CYCLE_1)
	v_cmp_eq_u32_e32 vcc_lo, 1, v2
	s_xor_b32 s2, vcc_lo, -1
	s_or_not1_b32 s14, s2, exec_lo
	s_branch .LBB46_4
.LBB46_3:
	s_mov_b32 s14, -1
.LBB46_4:
	s_load_b128 s[4:7], s[0:1], 0x30
	s_waitcnt lgkmcnt(0)
	s_bitcmp1_b32 s7, 0
	s_cselect_b32 s2, -1, 0
	s_cmp_gt_i32 s4, 0
	s_cselect_b32 s7, -1, 0
	s_cmp_lt_i32 s4, 1
	s_cbranch_scc1 .LBB46_8
; %bb.5:
	v_lshlrev_b64 v[1:2], 2, v[0:1]
	s_cmp_lt_i32 s5, 1
	v_mov_b32_e32 v9, 0
	s_delay_alu instid0(VALU_DEP_2) | instskip(NEXT) | instid1(VALU_DEP_3)
	v_add_co_u32 v1, vcc_lo, s8, v1
	v_add_co_ci_u32_e32 v2, vcc_lo, s9, v2, vcc_lo
	s_load_b128 s[8:11], s[0:1], 0x20
	s_cselect_b32 s0, -1, 0
	s_cmp_gt_i32 s6, 0
	global_load_b32 v1, v[1:2], off
	s_cselect_b32 s1, -1, 0
	s_sub_i32 s5, 0, s5
	s_and_b32 s0, s0, s1
	s_ashr_i32 s1, s5, 31
	s_and_b32 s0, s14, s0
	s_waitcnt vmcnt(0)
	v_sub_f32_e32 v1, v1, v1
	s_delay_alu instid0(VALU_DEP_1) | instskip(NEXT) | instid1(VALU_DEP_1)
	v_mul_f32_e32 v2, 0x3fb8aa3b, v1
	v_fma_f32 v3, 0x3fb8aa3b, v1, -v2
	v_rndne_f32_e32 v4, v2
	s_delay_alu instid0(VALU_DEP_1) | instskip(SKIP_1) | instid1(VALU_DEP_4)
	v_sub_f32_e32 v2, v2, v4
	v_cmp_ngt_f32_e32 vcc_lo, 0xc2ce8ed0, v1
	v_fmamk_f32 v3, v1, 0x32a5705f, v3
	s_delay_alu instid0(VALU_DEP_1) | instskip(SKIP_1) | instid1(VALU_DEP_2)
	v_add_f32_e32 v2, v2, v3
	v_cvt_i32_f32_e32 v3, v4
	v_exp_f32_e32 v2, v2
	s_waitcnt_depctr 0xfff
	v_ldexp_f32 v2, v2, v3
	v_mul_lo_u32 v3, v0, s4
	s_delay_alu instid0(VALU_DEP_2) | instskip(SKIP_1) | instid1(VALU_DEP_3)
	v_cndmask_b32_e32 v2, 0, v2, vcc_lo
	v_cmp_nlt_f32_e32 vcc_lo, 0x42b17218, v1
	v_ashrrev_i32_e32 v4, 31, v3
	s_delay_alu instid0(VALU_DEP_3) | instskip(SKIP_1) | instid1(VALU_DEP_3)
	v_cndmask_b32_e32 v10, 0x7f800000, v2, vcc_lo
	v_cndmask_b32_e64 v2, 0, s1, s0
	v_lshlrev_b64 v[7:8], 2, v[3:4]
	s_delay_alu instid0(VALU_DEP_3) | instskip(SKIP_1) | instid1(VALU_DEP_2)
	v_div_scale_f32 v5, null, v10, v10, 1.0
	v_div_scale_f32 v6, vcc_lo, 1.0, v10, 1.0
	v_rcp_f32_e32 v11, v5
	s_waitcnt_depctr 0xfff
	v_fma_f32 v1, -v5, v11, 1.0
	s_delay_alu instid0(VALU_DEP_1) | instskip(NEXT) | instid1(VALU_DEP_1)
	v_fmac_f32_e32 v11, v1, v11
	v_mul_f32_e32 v12, v6, v11
	s_delay_alu instid0(VALU_DEP_1) | instskip(NEXT) | instid1(VALU_DEP_1)
	v_fma_f32 v1, -v5, v12, v6
	v_fmac_f32_e32 v12, v1, v11
	v_cndmask_b32_e64 v1, 1, s5, s0
	s_mov_b32 s0, s4
	s_delay_alu instid0(VALU_DEP_2) | instskip(SKIP_1) | instid1(VALU_DEP_2)
	v_fma_f32 v13, -v5, v12, v6
	v_lshlrev_b64 v[5:6], 3, v[3:4]
	v_div_fmas_f32 v11, v13, v11, v12
	v_add_co_u32 v3, vcc_lo, s12, v7
	v_add_co_ci_u32_e32 v4, vcc_lo, s13, v8, vcc_lo
	s_delay_alu instid0(VALU_DEP_3) | instskip(SKIP_3) | instid1(VALU_DEP_3)
	v_div_fixup_f32 v11, v11, v10, 1.0
	s_waitcnt lgkmcnt(0)
	v_add_co_u32 v5, vcc_lo, s8, v5
	v_add_co_ci_u32_e32 v6, vcc_lo, s9, v6, vcc_lo
	v_dual_mul_f32 v10, v10, v11 :: v_dual_mov_b32 v11, v0
	v_add_co_u32 v7, vcc_lo, s10, v7
	v_add_co_ci_u32_e32 v8, vcc_lo, s11, v8, vcc_lo
	s_delay_alu instid0(VALU_DEP_3)
	v_cmp_class_f32_e64 vcc_lo, v10, 0x1f8
	v_cndmask_b32_e32 v10, 0, v10, vcc_lo
	.p2align	6
.LBB46_6:                               ; =>This Inner Loop Header: Depth=1
	global_store_b32 v[3:4], v10, off
	global_store_b64 v[5:6], v[1:2], off
	global_store_b32 v[7:8], v11, off
	v_add_co_u32 v3, vcc_lo, v3, 4
	v_add_co_ci_u32_e32 v4, vcc_lo, 0, v4, vcc_lo
	v_dual_add_f32 v12, v9, v10 :: v_dual_add_nc_u32 v11, s3, v11
	v_add_co_u32 v5, vcc_lo, v5, 8
	v_add_co_ci_u32_e32 v6, vcc_lo, 0, v6, vcc_lo
	v_add_co_u32 v7, vcc_lo, v7, 4
	s_delay_alu instid0(VALU_DEP_4) | instskip(SKIP_2) | instid1(SALU_CYCLE_1)
	v_cndmask_b32_e64 v9, v9, v12, s2
	v_add_co_ci_u32_e32 v8, vcc_lo, 0, v8, vcc_lo
	s_add_i32 s0, s0, -1
	s_cmp_lg_u32 s0, 0
	s_cbranch_scc1 .LBB46_6
; %bb.7:
	s_and_not1_b32 vcc_lo, exec_lo, s2
	s_cbranch_vccz .LBB46_9
	s_branch .LBB46_12
.LBB46_8:
	v_mov_b32_e32 v9, 0
	s_and_not1_b32 vcc_lo, exec_lo, s2
	s_cbranch_vccnz .LBB46_12
.LBB46_9:
	s_and_not1_b32 vcc_lo, exec_lo, s7
	s_cbranch_vccnz .LBB46_12
; %bb.10:
	v_mul_lo_u32 v0, v0, s4
	v_cmp_lt_f32_e32 vcc_lo, 0, v9
	v_cndmask_b32_e32 v2, 1.0, v9, vcc_lo
	s_delay_alu instid0(VALU_DEP_3) | instskip(NEXT) | instid1(VALU_DEP_1)
	v_ashrrev_i32_e32 v1, 31, v0
	v_lshlrev_b64 v[0:1], 2, v[0:1]
	s_delay_alu instid0(VALU_DEP_1) | instskip(NEXT) | instid1(VALU_DEP_2)
	v_add_co_u32 v0, vcc_lo, s12, v0
	v_add_co_ci_u32_e32 v1, vcc_lo, s13, v1, vcc_lo
	.p2align	6
.LBB46_11:                              ; =>This Inner Loop Header: Depth=1
	global_load_b32 v3, v[0:1], off
	s_add_i32 s4, s4, -1
	s_delay_alu instid0(SALU_CYCLE_1) | instskip(SKIP_3) | instid1(VALU_DEP_2)
	s_cmp_lg_u32 s4, 0
	s_waitcnt vmcnt(0)
	v_div_scale_f32 v4, null, v2, v2, v3
	v_div_scale_f32 v7, vcc_lo, v3, v2, v3
	v_rcp_f32_e32 v5, v4
	s_waitcnt_depctr 0xfff
	v_fma_f32 v6, -v4, v5, 1.0
	s_delay_alu instid0(VALU_DEP_1) | instskip(NEXT) | instid1(VALU_DEP_1)
	v_fmac_f32_e32 v5, v6, v5
	v_mul_f32_e32 v6, v7, v5
	s_delay_alu instid0(VALU_DEP_1) | instskip(NEXT) | instid1(VALU_DEP_1)
	v_fma_f32 v8, -v4, v6, v7
	v_fmac_f32_e32 v6, v8, v5
	s_delay_alu instid0(VALU_DEP_1) | instskip(NEXT) | instid1(VALU_DEP_1)
	v_fma_f32 v4, -v4, v6, v7
	v_div_fmas_f32 v4, v4, v5, v6
	s_delay_alu instid0(VALU_DEP_1)
	v_div_fixup_f32 v3, v4, v2, v3
	global_store_b32 v[0:1], v3, off
	v_add_co_u32 v0, vcc_lo, v0, 4
	v_add_co_ci_u32_e32 v1, vcc_lo, 0, v1, vcc_lo
	s_cbranch_scc1 .LBB46_11
.LBB46_12:
	s_nop 0
	s_sendmsg sendmsg(MSG_DEALLOC_VGPRS)
	s_endpgm
	.section	.rodata,"a",@progbits
	.p2align	6, 0x0
	.amdhsa_kernel _ZN4vllm3moe10topkGatingILi1ELi1ELi4ELi4ELi32ElfLNS0_11ScoringFuncE0EEEvPKT5_PKbPfiPT4_PiiiibPKf
		.amdhsa_group_segment_fixed_size 0
		.amdhsa_private_segment_fixed_size 0
		.amdhsa_kernarg_size 72
		.amdhsa_user_sgpr_count 15
		.amdhsa_user_sgpr_dispatch_ptr 0
		.amdhsa_user_sgpr_queue_ptr 0
		.amdhsa_user_sgpr_kernarg_segment_ptr 1
		.amdhsa_user_sgpr_dispatch_id 0
		.amdhsa_user_sgpr_private_segment_size 0
		.amdhsa_wavefront_size32 1
		.amdhsa_uses_dynamic_stack 0
		.amdhsa_enable_private_segment 0
		.amdhsa_system_sgpr_workgroup_id_x 1
		.amdhsa_system_sgpr_workgroup_id_y 0
		.amdhsa_system_sgpr_workgroup_id_z 0
		.amdhsa_system_sgpr_workgroup_info 0
		.amdhsa_system_vgpr_workitem_id 1
		.amdhsa_next_free_vgpr 14
		.amdhsa_next_free_sgpr 16
		.amdhsa_reserve_vcc 1
		.amdhsa_float_round_mode_32 0
		.amdhsa_float_round_mode_16_64 0
		.amdhsa_float_denorm_mode_32 3
		.amdhsa_float_denorm_mode_16_64 3
		.amdhsa_dx10_clamp 1
		.amdhsa_ieee_mode 1
		.amdhsa_fp16_overflow 0
		.amdhsa_workgroup_processor_mode 1
		.amdhsa_memory_ordered 1
		.amdhsa_forward_progress 0
		.amdhsa_shared_vgpr_count 0
		.amdhsa_exception_fp_ieee_invalid_op 0
		.amdhsa_exception_fp_denorm_src 0
		.amdhsa_exception_fp_ieee_div_zero 0
		.amdhsa_exception_fp_ieee_overflow 0
		.amdhsa_exception_fp_ieee_underflow 0
		.amdhsa_exception_fp_ieee_inexact 0
		.amdhsa_exception_int_div_zero 0
	.end_amdhsa_kernel
	.section	.text._ZN4vllm3moe10topkGatingILi1ELi1ELi4ELi4ELi32ElfLNS0_11ScoringFuncE0EEEvPKT5_PKbPfiPT4_PiiiibPKf,"axG",@progbits,_ZN4vllm3moe10topkGatingILi1ELi1ELi4ELi4ELi32ElfLNS0_11ScoringFuncE0EEEvPKT5_PKbPfiPT4_PiiiibPKf,comdat
.Lfunc_end46:
	.size	_ZN4vllm3moe10topkGatingILi1ELi1ELi4ELi4ELi32ElfLNS0_11ScoringFuncE0EEEvPKT5_PKbPfiPT4_PiiiibPKf, .Lfunc_end46-_ZN4vllm3moe10topkGatingILi1ELi1ELi4ELi4ELi32ElfLNS0_11ScoringFuncE0EEEvPKT5_PKbPfiPT4_PiiiibPKf
                                        ; -- End function
	.section	.AMDGPU.csdata,"",@progbits
; Kernel info:
; codeLenInByte = 920
; NumSgprs: 18
; NumVgprs: 14
; ScratchSize: 0
; MemoryBound: 0
; FloatMode: 240
; IeeeMode: 1
; LDSByteSize: 0 bytes/workgroup (compile time only)
; SGPRBlocks: 2
; VGPRBlocks: 1
; NumSGPRsForWavesPerEU: 18
; NumVGPRsForWavesPerEU: 14
; Occupancy: 16
; WaveLimiterHint : 0
; COMPUTE_PGM_RSRC2:SCRATCH_EN: 0
; COMPUTE_PGM_RSRC2:USER_SGPR: 15
; COMPUTE_PGM_RSRC2:TRAP_HANDLER: 0
; COMPUTE_PGM_RSRC2:TGID_X_EN: 1
; COMPUTE_PGM_RSRC2:TGID_Y_EN: 0
; COMPUTE_PGM_RSRC2:TGID_Z_EN: 0
; COMPUTE_PGM_RSRC2:TIDIG_COMP_CNT: 1
	.section	.text._ZN4vllm3moe10topkGatingILi2ELi2ELi4ELi8ELi64ElfLNS0_11ScoringFuncE0EEEvPKT5_PKbPfiPT4_PiiiibPKf,"axG",@progbits,_ZN4vllm3moe10topkGatingILi2ELi2ELi4ELi8ELi64ElfLNS0_11ScoringFuncE0EEEvPKT5_PKbPfiPT4_PiiiibPKf,comdat
	.protected	_ZN4vllm3moe10topkGatingILi2ELi2ELi4ELi8ELi64ElfLNS0_11ScoringFuncE0EEEvPKT5_PKbPfiPT4_PiiiibPKf ; -- Begin function _ZN4vllm3moe10topkGatingILi2ELi2ELi4ELi8ELi64ElfLNS0_11ScoringFuncE0EEEvPKT5_PKbPfiPT4_PiiiibPKf
	.globl	_ZN4vllm3moe10topkGatingILi2ELi2ELi4ELi8ELi64ElfLNS0_11ScoringFuncE0EEEvPKT5_PKbPfiPT4_PiiiibPKf
	.p2align	8
	.type	_ZN4vllm3moe10topkGatingILi2ELi2ELi4ELi8ELi64ElfLNS0_11ScoringFuncE0EEEvPKT5_PKbPfiPT4_PiiiibPKf,@function
_ZN4vllm3moe10topkGatingILi2ELi2ELi4ELi8ELi64ElfLNS0_11ScoringFuncE0EEEvPKT5_PKbPfiPT4_PiiiibPKf: ; @_ZN4vllm3moe10topkGatingILi2ELi2ELi4ELi8ELi64ElfLNS0_11ScoringFuncE0EEEvPKT5_PKbPfiPT4_PiiiibPKf
; %bb.0:
	s_load_b32 s8, s[0:1], 0x18
	v_bfe_u32 v1, v0, 10, 10
	v_and_b32_e32 v0, 0x3ff, v0
	s_lshl_b32 s2, s15, 8
	s_delay_alu instid0(VALU_DEP_2) | instskip(NEXT) | instid1(VALU_DEP_1)
	v_lshlrev_b32_e32 v1, 6, v1
	v_add3_u32 v10, v1, v0, s2
	s_mov_b32 s2, exec_lo
	s_waitcnt lgkmcnt(0)
	s_delay_alu instid0(VALU_DEP_1)
	v_cmpx_gt_i32_e64 s8, v10
	s_cbranch_execz .LBB47_14
; %bb.1:
	s_clause 0x1
	s_load_b128 s[4:7], s[0:1], 0x0
	s_load_b64 s[2:3], s[0:1], 0x10
	s_waitcnt lgkmcnt(0)
	s_cmp_eq_u64 s[6:7], 0
	s_cbranch_scc1 .LBB47_3
; %bb.2:
	v_ashrrev_i32_e32 v1, 31, v10
	v_add_co_u32 v0, vcc_lo, s6, v10
	s_delay_alu instid0(VALU_DEP_2) | instskip(SKIP_3) | instid1(VALU_DEP_1)
	v_add_co_ci_u32_e32 v1, vcc_lo, s7, v1, vcc_lo
	global_load_u8 v0, v[0:1], off
	s_waitcnt vmcnt(0)
	v_and_b32_e32 v0, 1, v0
	v_cmp_eq_u32_e32 vcc_lo, 1, v0
	s_xor_b32 s6, vcc_lo, -1
	s_delay_alu instid0(SALU_CYCLE_1)
	s_or_not1_b32 s9, s6, exec_lo
	s_branch .LBB47_4
.LBB47_3:
	s_mov_b32 s9, -1
.LBB47_4:
	v_lshlrev_b32_e32 v0, 1, v10
	s_delay_alu instid0(VALU_DEP_1) | instskip(NEXT) | instid1(VALU_DEP_1)
	v_ashrrev_i32_e32 v1, 31, v0
	v_lshlrev_b64 v[0:1], 2, v[0:1]
	s_delay_alu instid0(VALU_DEP_1) | instskip(NEXT) | instid1(VALU_DEP_2)
	v_add_co_u32 v0, vcc_lo, s4, v0
	v_add_co_ci_u32_e32 v1, vcc_lo, s5, v1, vcc_lo
	s_load_b64 s[4:5], s[0:1], 0x40
	global_load_b64 v[0:1], v[0:1], off
	s_waitcnt lgkmcnt(0)
	s_cmp_eq_u64 s[4:5], 0
	s_waitcnt vmcnt(0)
	v_dual_max_f32 v2, v1, v1 :: v_dual_max_f32 v3, v0, v0
	s_delay_alu instid0(VALU_DEP_1) | instskip(NEXT) | instid1(VALU_DEP_1)
	v_max_f32_e32 v2, v3, v2
	v_sub_f32_e32 v1, v1, v2
	s_delay_alu instid0(VALU_DEP_1) | instskip(NEXT) | instid1(VALU_DEP_1)
	v_mul_f32_e32 v3, 0x3fb8aa3b, v1
	v_rndne_f32_e32 v7, v3
	v_sub_f32_e32 v0, v0, v2
	v_fma_f32 v6, 0x3fb8aa3b, v1, -v3
	s_delay_alu instid0(VALU_DEP_2) | instskip(NEXT) | instid1(VALU_DEP_2)
	v_dual_sub_f32 v3, v3, v7 :: v_dual_mul_f32 v2, 0x3fb8aa3b, v0
	v_fmac_f32_e32 v6, 0x32a5705f, v1
	v_cmp_ngt_f32_e32 vcc_lo, 0xc2ce8ed0, v0
	s_delay_alu instid0(VALU_DEP_3) | instskip(SKIP_1) | instid1(VALU_DEP_2)
	v_fma_f32 v4, 0x3fb8aa3b, v0, -v2
	v_rndne_f32_e32 v5, v2
	v_dual_add_f32 v3, v3, v6 :: v_dual_fmac_f32 v4, 0x32a5705f, v0
	s_delay_alu instid0(VALU_DEP_2) | instskip(NEXT) | instid1(VALU_DEP_2)
	v_sub_f32_e32 v2, v2, v5
	v_exp_f32_e32 v3, v3
	s_delay_alu instid0(VALU_DEP_1) | instskip(SKIP_2) | instid1(VALU_DEP_3)
	v_add_f32_e32 v2, v2, v4
	v_cvt_i32_f32_e32 v4, v5
	v_cvt_i32_f32_e32 v5, v7
	v_exp_f32_e32 v2, v2
	s_waitcnt_depctr 0xfff
	v_ldexp_f32 v3, v3, v5
	v_ldexp_f32 v2, v2, v4
	s_delay_alu instid0(VALU_DEP_1) | instskip(SKIP_1) | instid1(VALU_DEP_4)
	v_cndmask_b32_e32 v2, 0, v2, vcc_lo
	v_cmp_ngt_f32_e32 vcc_lo, 0xc2ce8ed0, v1
	v_cndmask_b32_e32 v3, 0, v3, vcc_lo
	v_cmp_nlt_f32_e32 vcc_lo, 0x42b17218, v0
	s_delay_alu instid0(VALU_DEP_4) | instskip(SKIP_1) | instid1(VALU_DEP_4)
	v_cndmask_b32_e32 v0, 0x7f800000, v2, vcc_lo
	v_cmp_nlt_f32_e32 vcc_lo, 0x42b17218, v1
	v_cndmask_b32_e32 v1, 0x7f800000, v3, vcc_lo
	s_delay_alu instid0(VALU_DEP_1) | instskip(NEXT) | instid1(VALU_DEP_1)
	v_add_f32_e32 v2, v0, v1
	v_div_scale_f32 v3, null, v2, v2, 1.0
	v_div_scale_f32 v6, vcc_lo, 1.0, v2, 1.0
	s_delay_alu instid0(VALU_DEP_2) | instskip(SKIP_2) | instid1(VALU_DEP_1)
	v_rcp_f32_e32 v4, v3
	s_waitcnt_depctr 0xfff
	v_fma_f32 v5, -v3, v4, 1.0
	v_fmac_f32_e32 v4, v5, v4
	s_delay_alu instid0(VALU_DEP_1) | instskip(NEXT) | instid1(VALU_DEP_1)
	v_mul_f32_e32 v5, v6, v4
	v_fma_f32 v7, -v3, v5, v6
	s_delay_alu instid0(VALU_DEP_1) | instskip(NEXT) | instid1(VALU_DEP_1)
	v_fmac_f32_e32 v5, v7, v4
	v_fma_f32 v3, -v3, v5, v6
	s_delay_alu instid0(VALU_DEP_1) | instskip(NEXT) | instid1(VALU_DEP_1)
	v_div_fmas_f32 v3, v3, v4, v5
	v_div_fixup_f32 v2, v3, v2, 1.0
	s_delay_alu instid0(VALU_DEP_1) | instskip(SKIP_1) | instid1(VALU_DEP_1)
	v_mul_f32_e32 v1, v2, v1
	v_mul_f32_e32 v0, v2, v0
	v_cmp_class_f32_e64 vcc_lo, v0, 0x1f8
	v_cndmask_b32_e32 v0, 0, v0, vcc_lo
	s_delay_alu instid0(VALU_DEP_4) | instskip(SKIP_1) | instid1(VALU_DEP_1)
	v_cmp_class_f32_e64 vcc_lo, v1, 0x1f8
	v_cndmask_b32_e32 v1, 0, v1, vcc_lo
	v_dual_mov_b32 v3, v1 :: v_dual_mov_b32 v2, v0
	s_cbranch_scc1 .LBB47_6
; %bb.5:
	s_load_b64 s[4:5], s[4:5], 0x0
	s_waitcnt lgkmcnt(0)
	v_dual_add_f32 v2, s4, v0 :: v_dual_add_f32 v3, s5, v1
.LBB47_6:
	s_load_b128 s[4:7], s[0:1], 0x30
	s_waitcnt lgkmcnt(0)
	s_bitcmp1_b32 s7, 0
	s_cselect_b32 vcc_lo, -1, 0
	s_cmp_gt_i32 s4, 0
	s_cselect_b32 s7, -1, 0
	s_cmp_lt_i32 s4, 1
	s_cbranch_scc1 .LBB47_10
; %bb.7:
	v_mul_lo_u32 v4, v10, s4
	s_load_b128 s[12:15], s[0:1], 0x20
	v_dual_mov_b32 v11, 0 :: v_dual_mov_b32 v12, v10
	s_mov_b32 s10, 0
	s_delay_alu instid0(VALU_DEP_2) | instskip(NEXT) | instid1(VALU_DEP_1)
	v_ashrrev_i32_e32 v5, 31, v4
	v_lshlrev_b64 v[8:9], 2, v[4:5]
	v_lshlrev_b64 v[6:7], 3, v[4:5]
	s_delay_alu instid0(VALU_DEP_2) | instskip(NEXT) | instid1(VALU_DEP_1)
	v_add_co_u32 v4, s0, s2, v8
	v_add_co_ci_u32_e64 v5, s0, s3, v9, s0
	s_waitcnt lgkmcnt(0)
	s_delay_alu instid0(VALU_DEP_3) | instskip(NEXT) | instid1(VALU_DEP_1)
	v_add_co_u32 v6, s0, s12, v6
	v_add_co_ci_u32_e64 v7, s0, s13, v7, s0
	v_add_co_u32 v8, s0, s14, v8
	s_delay_alu instid0(VALU_DEP_1)
	v_add_co_ci_u32_e64 v9, s0, s15, v9, s0
.LBB47_8:                               ; =>This Inner Loop Header: Depth=1
	v_cmp_gt_f32_e64 s0, v3, v2
	global_store_b32 v[8:9], v12, off
	v_add_co_u32 v8, s1, v8, 4
	s_delay_alu instid0(VALU_DEP_1)
	v_add_co_ci_u32_e64 v9, s1, 0, v9, s1
	v_cndmask_b32_e64 v13, v0, v1, s0
	v_cndmask_b32_e64 v14, 0, 1, s0
	;; [unrolled: 1-line block ×4, first 2 shown]
	v_add_nc_u32_e32 v12, s8, v12
	global_store_b32 v[4:5], v13, off
	v_add_f32_e32 v13, v11, v13
	v_add_co_u32 v4, s0, v4, 4
	s_delay_alu instid0(VALU_DEP_1)
	v_add_co_ci_u32_e64 v5, s0, 0, v5, s0
	v_subrev_nc_u32_e32 v17, s5, v14
	v_cmp_le_i32_e64 s0, s5, v14
	v_cmp_gt_i32_e64 s1, s6, v14
	v_cndmask_b32_e32 v11, v11, v13, vcc_lo
	s_add_i32 s10, s10, 1
	v_ashrrev_i32_e32 v13, 31, v17
	s_delay_alu instid0(VALU_DEP_3) | instskip(NEXT) | instid1(SALU_CYCLE_1)
	s_and_b32 s0, s0, s1
	s_and_b32 s0, s9, s0
	s_cmp_lt_i32 s10, s4
	s_delay_alu instid0(VALU_DEP_1)
	v_cndmask_b32_e64 v14, 0, v13, s0
	v_cndmask_b32_e64 v13, 2, v17, s0
	s_cselect_b32 s0, -1, 0
	s_cmp_eq_u32 s4, s10
	v_cndmask_b32_e64 v3, v3, v16, s0
	v_cndmask_b32_e64 v2, v2, v15, s0
	global_store_b64 v[6:7], v[13:14], off
	v_add_co_u32 v6, s0, v6, 8
	s_delay_alu instid0(VALU_DEP_1)
	v_add_co_ci_u32_e64 v7, s0, 0, v7, s0
	s_cbranch_scc0 .LBB47_8
; %bb.9:
	s_and_b32 vcc_lo, exec_lo, vcc_lo
	s_cbranch_vccnz .LBB47_11
	s_branch .LBB47_14
.LBB47_10:
	v_mov_b32_e32 v11, 0
	s_and_b32 vcc_lo, exec_lo, vcc_lo
	s_cbranch_vccz .LBB47_14
.LBB47_11:
	s_and_not1_b32 vcc_lo, exec_lo, s7
	s_cbranch_vccnz .LBB47_14
; %bb.12:
	v_mul_lo_u32 v0, v10, s4
	v_cmp_lt_f32_e32 vcc_lo, 0, v11
	v_cndmask_b32_e32 v2, 1.0, v11, vcc_lo
	s_delay_alu instid0(VALU_DEP_3) | instskip(NEXT) | instid1(VALU_DEP_1)
	v_ashrrev_i32_e32 v1, 31, v0
	v_lshlrev_b64 v[0:1], 2, v[0:1]
	s_delay_alu instid0(VALU_DEP_1) | instskip(NEXT) | instid1(VALU_DEP_2)
	v_add_co_u32 v0, vcc_lo, s2, v0
	v_add_co_ci_u32_e32 v1, vcc_lo, s3, v1, vcc_lo
	.p2align	6
.LBB47_13:                              ; =>This Inner Loop Header: Depth=1
	global_load_b32 v3, v[0:1], off
	s_add_i32 s4, s4, -1
	s_delay_alu instid0(SALU_CYCLE_1) | instskip(SKIP_3) | instid1(VALU_DEP_2)
	s_cmp_lg_u32 s4, 0
	s_waitcnt vmcnt(0)
	v_div_scale_f32 v4, null, v2, v2, v3
	v_div_scale_f32 v7, vcc_lo, v3, v2, v3
	v_rcp_f32_e32 v5, v4
	s_waitcnt_depctr 0xfff
	v_fma_f32 v6, -v4, v5, 1.0
	s_delay_alu instid0(VALU_DEP_1) | instskip(NEXT) | instid1(VALU_DEP_1)
	v_fmac_f32_e32 v5, v6, v5
	v_mul_f32_e32 v6, v7, v5
	s_delay_alu instid0(VALU_DEP_1) | instskip(NEXT) | instid1(VALU_DEP_1)
	v_fma_f32 v8, -v4, v6, v7
	v_fmac_f32_e32 v6, v8, v5
	s_delay_alu instid0(VALU_DEP_1) | instskip(NEXT) | instid1(VALU_DEP_1)
	v_fma_f32 v4, -v4, v6, v7
	v_div_fmas_f32 v4, v4, v5, v6
	s_delay_alu instid0(VALU_DEP_1)
	v_div_fixup_f32 v3, v4, v2, v3
	global_store_b32 v[0:1], v3, off
	v_add_co_u32 v0, vcc_lo, v0, 4
	v_add_co_ci_u32_e32 v1, vcc_lo, 0, v1, vcc_lo
	s_cbranch_scc1 .LBB47_13
.LBB47_14:
	s_nop 0
	s_sendmsg sendmsg(MSG_DEALLOC_VGPRS)
	s_endpgm
	.section	.rodata,"a",@progbits
	.p2align	6, 0x0
	.amdhsa_kernel _ZN4vllm3moe10topkGatingILi2ELi2ELi4ELi8ELi64ElfLNS0_11ScoringFuncE0EEEvPKT5_PKbPfiPT4_PiiiibPKf
		.amdhsa_group_segment_fixed_size 0
		.amdhsa_private_segment_fixed_size 0
		.amdhsa_kernarg_size 72
		.amdhsa_user_sgpr_count 15
		.amdhsa_user_sgpr_dispatch_ptr 0
		.amdhsa_user_sgpr_queue_ptr 0
		.amdhsa_user_sgpr_kernarg_segment_ptr 1
		.amdhsa_user_sgpr_dispatch_id 0
		.amdhsa_user_sgpr_private_segment_size 0
		.amdhsa_wavefront_size32 1
		.amdhsa_uses_dynamic_stack 0
		.amdhsa_enable_private_segment 0
		.amdhsa_system_sgpr_workgroup_id_x 1
		.amdhsa_system_sgpr_workgroup_id_y 0
		.amdhsa_system_sgpr_workgroup_id_z 0
		.amdhsa_system_sgpr_workgroup_info 0
		.amdhsa_system_vgpr_workitem_id 1
		.amdhsa_next_free_vgpr 18
		.amdhsa_next_free_sgpr 16
		.amdhsa_reserve_vcc 1
		.amdhsa_float_round_mode_32 0
		.amdhsa_float_round_mode_16_64 0
		.amdhsa_float_denorm_mode_32 3
		.amdhsa_float_denorm_mode_16_64 3
		.amdhsa_dx10_clamp 1
		.amdhsa_ieee_mode 1
		.amdhsa_fp16_overflow 0
		.amdhsa_workgroup_processor_mode 1
		.amdhsa_memory_ordered 1
		.amdhsa_forward_progress 0
		.amdhsa_shared_vgpr_count 0
		.amdhsa_exception_fp_ieee_invalid_op 0
		.amdhsa_exception_fp_denorm_src 0
		.amdhsa_exception_fp_ieee_div_zero 0
		.amdhsa_exception_fp_ieee_overflow 0
		.amdhsa_exception_fp_ieee_underflow 0
		.amdhsa_exception_fp_ieee_inexact 0
		.amdhsa_exception_int_div_zero 0
	.end_amdhsa_kernel
	.section	.text._ZN4vllm3moe10topkGatingILi2ELi2ELi4ELi8ELi64ElfLNS0_11ScoringFuncE0EEEvPKT5_PKbPfiPT4_PiiiibPKf,"axG",@progbits,_ZN4vllm3moe10topkGatingILi2ELi2ELi4ELi8ELi64ElfLNS0_11ScoringFuncE0EEEvPKT5_PKbPfiPT4_PiiiibPKf,comdat
.Lfunc_end47:
	.size	_ZN4vllm3moe10topkGatingILi2ELi2ELi4ELi8ELi64ElfLNS0_11ScoringFuncE0EEEvPKT5_PKbPfiPT4_PiiiibPKf, .Lfunc_end47-_ZN4vllm3moe10topkGatingILi2ELi2ELi4ELi8ELi64ElfLNS0_11ScoringFuncE0EEEvPKT5_PKbPfiPT4_PiiiibPKf
                                        ; -- End function
	.section	.AMDGPU.csdata,"",@progbits
; Kernel info:
; codeLenInByte = 1248
; NumSgprs: 18
; NumVgprs: 18
; ScratchSize: 0
; MemoryBound: 0
; FloatMode: 240
; IeeeMode: 1
; LDSByteSize: 0 bytes/workgroup (compile time only)
; SGPRBlocks: 2
; VGPRBlocks: 2
; NumSGPRsForWavesPerEU: 18
; NumVGPRsForWavesPerEU: 18
; Occupancy: 16
; WaveLimiterHint : 0
; COMPUTE_PGM_RSRC2:SCRATCH_EN: 0
; COMPUTE_PGM_RSRC2:USER_SGPR: 15
; COMPUTE_PGM_RSRC2:TRAP_HANDLER: 0
; COMPUTE_PGM_RSRC2:TGID_X_EN: 1
; COMPUTE_PGM_RSRC2:TGID_Y_EN: 0
; COMPUTE_PGM_RSRC2:TGID_Z_EN: 0
; COMPUTE_PGM_RSRC2:TIDIG_COMP_CNT: 1
	.section	.text._ZN4vllm3moe10topkGatingILi2ELi2ELi4ELi8ELi32ElfLNS0_11ScoringFuncE0EEEvPKT5_PKbPfiPT4_PiiiibPKf,"axG",@progbits,_ZN4vllm3moe10topkGatingILi2ELi2ELi4ELi8ELi32ElfLNS0_11ScoringFuncE0EEEvPKT5_PKbPfiPT4_PiiiibPKf,comdat
	.protected	_ZN4vllm3moe10topkGatingILi2ELi2ELi4ELi8ELi32ElfLNS0_11ScoringFuncE0EEEvPKT5_PKbPfiPT4_PiiiibPKf ; -- Begin function _ZN4vllm3moe10topkGatingILi2ELi2ELi4ELi8ELi32ElfLNS0_11ScoringFuncE0EEEvPKT5_PKbPfiPT4_PiiiibPKf
	.globl	_ZN4vllm3moe10topkGatingILi2ELi2ELi4ELi8ELi32ElfLNS0_11ScoringFuncE0EEEvPKT5_PKbPfiPT4_PiiiibPKf
	.p2align	8
	.type	_ZN4vllm3moe10topkGatingILi2ELi2ELi4ELi8ELi32ElfLNS0_11ScoringFuncE0EEEvPKT5_PKbPfiPT4_PiiiibPKf,@function
_ZN4vllm3moe10topkGatingILi2ELi2ELi4ELi8ELi32ElfLNS0_11ScoringFuncE0EEEvPKT5_PKbPfiPT4_PiiiibPKf: ; @_ZN4vllm3moe10topkGatingILi2ELi2ELi4ELi8ELi32ElfLNS0_11ScoringFuncE0EEEvPKT5_PKbPfiPT4_PiiiibPKf
; %bb.0:
	s_load_b32 s8, s[0:1], 0x18
	v_bfe_u32 v1, v0, 10, 10
	v_and_b32_e32 v0, 0x3ff, v0
	s_lshl_b32 s2, s15, 7
	s_delay_alu instid0(VALU_DEP_2) | instskip(NEXT) | instid1(VALU_DEP_1)
	v_lshlrev_b32_e32 v1, 5, v1
	v_add3_u32 v10, v1, v0, s2
	s_mov_b32 s2, exec_lo
	s_waitcnt lgkmcnt(0)
	s_delay_alu instid0(VALU_DEP_1)
	v_cmpx_gt_i32_e64 s8, v10
	s_cbranch_execz .LBB48_14
; %bb.1:
	s_clause 0x1
	s_load_b128 s[4:7], s[0:1], 0x0
	s_load_b64 s[2:3], s[0:1], 0x10
	s_waitcnt lgkmcnt(0)
	s_cmp_eq_u64 s[6:7], 0
	s_cbranch_scc1 .LBB48_3
; %bb.2:
	v_ashrrev_i32_e32 v1, 31, v10
	v_add_co_u32 v0, vcc_lo, s6, v10
	s_delay_alu instid0(VALU_DEP_2) | instskip(SKIP_3) | instid1(VALU_DEP_1)
	v_add_co_ci_u32_e32 v1, vcc_lo, s7, v1, vcc_lo
	global_load_u8 v0, v[0:1], off
	s_waitcnt vmcnt(0)
	v_and_b32_e32 v0, 1, v0
	v_cmp_eq_u32_e32 vcc_lo, 1, v0
	s_xor_b32 s6, vcc_lo, -1
	s_delay_alu instid0(SALU_CYCLE_1)
	s_or_not1_b32 s9, s6, exec_lo
	s_branch .LBB48_4
.LBB48_3:
	s_mov_b32 s9, -1
.LBB48_4:
	v_lshlrev_b32_e32 v0, 1, v10
	s_delay_alu instid0(VALU_DEP_1) | instskip(NEXT) | instid1(VALU_DEP_1)
	v_ashrrev_i32_e32 v1, 31, v0
	v_lshlrev_b64 v[0:1], 2, v[0:1]
	s_delay_alu instid0(VALU_DEP_1) | instskip(NEXT) | instid1(VALU_DEP_2)
	v_add_co_u32 v0, vcc_lo, s4, v0
	v_add_co_ci_u32_e32 v1, vcc_lo, s5, v1, vcc_lo
	s_load_b64 s[4:5], s[0:1], 0x40
	global_load_b64 v[0:1], v[0:1], off
	s_waitcnt lgkmcnt(0)
	s_cmp_eq_u64 s[4:5], 0
	s_waitcnt vmcnt(0)
	v_dual_max_f32 v2, v1, v1 :: v_dual_max_f32 v3, v0, v0
	s_delay_alu instid0(VALU_DEP_1) | instskip(NEXT) | instid1(VALU_DEP_1)
	v_max_f32_e32 v2, v3, v2
	v_sub_f32_e32 v1, v1, v2
	s_delay_alu instid0(VALU_DEP_1) | instskip(NEXT) | instid1(VALU_DEP_1)
	v_mul_f32_e32 v3, 0x3fb8aa3b, v1
	v_rndne_f32_e32 v7, v3
	v_sub_f32_e32 v0, v0, v2
	v_fma_f32 v6, 0x3fb8aa3b, v1, -v3
	s_delay_alu instid0(VALU_DEP_2) | instskip(NEXT) | instid1(VALU_DEP_2)
	v_dual_sub_f32 v3, v3, v7 :: v_dual_mul_f32 v2, 0x3fb8aa3b, v0
	v_fmac_f32_e32 v6, 0x32a5705f, v1
	v_cmp_ngt_f32_e32 vcc_lo, 0xc2ce8ed0, v0
	s_delay_alu instid0(VALU_DEP_3) | instskip(SKIP_1) | instid1(VALU_DEP_2)
	v_fma_f32 v4, 0x3fb8aa3b, v0, -v2
	v_rndne_f32_e32 v5, v2
	v_dual_add_f32 v3, v3, v6 :: v_dual_fmac_f32 v4, 0x32a5705f, v0
	s_delay_alu instid0(VALU_DEP_2) | instskip(NEXT) | instid1(VALU_DEP_2)
	v_sub_f32_e32 v2, v2, v5
	v_exp_f32_e32 v3, v3
	s_delay_alu instid0(VALU_DEP_1) | instskip(SKIP_2) | instid1(VALU_DEP_3)
	v_add_f32_e32 v2, v2, v4
	v_cvt_i32_f32_e32 v4, v5
	v_cvt_i32_f32_e32 v5, v7
	v_exp_f32_e32 v2, v2
	s_waitcnt_depctr 0xfff
	v_ldexp_f32 v3, v3, v5
	v_ldexp_f32 v2, v2, v4
	s_delay_alu instid0(VALU_DEP_1) | instskip(SKIP_1) | instid1(VALU_DEP_4)
	v_cndmask_b32_e32 v2, 0, v2, vcc_lo
	v_cmp_ngt_f32_e32 vcc_lo, 0xc2ce8ed0, v1
	v_cndmask_b32_e32 v3, 0, v3, vcc_lo
	v_cmp_nlt_f32_e32 vcc_lo, 0x42b17218, v0
	s_delay_alu instid0(VALU_DEP_4) | instskip(SKIP_1) | instid1(VALU_DEP_4)
	v_cndmask_b32_e32 v0, 0x7f800000, v2, vcc_lo
	v_cmp_nlt_f32_e32 vcc_lo, 0x42b17218, v1
	v_cndmask_b32_e32 v1, 0x7f800000, v3, vcc_lo
	s_delay_alu instid0(VALU_DEP_1) | instskip(NEXT) | instid1(VALU_DEP_1)
	v_add_f32_e32 v2, v0, v1
	v_div_scale_f32 v3, null, v2, v2, 1.0
	v_div_scale_f32 v6, vcc_lo, 1.0, v2, 1.0
	s_delay_alu instid0(VALU_DEP_2) | instskip(SKIP_2) | instid1(VALU_DEP_1)
	v_rcp_f32_e32 v4, v3
	s_waitcnt_depctr 0xfff
	v_fma_f32 v5, -v3, v4, 1.0
	v_fmac_f32_e32 v4, v5, v4
	s_delay_alu instid0(VALU_DEP_1) | instskip(NEXT) | instid1(VALU_DEP_1)
	v_mul_f32_e32 v5, v6, v4
	v_fma_f32 v7, -v3, v5, v6
	s_delay_alu instid0(VALU_DEP_1) | instskip(NEXT) | instid1(VALU_DEP_1)
	v_fmac_f32_e32 v5, v7, v4
	v_fma_f32 v3, -v3, v5, v6
	s_delay_alu instid0(VALU_DEP_1) | instskip(NEXT) | instid1(VALU_DEP_1)
	v_div_fmas_f32 v3, v3, v4, v5
	v_div_fixup_f32 v2, v3, v2, 1.0
	s_delay_alu instid0(VALU_DEP_1) | instskip(SKIP_1) | instid1(VALU_DEP_1)
	v_mul_f32_e32 v1, v2, v1
	v_mul_f32_e32 v0, v2, v0
	v_cmp_class_f32_e64 vcc_lo, v0, 0x1f8
	v_cndmask_b32_e32 v0, 0, v0, vcc_lo
	s_delay_alu instid0(VALU_DEP_4) | instskip(SKIP_1) | instid1(VALU_DEP_1)
	v_cmp_class_f32_e64 vcc_lo, v1, 0x1f8
	v_cndmask_b32_e32 v1, 0, v1, vcc_lo
	v_dual_mov_b32 v3, v1 :: v_dual_mov_b32 v2, v0
	s_cbranch_scc1 .LBB48_6
; %bb.5:
	s_load_b64 s[4:5], s[4:5], 0x0
	s_waitcnt lgkmcnt(0)
	v_dual_add_f32 v2, s4, v0 :: v_dual_add_f32 v3, s5, v1
.LBB48_6:
	s_load_b128 s[4:7], s[0:1], 0x30
	s_waitcnt lgkmcnt(0)
	s_bitcmp1_b32 s7, 0
	s_cselect_b32 vcc_lo, -1, 0
	s_cmp_gt_i32 s4, 0
	s_cselect_b32 s7, -1, 0
	s_cmp_lt_i32 s4, 1
	s_cbranch_scc1 .LBB48_10
; %bb.7:
	v_mul_lo_u32 v4, v10, s4
	s_load_b128 s[12:15], s[0:1], 0x20
	v_dual_mov_b32 v11, 0 :: v_dual_mov_b32 v12, v10
	s_mov_b32 s10, 0
	s_delay_alu instid0(VALU_DEP_2) | instskip(NEXT) | instid1(VALU_DEP_1)
	v_ashrrev_i32_e32 v5, 31, v4
	v_lshlrev_b64 v[8:9], 2, v[4:5]
	v_lshlrev_b64 v[6:7], 3, v[4:5]
	s_delay_alu instid0(VALU_DEP_2) | instskip(NEXT) | instid1(VALU_DEP_1)
	v_add_co_u32 v4, s0, s2, v8
	v_add_co_ci_u32_e64 v5, s0, s3, v9, s0
	s_waitcnt lgkmcnt(0)
	s_delay_alu instid0(VALU_DEP_3) | instskip(NEXT) | instid1(VALU_DEP_1)
	v_add_co_u32 v6, s0, s12, v6
	v_add_co_ci_u32_e64 v7, s0, s13, v7, s0
	v_add_co_u32 v8, s0, s14, v8
	s_delay_alu instid0(VALU_DEP_1)
	v_add_co_ci_u32_e64 v9, s0, s15, v9, s0
.LBB48_8:                               ; =>This Inner Loop Header: Depth=1
	v_cmp_gt_f32_e64 s0, v3, v2
	global_store_b32 v[8:9], v12, off
	v_add_co_u32 v8, s1, v8, 4
	s_delay_alu instid0(VALU_DEP_1)
	v_add_co_ci_u32_e64 v9, s1, 0, v9, s1
	v_cndmask_b32_e64 v13, v0, v1, s0
	v_cndmask_b32_e64 v14, 0, 1, s0
	;; [unrolled: 1-line block ×4, first 2 shown]
	v_add_nc_u32_e32 v12, s8, v12
	global_store_b32 v[4:5], v13, off
	v_add_f32_e32 v13, v11, v13
	v_add_co_u32 v4, s0, v4, 4
	s_delay_alu instid0(VALU_DEP_1)
	v_add_co_ci_u32_e64 v5, s0, 0, v5, s0
	v_subrev_nc_u32_e32 v17, s5, v14
	v_cmp_le_i32_e64 s0, s5, v14
	v_cmp_gt_i32_e64 s1, s6, v14
	v_cndmask_b32_e32 v11, v11, v13, vcc_lo
	s_add_i32 s10, s10, 1
	v_ashrrev_i32_e32 v13, 31, v17
	s_delay_alu instid0(VALU_DEP_3) | instskip(NEXT) | instid1(SALU_CYCLE_1)
	s_and_b32 s0, s0, s1
	s_and_b32 s0, s9, s0
	s_cmp_lt_i32 s10, s4
	s_delay_alu instid0(VALU_DEP_1)
	v_cndmask_b32_e64 v14, 0, v13, s0
	v_cndmask_b32_e64 v13, 2, v17, s0
	s_cselect_b32 s0, -1, 0
	s_cmp_eq_u32 s4, s10
	v_cndmask_b32_e64 v3, v3, v16, s0
	v_cndmask_b32_e64 v2, v2, v15, s0
	global_store_b64 v[6:7], v[13:14], off
	v_add_co_u32 v6, s0, v6, 8
	s_delay_alu instid0(VALU_DEP_1)
	v_add_co_ci_u32_e64 v7, s0, 0, v7, s0
	s_cbranch_scc0 .LBB48_8
; %bb.9:
	s_and_b32 vcc_lo, exec_lo, vcc_lo
	s_cbranch_vccnz .LBB48_11
	s_branch .LBB48_14
.LBB48_10:
	v_mov_b32_e32 v11, 0
	s_and_b32 vcc_lo, exec_lo, vcc_lo
	s_cbranch_vccz .LBB48_14
.LBB48_11:
	s_and_not1_b32 vcc_lo, exec_lo, s7
	s_cbranch_vccnz .LBB48_14
; %bb.12:
	v_mul_lo_u32 v0, v10, s4
	v_cmp_lt_f32_e32 vcc_lo, 0, v11
	v_cndmask_b32_e32 v2, 1.0, v11, vcc_lo
	s_delay_alu instid0(VALU_DEP_3) | instskip(NEXT) | instid1(VALU_DEP_1)
	v_ashrrev_i32_e32 v1, 31, v0
	v_lshlrev_b64 v[0:1], 2, v[0:1]
	s_delay_alu instid0(VALU_DEP_1) | instskip(NEXT) | instid1(VALU_DEP_2)
	v_add_co_u32 v0, vcc_lo, s2, v0
	v_add_co_ci_u32_e32 v1, vcc_lo, s3, v1, vcc_lo
	.p2align	6
.LBB48_13:                              ; =>This Inner Loop Header: Depth=1
	global_load_b32 v3, v[0:1], off
	s_add_i32 s4, s4, -1
	s_delay_alu instid0(SALU_CYCLE_1) | instskip(SKIP_3) | instid1(VALU_DEP_2)
	s_cmp_lg_u32 s4, 0
	s_waitcnt vmcnt(0)
	v_div_scale_f32 v4, null, v2, v2, v3
	v_div_scale_f32 v7, vcc_lo, v3, v2, v3
	v_rcp_f32_e32 v5, v4
	s_waitcnt_depctr 0xfff
	v_fma_f32 v6, -v4, v5, 1.0
	s_delay_alu instid0(VALU_DEP_1) | instskip(NEXT) | instid1(VALU_DEP_1)
	v_fmac_f32_e32 v5, v6, v5
	v_mul_f32_e32 v6, v7, v5
	s_delay_alu instid0(VALU_DEP_1) | instskip(NEXT) | instid1(VALU_DEP_1)
	v_fma_f32 v8, -v4, v6, v7
	v_fmac_f32_e32 v6, v8, v5
	s_delay_alu instid0(VALU_DEP_1) | instskip(NEXT) | instid1(VALU_DEP_1)
	v_fma_f32 v4, -v4, v6, v7
	v_div_fmas_f32 v4, v4, v5, v6
	s_delay_alu instid0(VALU_DEP_1)
	v_div_fixup_f32 v3, v4, v2, v3
	global_store_b32 v[0:1], v3, off
	v_add_co_u32 v0, vcc_lo, v0, 4
	v_add_co_ci_u32_e32 v1, vcc_lo, 0, v1, vcc_lo
	s_cbranch_scc1 .LBB48_13
.LBB48_14:
	s_nop 0
	s_sendmsg sendmsg(MSG_DEALLOC_VGPRS)
	s_endpgm
	.section	.rodata,"a",@progbits
	.p2align	6, 0x0
	.amdhsa_kernel _ZN4vllm3moe10topkGatingILi2ELi2ELi4ELi8ELi32ElfLNS0_11ScoringFuncE0EEEvPKT5_PKbPfiPT4_PiiiibPKf
		.amdhsa_group_segment_fixed_size 0
		.amdhsa_private_segment_fixed_size 0
		.amdhsa_kernarg_size 72
		.amdhsa_user_sgpr_count 15
		.amdhsa_user_sgpr_dispatch_ptr 0
		.amdhsa_user_sgpr_queue_ptr 0
		.amdhsa_user_sgpr_kernarg_segment_ptr 1
		.amdhsa_user_sgpr_dispatch_id 0
		.amdhsa_user_sgpr_private_segment_size 0
		.amdhsa_wavefront_size32 1
		.amdhsa_uses_dynamic_stack 0
		.amdhsa_enable_private_segment 0
		.amdhsa_system_sgpr_workgroup_id_x 1
		.amdhsa_system_sgpr_workgroup_id_y 0
		.amdhsa_system_sgpr_workgroup_id_z 0
		.amdhsa_system_sgpr_workgroup_info 0
		.amdhsa_system_vgpr_workitem_id 1
		.amdhsa_next_free_vgpr 18
		.amdhsa_next_free_sgpr 16
		.amdhsa_reserve_vcc 1
		.amdhsa_float_round_mode_32 0
		.amdhsa_float_round_mode_16_64 0
		.amdhsa_float_denorm_mode_32 3
		.amdhsa_float_denorm_mode_16_64 3
		.amdhsa_dx10_clamp 1
		.amdhsa_ieee_mode 1
		.amdhsa_fp16_overflow 0
		.amdhsa_workgroup_processor_mode 1
		.amdhsa_memory_ordered 1
		.amdhsa_forward_progress 0
		.amdhsa_shared_vgpr_count 0
		.amdhsa_exception_fp_ieee_invalid_op 0
		.amdhsa_exception_fp_denorm_src 0
		.amdhsa_exception_fp_ieee_div_zero 0
		.amdhsa_exception_fp_ieee_overflow 0
		.amdhsa_exception_fp_ieee_underflow 0
		.amdhsa_exception_fp_ieee_inexact 0
		.amdhsa_exception_int_div_zero 0
	.end_amdhsa_kernel
	.section	.text._ZN4vllm3moe10topkGatingILi2ELi2ELi4ELi8ELi32ElfLNS0_11ScoringFuncE0EEEvPKT5_PKbPfiPT4_PiiiibPKf,"axG",@progbits,_ZN4vllm3moe10topkGatingILi2ELi2ELi4ELi8ELi32ElfLNS0_11ScoringFuncE0EEEvPKT5_PKbPfiPT4_PiiiibPKf,comdat
.Lfunc_end48:
	.size	_ZN4vllm3moe10topkGatingILi2ELi2ELi4ELi8ELi32ElfLNS0_11ScoringFuncE0EEEvPKT5_PKbPfiPT4_PiiiibPKf, .Lfunc_end48-_ZN4vllm3moe10topkGatingILi2ELi2ELi4ELi8ELi32ElfLNS0_11ScoringFuncE0EEEvPKT5_PKbPfiPT4_PiiiibPKf
                                        ; -- End function
	.section	.AMDGPU.csdata,"",@progbits
; Kernel info:
; codeLenInByte = 1248
; NumSgprs: 18
; NumVgprs: 18
; ScratchSize: 0
; MemoryBound: 0
; FloatMode: 240
; IeeeMode: 1
; LDSByteSize: 0 bytes/workgroup (compile time only)
; SGPRBlocks: 2
; VGPRBlocks: 2
; NumSGPRsForWavesPerEU: 18
; NumVGPRsForWavesPerEU: 18
; Occupancy: 16
; WaveLimiterHint : 0
; COMPUTE_PGM_RSRC2:SCRATCH_EN: 0
; COMPUTE_PGM_RSRC2:USER_SGPR: 15
; COMPUTE_PGM_RSRC2:TRAP_HANDLER: 0
; COMPUTE_PGM_RSRC2:TGID_X_EN: 1
; COMPUTE_PGM_RSRC2:TGID_Y_EN: 0
; COMPUTE_PGM_RSRC2:TGID_Z_EN: 0
; COMPUTE_PGM_RSRC2:TIDIG_COMP_CNT: 1
	.section	.text._ZN4vllm3moe10topkGatingILi4ELi4ELi4ELi16ELi64ElfLNS0_11ScoringFuncE0EEEvPKT5_PKbPfiPT4_PiiiibPKf,"axG",@progbits,_ZN4vllm3moe10topkGatingILi4ELi4ELi4ELi16ELi64ElfLNS0_11ScoringFuncE0EEEvPKT5_PKbPfiPT4_PiiiibPKf,comdat
	.protected	_ZN4vllm3moe10topkGatingILi4ELi4ELi4ELi16ELi64ElfLNS0_11ScoringFuncE0EEEvPKT5_PKbPfiPT4_PiiiibPKf ; -- Begin function _ZN4vllm3moe10topkGatingILi4ELi4ELi4ELi16ELi64ElfLNS0_11ScoringFuncE0EEEvPKT5_PKbPfiPT4_PiiiibPKf
	.globl	_ZN4vllm3moe10topkGatingILi4ELi4ELi4ELi16ELi64ElfLNS0_11ScoringFuncE0EEEvPKT5_PKbPfiPT4_PiiiibPKf
	.p2align	8
	.type	_ZN4vllm3moe10topkGatingILi4ELi4ELi4ELi16ELi64ElfLNS0_11ScoringFuncE0EEEvPKT5_PKbPfiPT4_PiiiibPKf,@function
_ZN4vllm3moe10topkGatingILi4ELi4ELi4ELi16ELi64ElfLNS0_11ScoringFuncE0EEEvPKT5_PKbPfiPT4_PiiiibPKf: ; @_ZN4vllm3moe10topkGatingILi4ELi4ELi4ELi16ELi64ElfLNS0_11ScoringFuncE0EEEvPKT5_PKbPfiPT4_PiiiibPKf
; %bb.0:
	s_load_b32 s10, s[0:1], 0x18
	v_bfe_u32 v1, v0, 10, 10
	v_and_b32_e32 v0, 0x3ff, v0
	s_lshl_b32 s2, s15, 8
	s_delay_alu instid0(VALU_DEP_2) | instskip(NEXT) | instid1(VALU_DEP_1)
	v_lshlrev_b32_e32 v1, 6, v1
	v_add3_u32 v14, v1, v0, s2
	s_mov_b32 s2, exec_lo
	s_waitcnt lgkmcnt(0)
	s_delay_alu instid0(VALU_DEP_1)
	v_cmpx_gt_i32_e64 s10, v14
	s_cbranch_execz .LBB49_15
; %bb.1:
	s_clause 0x1
	s_load_b128 s[4:7], s[0:1], 0x0
	s_load_b64 s[8:9], s[0:1], 0x10
	s_mov_b32 s12, -1
	s_mov_b32 s11, -1
	s_waitcnt lgkmcnt(0)
	s_cmp_eq_u64 s[6:7], 0
	s_cbranch_scc1 .LBB49_3
; %bb.2:
	v_ashrrev_i32_e32 v1, 31, v14
	v_add_co_u32 v0, vcc_lo, s6, v14
	s_delay_alu instid0(VALU_DEP_2) | instskip(SKIP_3) | instid1(VALU_DEP_1)
	v_add_co_ci_u32_e32 v1, vcc_lo, s7, v1, vcc_lo
	global_load_u8 v0, v[0:1], off
	s_waitcnt vmcnt(0)
	v_and_b32_e32 v0, 1, v0
	v_cmp_eq_u32_e32 vcc_lo, 1, v0
	s_xor_b32 s2, vcc_lo, -1
	s_delay_alu instid0(SALU_CYCLE_1)
	s_or_not1_b32 s11, s2, exec_lo
.LBB49_3:
	v_lshlrev_b32_e32 v0, 2, v14
	s_load_b64 s[2:3], s[0:1], 0x40
	s_delay_alu instid0(VALU_DEP_1) | instskip(NEXT) | instid1(VALU_DEP_1)
	v_ashrrev_i32_e32 v1, 31, v0
	v_lshlrev_b64 v[0:1], 2, v[0:1]
	s_delay_alu instid0(VALU_DEP_1) | instskip(NEXT) | instid1(VALU_DEP_2)
	v_add_co_u32 v0, vcc_lo, s4, v0
	v_add_co_ci_u32_e32 v1, vcc_lo, s5, v1, vcc_lo
	s_waitcnt lgkmcnt(0)
	s_cmp_eq_u64 s[2:3], 0
	global_load_b128 v[0:3], v[0:1], off
	s_waitcnt vmcnt(0)
	v_dual_max_f32 v4, v1, v1 :: v_dual_max_f32 v5, v0, v0
	s_delay_alu instid0(VALU_DEP_1) | instskip(NEXT) | instid1(VALU_DEP_1)
	v_max_f32_e32 v4, v5, v4
	v_max3_f32 v4, v4, v2, v3
	s_delay_alu instid0(VALU_DEP_1) | instskip(NEXT) | instid1(VALU_DEP_1)
	v_sub_f32_e32 v1, v1, v4
	v_mul_f32_e32 v5, 0x3fb8aa3b, v1
	s_delay_alu instid0(VALU_DEP_1) | instskip(SKIP_2) | instid1(VALU_DEP_3)
	v_rndne_f32_e32 v11, v5
	v_sub_f32_e32 v2, v2, v4
	v_fma_f32 v10, 0x3fb8aa3b, v1, -v5
	v_sub_f32_e32 v5, v5, v11
	s_delay_alu instid0(VALU_DEP_3) | instskip(SKIP_1) | instid1(VALU_DEP_4)
	v_dual_sub_f32 v3, v3, v4 :: v_dual_mul_f32 v6, 0x3fb8aa3b, v2
	v_sub_f32_e32 v0, v0, v4
	v_fmac_f32_e32 v10, 0x32a5705f, v1
	s_delay_alu instid0(VALU_DEP_3) | instskip(NEXT) | instid1(VALU_DEP_4)
	v_mul_f32_e32 v7, 0x3fb8aa3b, v3
	v_fma_f32 v12, 0x3fb8aa3b, v2, -v6
	s_delay_alu instid0(VALU_DEP_3) | instskip(SKIP_1) | instid1(VALU_DEP_4)
	v_dual_mul_f32 v4, 0x3fb8aa3b, v0 :: v_dual_add_f32 v5, v5, v10
	v_rndne_f32_e32 v13, v6
	v_fma_f32 v15, 0x3fb8aa3b, v3, -v7
	v_rndne_f32_e32 v16, v7
	s_delay_alu instid0(VALU_DEP_4)
	v_fma_f32 v8, 0x3fb8aa3b, v0, -v4
	v_rndne_f32_e32 v9, v4
	v_exp_f32_e32 v5, v5
	v_fmac_f32_e32 v15, 0x32a5705f, v3
	v_sub_f32_e32 v7, v7, v16
	v_fmac_f32_e32 v8, 0x32a5705f, v0
	v_sub_f32_e32 v4, v4, v9
	v_cmp_ngt_f32_e32 vcc_lo, 0xc2ce8ed0, v0
	v_sub_f32_e32 v6, v6, v13
	v_cvt_i32_f32_e32 v10, v13
	s_delay_alu instid0(VALU_DEP_4) | instskip(SKIP_3) | instid1(VALU_DEP_4)
	v_dual_add_f32 v7, v7, v15 :: v_dual_add_f32 v4, v4, v8
	v_cvt_i32_f32_e32 v8, v9
	v_cvt_i32_f32_e32 v9, v11
	v_cvt_i32_f32_e32 v11, v16
	v_exp_f32_e32 v7, v7
	v_exp_f32_e32 v4, v4
	s_delay_alu instid0(VALU_DEP_2) | instskip(SKIP_3) | instid1(VALU_DEP_1)
	v_ldexp_f32 v5, v5, v9
	s_waitcnt_depctr 0xfff
	v_ldexp_f32 v7, v7, v11
	v_ldexp_f32 v4, v4, v8
	v_cndmask_b32_e32 v4, 0, v4, vcc_lo
	v_cmp_ngt_f32_e32 vcc_lo, 0xc2ce8ed0, v1
	v_dual_fmac_f32 v12, 0x32a5705f, v2 :: v_dual_cndmask_b32 v5, 0, v5
	s_delay_alu instid0(VALU_DEP_1) | instskip(SKIP_1) | instid1(VALU_DEP_2)
	v_add_f32_e32 v6, v6, v12
	v_cmp_ngt_f32_e32 vcc_lo, 0xc2ce8ed0, v2
	v_exp_f32_e32 v6, v6
	s_waitcnt_depctr 0xfff
	v_ldexp_f32 v6, v6, v10
	s_delay_alu instid0(VALU_DEP_1)
	v_cndmask_b32_e32 v6, 0, v6, vcc_lo
	v_cmp_nlt_f32_e32 vcc_lo, 0x42b17218, v0
	v_cndmask_b32_e32 v0, 0x7f800000, v4, vcc_lo
	v_cmp_nlt_f32_e32 vcc_lo, 0x42b17218, v1
	v_cndmask_b32_e32 v1, 0x7f800000, v5, vcc_lo
	v_cmp_ngt_f32_e32 vcc_lo, 0xc2ce8ed0, v3
	s_delay_alu instid0(VALU_DEP_2) | instskip(SKIP_3) | instid1(VALU_DEP_2)
	v_dual_add_f32 v5, v0, v1 :: v_dual_cndmask_b32 v4, 0, v7
	v_cmp_nlt_f32_e32 vcc_lo, 0x42b17218, v2
	v_cndmask_b32_e32 v2, 0x7f800000, v6, vcc_lo
	v_cmp_nlt_f32_e32 vcc_lo, 0x42b17218, v3
	v_dual_cndmask_b32 v3, 0x7f800000, v4 :: v_dual_add_f32 v4, v5, v2
	s_delay_alu instid0(VALU_DEP_1) | instskip(NEXT) | instid1(VALU_DEP_1)
	v_add_f32_e32 v4, v4, v3
	v_div_scale_f32 v5, null, v4, v4, 1.0
	v_div_scale_f32 v8, vcc_lo, 1.0, v4, 1.0
	s_delay_alu instid0(VALU_DEP_2) | instskip(SKIP_2) | instid1(VALU_DEP_1)
	v_rcp_f32_e32 v6, v5
	s_waitcnt_depctr 0xfff
	v_fma_f32 v7, -v5, v6, 1.0
	v_fmac_f32_e32 v6, v7, v6
	s_delay_alu instid0(VALU_DEP_1) | instskip(NEXT) | instid1(VALU_DEP_1)
	v_mul_f32_e32 v7, v8, v6
	v_fma_f32 v9, -v5, v7, v8
	s_delay_alu instid0(VALU_DEP_1) | instskip(NEXT) | instid1(VALU_DEP_1)
	v_fmac_f32_e32 v7, v9, v6
	v_fma_f32 v5, -v5, v7, v8
	s_delay_alu instid0(VALU_DEP_1) | instskip(NEXT) | instid1(VALU_DEP_1)
	v_div_fmas_f32 v5, v5, v6, v7
	v_div_fixup_f32 v4, v5, v4, 1.0
	s_delay_alu instid0(VALU_DEP_1) | instskip(SKIP_3) | instid1(VALU_DEP_4)
	v_mul_f32_e32 v0, v4, v0
	v_mul_f32_e32 v1, v4, v1
	;; [unrolled: 1-line block ×4, first 2 shown]
	v_cmp_class_f32_e64 vcc_lo, v0, 0x1f8
	v_cndmask_b32_e32 v0, 0, v0, vcc_lo
	v_cmp_class_f32_e64 vcc_lo, v1, 0x1f8
	v_cndmask_b32_e32 v1, 0, v1, vcc_lo
	;; [unrolled: 2-line block ×4, first 2 shown]
	s_cbranch_scc1 .LBB49_10
; %bb.4:
	s_load_b128 s[4:7], s[2:3], 0x0
	s_waitcnt lgkmcnt(0)
	v_dual_add_f32 v4, s4, v0 :: v_dual_add_f32 v5, s5, v1
	v_dual_add_f32 v6, s6, v2 :: v_dual_add_f32 v7, s7, v3
	s_cbranch_execnz .LBB49_6
.LBB49_5:
	v_dual_mov_b32 v7, v3 :: v_dual_mov_b32 v6, v2
	v_dual_mov_b32 v5, v1 :: v_dual_mov_b32 v4, v0
.LBB49_6:
	s_load_b128 s[4:7], s[0:1], 0x30
	s_waitcnt lgkmcnt(0)
	s_bitcmp1_b32 s7, 0
	s_mov_b32 s7, 0
	s_cselect_b32 vcc_lo, -1, 0
	s_cmp_gt_i32 s4, 0
	s_cselect_b32 s3, -1, 0
	s_cmp_lt_i32 s4, 1
	s_cbranch_scc1 .LBB49_11
; %bb.7:
	v_mul_lo_u32 v8, v14, s4
	s_load_b128 s[12:15], s[0:1], 0x20
	v_dual_mov_b32 v15, 0 :: v_dual_mov_b32 v16, v14
	s_delay_alu instid0(VALU_DEP_2) | instskip(NEXT) | instid1(VALU_DEP_1)
	v_ashrrev_i32_e32 v9, 31, v8
	v_lshlrev_b64 v[12:13], 2, v[8:9]
	v_lshlrev_b64 v[10:11], 3, v[8:9]
	s_delay_alu instid0(VALU_DEP_2) | instskip(NEXT) | instid1(VALU_DEP_1)
	v_add_co_u32 v8, s0, s8, v12
	v_add_co_ci_u32_e64 v9, s0, s9, v13, s0
	s_waitcnt lgkmcnt(0)
	s_delay_alu instid0(VALU_DEP_3) | instskip(NEXT) | instid1(VALU_DEP_1)
	v_add_co_u32 v10, s0, s12, v10
	v_add_co_ci_u32_e64 v11, s0, s13, v11, s0
	v_add_co_u32 v12, s0, s14, v12
	s_delay_alu instid0(VALU_DEP_1)
	v_add_co_ci_u32_e64 v13, s0, s15, v13, s0
.LBB49_8:                               ; =>This Inner Loop Header: Depth=1
	v_cmp_gt_f32_e64 s0, v5, v4
	global_store_b32 v[12:13], v16, off
	v_add_co_u32 v12, s1, v12, 4
	s_delay_alu instid0(VALU_DEP_1) | instskip(SKIP_4) | instid1(VALU_DEP_3)
	v_add_co_ci_u32_e64 v13, s1, 0, v13, s1
	v_cndmask_b32_e64 v17, v4, v5, s0
	v_cndmask_b32_e64 v18, v0, v1, s0
	;; [unrolled: 1-line block ×3, first 2 shown]
	s_add_i32 s7, s7, 1
	v_cmp_gt_f32_e64 s1, v6, v17
	s_delay_alu instid0(VALU_DEP_1) | instskip(SKIP_2) | instid1(VALU_DEP_3)
	v_cndmask_b32_e64 v17, v17, v6, s1
	v_cndmask_b32_e64 v18, v18, v2, s1
	;; [unrolled: 1-line block ×3, first 2 shown]
	v_cmp_gt_f32_e64 s0, v7, v17
	s_delay_alu instid0(VALU_DEP_1) | instskip(NEXT) | instid1(VALU_DEP_3)
	v_cndmask_b32_e64 v17, v18, v3, s0
	v_cndmask_b32_e64 v18, v19, 3, s0
	v_add_nc_u32_e32 v16, s10, v16
	global_store_b32 v[8:9], v17, off
	v_add_f32_e32 v17, v15, v17
	v_cmp_ne_u32_e64 s2, 0, v18
	v_subrev_nc_u32_e32 v19, s5, v18
	v_cmp_le_i32_e64 s0, s5, v18
	v_cmp_gt_i32_e64 s1, s6, v18
	v_cndmask_b32_e32 v15, v15, v17, vcc_lo
	v_cndmask_b32_e64 v20, 0xc61c4000, v4, s2
	v_cmp_ne_u32_e64 s2, 1, v18
	s_delay_alu instid0(VALU_DEP_4) | instskip(NEXT) | instid1(SALU_CYCLE_1)
	s_and_b32 s0, s0, s1
	s_and_b32 s0, s11, s0
	s_delay_alu instid0(VALU_DEP_1) | instskip(SKIP_3) | instid1(VALU_DEP_2)
	v_cndmask_b32_e64 v21, 0xc61c4000, v5, s2
	v_cmp_ne_u32_e64 s2, 2, v18
	v_cndmask_b32_e64 v17, 4, v19, s0
	s_cmp_lt_i32 s7, s4
	v_cndmask_b32_e64 v22, 0xc61c4000, v6, s2
	v_cmp_ne_u32_e64 s2, 3, v18
	v_ashrrev_i32_e32 v18, 31, v19
	s_delay_alu instid0(VALU_DEP_2) | instskip(NEXT) | instid1(VALU_DEP_2)
	v_cndmask_b32_e64 v23, 0xc61c4000, v7, s2
	v_cndmask_b32_e64 v18, 0, v18, s0
	s_cselect_b32 s0, -1, 0
	v_add_co_u32 v8, s2, v8, 4
	s_delay_alu instid0(VALU_DEP_3)
	v_cndmask_b32_e64 v7, v7, v23, s0
	v_cndmask_b32_e64 v6, v6, v22, s0
	;; [unrolled: 1-line block ×4, first 2 shown]
	global_store_b64 v[10:11], v[17:18], off
	v_add_co_u32 v10, s0, v10, 8
	v_add_co_ci_u32_e64 v9, s2, 0, v9, s2
	v_add_co_ci_u32_e64 v11, s0, 0, v11, s0
	s_cmp_eq_u32 s4, s7
	s_cbranch_scc0 .LBB49_8
; %bb.9:
	s_and_b32 vcc_lo, exec_lo, vcc_lo
	s_cbranch_vccnz .LBB49_12
	s_branch .LBB49_15
.LBB49_10:
                                        ; implicit-def: $vgpr4_vgpr5_vgpr6_vgpr7
	s_and_not1_b32 vcc_lo, exec_lo, s12
	s_cbranch_vccz .LBB49_5
	s_branch .LBB49_6
.LBB49_11:
	v_mov_b32_e32 v15, 0
	s_and_b32 vcc_lo, exec_lo, vcc_lo
	s_cbranch_vccz .LBB49_15
.LBB49_12:
	s_and_not1_b32 vcc_lo, exec_lo, s3
	s_cbranch_vccnz .LBB49_15
; %bb.13:
	v_mul_lo_u32 v0, v14, s4
	v_cmp_lt_f32_e32 vcc_lo, 0, v15
	v_cndmask_b32_e32 v2, 1.0, v15, vcc_lo
	s_delay_alu instid0(VALU_DEP_3) | instskip(NEXT) | instid1(VALU_DEP_1)
	v_ashrrev_i32_e32 v1, 31, v0
	v_lshlrev_b64 v[0:1], 2, v[0:1]
	s_delay_alu instid0(VALU_DEP_1) | instskip(NEXT) | instid1(VALU_DEP_2)
	v_add_co_u32 v0, vcc_lo, s8, v0
	v_add_co_ci_u32_e32 v1, vcc_lo, s9, v1, vcc_lo
	.p2align	6
.LBB49_14:                              ; =>This Inner Loop Header: Depth=1
	global_load_b32 v3, v[0:1], off
	s_add_i32 s4, s4, -1
	s_delay_alu instid0(SALU_CYCLE_1) | instskip(SKIP_3) | instid1(VALU_DEP_2)
	s_cmp_lg_u32 s4, 0
	s_waitcnt vmcnt(0)
	v_div_scale_f32 v4, null, v2, v2, v3
	v_div_scale_f32 v7, vcc_lo, v3, v2, v3
	v_rcp_f32_e32 v5, v4
	s_waitcnt_depctr 0xfff
	v_fma_f32 v6, -v4, v5, 1.0
	s_delay_alu instid0(VALU_DEP_1) | instskip(NEXT) | instid1(VALU_DEP_1)
	v_fmac_f32_e32 v5, v6, v5
	v_mul_f32_e32 v6, v7, v5
	s_delay_alu instid0(VALU_DEP_1) | instskip(NEXT) | instid1(VALU_DEP_1)
	v_fma_f32 v8, -v4, v6, v7
	v_fmac_f32_e32 v6, v8, v5
	s_delay_alu instid0(VALU_DEP_1) | instskip(NEXT) | instid1(VALU_DEP_1)
	v_fma_f32 v4, -v4, v6, v7
	v_div_fmas_f32 v4, v4, v5, v6
	s_delay_alu instid0(VALU_DEP_1)
	v_div_fixup_f32 v3, v4, v2, v3
	global_store_b32 v[0:1], v3, off
	v_add_co_u32 v0, vcc_lo, v0, 4
	v_add_co_ci_u32_e32 v1, vcc_lo, 0, v1, vcc_lo
	s_cbranch_scc1 .LBB49_14
.LBB49_15:
	s_nop 0
	s_sendmsg sendmsg(MSG_DEALLOC_VGPRS)
	s_endpgm
	.section	.rodata,"a",@progbits
	.p2align	6, 0x0
	.amdhsa_kernel _ZN4vllm3moe10topkGatingILi4ELi4ELi4ELi16ELi64ElfLNS0_11ScoringFuncE0EEEvPKT5_PKbPfiPT4_PiiiibPKf
		.amdhsa_group_segment_fixed_size 0
		.amdhsa_private_segment_fixed_size 0
		.amdhsa_kernarg_size 72
		.amdhsa_user_sgpr_count 15
		.amdhsa_user_sgpr_dispatch_ptr 0
		.amdhsa_user_sgpr_queue_ptr 0
		.amdhsa_user_sgpr_kernarg_segment_ptr 1
		.amdhsa_user_sgpr_dispatch_id 0
		.amdhsa_user_sgpr_private_segment_size 0
		.amdhsa_wavefront_size32 1
		.amdhsa_uses_dynamic_stack 0
		.amdhsa_enable_private_segment 0
		.amdhsa_system_sgpr_workgroup_id_x 1
		.amdhsa_system_sgpr_workgroup_id_y 0
		.amdhsa_system_sgpr_workgroup_id_z 0
		.amdhsa_system_sgpr_workgroup_info 0
		.amdhsa_system_vgpr_workitem_id 1
		.amdhsa_next_free_vgpr 24
		.amdhsa_next_free_sgpr 16
		.amdhsa_reserve_vcc 1
		.amdhsa_float_round_mode_32 0
		.amdhsa_float_round_mode_16_64 0
		.amdhsa_float_denorm_mode_32 3
		.amdhsa_float_denorm_mode_16_64 3
		.amdhsa_dx10_clamp 1
		.amdhsa_ieee_mode 1
		.amdhsa_fp16_overflow 0
		.amdhsa_workgroup_processor_mode 1
		.amdhsa_memory_ordered 1
		.amdhsa_forward_progress 0
		.amdhsa_shared_vgpr_count 0
		.amdhsa_exception_fp_ieee_invalid_op 0
		.amdhsa_exception_fp_denorm_src 0
		.amdhsa_exception_fp_ieee_div_zero 0
		.amdhsa_exception_fp_ieee_overflow 0
		.amdhsa_exception_fp_ieee_underflow 0
		.amdhsa_exception_fp_ieee_inexact 0
		.amdhsa_exception_int_div_zero 0
	.end_amdhsa_kernel
	.section	.text._ZN4vllm3moe10topkGatingILi4ELi4ELi4ELi16ELi64ElfLNS0_11ScoringFuncE0EEEvPKT5_PKbPfiPT4_PiiiibPKf,"axG",@progbits,_ZN4vllm3moe10topkGatingILi4ELi4ELi4ELi16ELi64ElfLNS0_11ScoringFuncE0EEEvPKT5_PKbPfiPT4_PiiiibPKf,comdat
.Lfunc_end49:
	.size	_ZN4vllm3moe10topkGatingILi4ELi4ELi4ELi16ELi64ElfLNS0_11ScoringFuncE0EEEvPKT5_PKbPfiPT4_PiiiibPKf, .Lfunc_end49-_ZN4vllm3moe10topkGatingILi4ELi4ELi4ELi16ELi64ElfLNS0_11ScoringFuncE0EEEvPKT5_PKbPfiPT4_PiiiibPKf
                                        ; -- End function
	.section	.AMDGPU.csdata,"",@progbits
; Kernel info:
; codeLenInByte = 1672
; NumSgprs: 18
; NumVgprs: 24
; ScratchSize: 0
; MemoryBound: 0
; FloatMode: 240
; IeeeMode: 1
; LDSByteSize: 0 bytes/workgroup (compile time only)
; SGPRBlocks: 2
; VGPRBlocks: 2
; NumSGPRsForWavesPerEU: 18
; NumVGPRsForWavesPerEU: 24
; Occupancy: 16
; WaveLimiterHint : 0
; COMPUTE_PGM_RSRC2:SCRATCH_EN: 0
; COMPUTE_PGM_RSRC2:USER_SGPR: 15
; COMPUTE_PGM_RSRC2:TRAP_HANDLER: 0
; COMPUTE_PGM_RSRC2:TGID_X_EN: 1
; COMPUTE_PGM_RSRC2:TGID_Y_EN: 0
; COMPUTE_PGM_RSRC2:TGID_Z_EN: 0
; COMPUTE_PGM_RSRC2:TIDIG_COMP_CNT: 1
	.section	.text._ZN4vllm3moe10topkGatingILi4ELi4ELi4ELi16ELi32ElfLNS0_11ScoringFuncE0EEEvPKT5_PKbPfiPT4_PiiiibPKf,"axG",@progbits,_ZN4vllm3moe10topkGatingILi4ELi4ELi4ELi16ELi32ElfLNS0_11ScoringFuncE0EEEvPKT5_PKbPfiPT4_PiiiibPKf,comdat
	.protected	_ZN4vllm3moe10topkGatingILi4ELi4ELi4ELi16ELi32ElfLNS0_11ScoringFuncE0EEEvPKT5_PKbPfiPT4_PiiiibPKf ; -- Begin function _ZN4vllm3moe10topkGatingILi4ELi4ELi4ELi16ELi32ElfLNS0_11ScoringFuncE0EEEvPKT5_PKbPfiPT4_PiiiibPKf
	.globl	_ZN4vllm3moe10topkGatingILi4ELi4ELi4ELi16ELi32ElfLNS0_11ScoringFuncE0EEEvPKT5_PKbPfiPT4_PiiiibPKf
	.p2align	8
	.type	_ZN4vllm3moe10topkGatingILi4ELi4ELi4ELi16ELi32ElfLNS0_11ScoringFuncE0EEEvPKT5_PKbPfiPT4_PiiiibPKf,@function
_ZN4vllm3moe10topkGatingILi4ELi4ELi4ELi16ELi32ElfLNS0_11ScoringFuncE0EEEvPKT5_PKbPfiPT4_PiiiibPKf: ; @_ZN4vllm3moe10topkGatingILi4ELi4ELi4ELi16ELi32ElfLNS0_11ScoringFuncE0EEEvPKT5_PKbPfiPT4_PiiiibPKf
; %bb.0:
	s_load_b32 s10, s[0:1], 0x18
	v_bfe_u32 v1, v0, 10, 10
	v_and_b32_e32 v0, 0x3ff, v0
	s_lshl_b32 s2, s15, 7
	s_delay_alu instid0(VALU_DEP_2) | instskip(NEXT) | instid1(VALU_DEP_1)
	v_lshlrev_b32_e32 v1, 5, v1
	v_add3_u32 v14, v1, v0, s2
	s_mov_b32 s2, exec_lo
	s_waitcnt lgkmcnt(0)
	s_delay_alu instid0(VALU_DEP_1)
	v_cmpx_gt_i32_e64 s10, v14
	s_cbranch_execz .LBB50_15
; %bb.1:
	s_clause 0x1
	s_load_b128 s[4:7], s[0:1], 0x0
	s_load_b64 s[8:9], s[0:1], 0x10
	s_mov_b32 s12, -1
	s_mov_b32 s11, -1
	s_waitcnt lgkmcnt(0)
	s_cmp_eq_u64 s[6:7], 0
	s_cbranch_scc1 .LBB50_3
; %bb.2:
	v_ashrrev_i32_e32 v1, 31, v14
	v_add_co_u32 v0, vcc_lo, s6, v14
	s_delay_alu instid0(VALU_DEP_2) | instskip(SKIP_3) | instid1(VALU_DEP_1)
	v_add_co_ci_u32_e32 v1, vcc_lo, s7, v1, vcc_lo
	global_load_u8 v0, v[0:1], off
	s_waitcnt vmcnt(0)
	v_and_b32_e32 v0, 1, v0
	v_cmp_eq_u32_e32 vcc_lo, 1, v0
	s_xor_b32 s2, vcc_lo, -1
	s_delay_alu instid0(SALU_CYCLE_1)
	s_or_not1_b32 s11, s2, exec_lo
.LBB50_3:
	v_lshlrev_b32_e32 v0, 2, v14
	s_load_b64 s[2:3], s[0:1], 0x40
	s_delay_alu instid0(VALU_DEP_1) | instskip(NEXT) | instid1(VALU_DEP_1)
	v_ashrrev_i32_e32 v1, 31, v0
	v_lshlrev_b64 v[0:1], 2, v[0:1]
	s_delay_alu instid0(VALU_DEP_1) | instskip(NEXT) | instid1(VALU_DEP_2)
	v_add_co_u32 v0, vcc_lo, s4, v0
	v_add_co_ci_u32_e32 v1, vcc_lo, s5, v1, vcc_lo
	s_waitcnt lgkmcnt(0)
	s_cmp_eq_u64 s[2:3], 0
	global_load_b128 v[0:3], v[0:1], off
	s_waitcnt vmcnt(0)
	v_dual_max_f32 v4, v1, v1 :: v_dual_max_f32 v5, v0, v0
	s_delay_alu instid0(VALU_DEP_1) | instskip(NEXT) | instid1(VALU_DEP_1)
	v_max_f32_e32 v4, v5, v4
	v_max3_f32 v4, v4, v2, v3
	s_delay_alu instid0(VALU_DEP_1) | instskip(NEXT) | instid1(VALU_DEP_1)
	v_sub_f32_e32 v1, v1, v4
	v_mul_f32_e32 v5, 0x3fb8aa3b, v1
	s_delay_alu instid0(VALU_DEP_1) | instskip(SKIP_2) | instid1(VALU_DEP_3)
	v_rndne_f32_e32 v11, v5
	v_sub_f32_e32 v2, v2, v4
	v_fma_f32 v10, 0x3fb8aa3b, v1, -v5
	v_sub_f32_e32 v5, v5, v11
	s_delay_alu instid0(VALU_DEP_3) | instskip(SKIP_1) | instid1(VALU_DEP_4)
	v_dual_sub_f32 v3, v3, v4 :: v_dual_mul_f32 v6, 0x3fb8aa3b, v2
	v_sub_f32_e32 v0, v0, v4
	v_fmac_f32_e32 v10, 0x32a5705f, v1
	s_delay_alu instid0(VALU_DEP_3) | instskip(NEXT) | instid1(VALU_DEP_4)
	v_mul_f32_e32 v7, 0x3fb8aa3b, v3
	v_fma_f32 v12, 0x3fb8aa3b, v2, -v6
	s_delay_alu instid0(VALU_DEP_3) | instskip(SKIP_1) | instid1(VALU_DEP_4)
	v_dual_mul_f32 v4, 0x3fb8aa3b, v0 :: v_dual_add_f32 v5, v5, v10
	v_rndne_f32_e32 v13, v6
	v_fma_f32 v15, 0x3fb8aa3b, v3, -v7
	v_rndne_f32_e32 v16, v7
	s_delay_alu instid0(VALU_DEP_4)
	v_fma_f32 v8, 0x3fb8aa3b, v0, -v4
	v_rndne_f32_e32 v9, v4
	v_exp_f32_e32 v5, v5
	v_fmac_f32_e32 v15, 0x32a5705f, v3
	v_sub_f32_e32 v7, v7, v16
	v_fmac_f32_e32 v8, 0x32a5705f, v0
	v_sub_f32_e32 v4, v4, v9
	v_cmp_ngt_f32_e32 vcc_lo, 0xc2ce8ed0, v0
	v_sub_f32_e32 v6, v6, v13
	v_cvt_i32_f32_e32 v10, v13
	s_delay_alu instid0(VALU_DEP_4) | instskip(SKIP_3) | instid1(VALU_DEP_4)
	v_dual_add_f32 v7, v7, v15 :: v_dual_add_f32 v4, v4, v8
	v_cvt_i32_f32_e32 v8, v9
	v_cvt_i32_f32_e32 v9, v11
	;; [unrolled: 1-line block ×3, first 2 shown]
	v_exp_f32_e32 v7, v7
	v_exp_f32_e32 v4, v4
	s_delay_alu instid0(VALU_DEP_2) | instskip(SKIP_3) | instid1(VALU_DEP_1)
	v_ldexp_f32 v5, v5, v9
	s_waitcnt_depctr 0xfff
	v_ldexp_f32 v7, v7, v11
	v_ldexp_f32 v4, v4, v8
	v_cndmask_b32_e32 v4, 0, v4, vcc_lo
	v_cmp_ngt_f32_e32 vcc_lo, 0xc2ce8ed0, v1
	v_dual_fmac_f32 v12, 0x32a5705f, v2 :: v_dual_cndmask_b32 v5, 0, v5
	s_delay_alu instid0(VALU_DEP_1) | instskip(SKIP_1) | instid1(VALU_DEP_2)
	v_add_f32_e32 v6, v6, v12
	v_cmp_ngt_f32_e32 vcc_lo, 0xc2ce8ed0, v2
	v_exp_f32_e32 v6, v6
	s_waitcnt_depctr 0xfff
	v_ldexp_f32 v6, v6, v10
	s_delay_alu instid0(VALU_DEP_1)
	v_cndmask_b32_e32 v6, 0, v6, vcc_lo
	v_cmp_nlt_f32_e32 vcc_lo, 0x42b17218, v0
	v_cndmask_b32_e32 v0, 0x7f800000, v4, vcc_lo
	v_cmp_nlt_f32_e32 vcc_lo, 0x42b17218, v1
	v_cndmask_b32_e32 v1, 0x7f800000, v5, vcc_lo
	v_cmp_ngt_f32_e32 vcc_lo, 0xc2ce8ed0, v3
	s_delay_alu instid0(VALU_DEP_2) | instskip(SKIP_3) | instid1(VALU_DEP_2)
	v_dual_add_f32 v5, v0, v1 :: v_dual_cndmask_b32 v4, 0, v7
	v_cmp_nlt_f32_e32 vcc_lo, 0x42b17218, v2
	v_cndmask_b32_e32 v2, 0x7f800000, v6, vcc_lo
	v_cmp_nlt_f32_e32 vcc_lo, 0x42b17218, v3
	v_dual_cndmask_b32 v3, 0x7f800000, v4 :: v_dual_add_f32 v4, v5, v2
	s_delay_alu instid0(VALU_DEP_1) | instskip(NEXT) | instid1(VALU_DEP_1)
	v_add_f32_e32 v4, v4, v3
	v_div_scale_f32 v5, null, v4, v4, 1.0
	v_div_scale_f32 v8, vcc_lo, 1.0, v4, 1.0
	s_delay_alu instid0(VALU_DEP_2) | instskip(SKIP_2) | instid1(VALU_DEP_1)
	v_rcp_f32_e32 v6, v5
	s_waitcnt_depctr 0xfff
	v_fma_f32 v7, -v5, v6, 1.0
	v_fmac_f32_e32 v6, v7, v6
	s_delay_alu instid0(VALU_DEP_1) | instskip(NEXT) | instid1(VALU_DEP_1)
	v_mul_f32_e32 v7, v8, v6
	v_fma_f32 v9, -v5, v7, v8
	s_delay_alu instid0(VALU_DEP_1) | instskip(NEXT) | instid1(VALU_DEP_1)
	v_fmac_f32_e32 v7, v9, v6
	v_fma_f32 v5, -v5, v7, v8
	s_delay_alu instid0(VALU_DEP_1) | instskip(NEXT) | instid1(VALU_DEP_1)
	v_div_fmas_f32 v5, v5, v6, v7
	v_div_fixup_f32 v4, v5, v4, 1.0
	s_delay_alu instid0(VALU_DEP_1) | instskip(SKIP_3) | instid1(VALU_DEP_4)
	v_mul_f32_e32 v0, v4, v0
	v_mul_f32_e32 v1, v4, v1
	v_mul_f32_e32 v3, v4, v3
	v_mul_f32_e32 v2, v4, v2
	v_cmp_class_f32_e64 vcc_lo, v0, 0x1f8
	v_cndmask_b32_e32 v0, 0, v0, vcc_lo
	v_cmp_class_f32_e64 vcc_lo, v1, 0x1f8
	v_cndmask_b32_e32 v1, 0, v1, vcc_lo
	;; [unrolled: 2-line block ×4, first 2 shown]
	s_cbranch_scc1 .LBB50_10
; %bb.4:
	s_load_b128 s[4:7], s[2:3], 0x0
	s_waitcnt lgkmcnt(0)
	v_dual_add_f32 v4, s4, v0 :: v_dual_add_f32 v5, s5, v1
	v_dual_add_f32 v6, s6, v2 :: v_dual_add_f32 v7, s7, v3
	s_cbranch_execnz .LBB50_6
.LBB50_5:
	v_dual_mov_b32 v7, v3 :: v_dual_mov_b32 v6, v2
	v_dual_mov_b32 v5, v1 :: v_dual_mov_b32 v4, v0
.LBB50_6:
	s_load_b128 s[4:7], s[0:1], 0x30
	s_waitcnt lgkmcnt(0)
	s_bitcmp1_b32 s7, 0
	s_mov_b32 s7, 0
	s_cselect_b32 vcc_lo, -1, 0
	s_cmp_gt_i32 s4, 0
	s_cselect_b32 s3, -1, 0
	s_cmp_lt_i32 s4, 1
	s_cbranch_scc1 .LBB50_11
; %bb.7:
	v_mul_lo_u32 v8, v14, s4
	s_load_b128 s[12:15], s[0:1], 0x20
	v_dual_mov_b32 v15, 0 :: v_dual_mov_b32 v16, v14
	s_delay_alu instid0(VALU_DEP_2) | instskip(NEXT) | instid1(VALU_DEP_1)
	v_ashrrev_i32_e32 v9, 31, v8
	v_lshlrev_b64 v[12:13], 2, v[8:9]
	v_lshlrev_b64 v[10:11], 3, v[8:9]
	s_delay_alu instid0(VALU_DEP_2) | instskip(NEXT) | instid1(VALU_DEP_1)
	v_add_co_u32 v8, s0, s8, v12
	v_add_co_ci_u32_e64 v9, s0, s9, v13, s0
	s_waitcnt lgkmcnt(0)
	s_delay_alu instid0(VALU_DEP_3) | instskip(NEXT) | instid1(VALU_DEP_1)
	v_add_co_u32 v10, s0, s12, v10
	v_add_co_ci_u32_e64 v11, s0, s13, v11, s0
	v_add_co_u32 v12, s0, s14, v12
	s_delay_alu instid0(VALU_DEP_1)
	v_add_co_ci_u32_e64 v13, s0, s15, v13, s0
.LBB50_8:                               ; =>This Inner Loop Header: Depth=1
	v_cmp_gt_f32_e64 s0, v5, v4
	global_store_b32 v[12:13], v16, off
	v_add_co_u32 v12, s1, v12, 4
	s_delay_alu instid0(VALU_DEP_1) | instskip(SKIP_4) | instid1(VALU_DEP_3)
	v_add_co_ci_u32_e64 v13, s1, 0, v13, s1
	v_cndmask_b32_e64 v17, v4, v5, s0
	v_cndmask_b32_e64 v18, v0, v1, s0
	;; [unrolled: 1-line block ×3, first 2 shown]
	s_add_i32 s7, s7, 1
	v_cmp_gt_f32_e64 s1, v6, v17
	s_delay_alu instid0(VALU_DEP_1) | instskip(SKIP_2) | instid1(VALU_DEP_3)
	v_cndmask_b32_e64 v17, v17, v6, s1
	v_cndmask_b32_e64 v18, v18, v2, s1
	v_cndmask_b32_e64 v19, v19, 2, s1
	v_cmp_gt_f32_e64 s0, v7, v17
	s_delay_alu instid0(VALU_DEP_1) | instskip(NEXT) | instid1(VALU_DEP_3)
	v_cndmask_b32_e64 v17, v18, v3, s0
	v_cndmask_b32_e64 v18, v19, 3, s0
	v_add_nc_u32_e32 v16, s10, v16
	global_store_b32 v[8:9], v17, off
	v_add_f32_e32 v17, v15, v17
	v_cmp_ne_u32_e64 s2, 0, v18
	v_subrev_nc_u32_e32 v19, s5, v18
	v_cmp_le_i32_e64 s0, s5, v18
	v_cmp_gt_i32_e64 s1, s6, v18
	v_cndmask_b32_e32 v15, v15, v17, vcc_lo
	v_cndmask_b32_e64 v20, 0xc61c4000, v4, s2
	v_cmp_ne_u32_e64 s2, 1, v18
	s_delay_alu instid0(VALU_DEP_4) | instskip(NEXT) | instid1(SALU_CYCLE_1)
	s_and_b32 s0, s0, s1
	s_and_b32 s0, s11, s0
	s_delay_alu instid0(VALU_DEP_1) | instskip(SKIP_3) | instid1(VALU_DEP_2)
	v_cndmask_b32_e64 v21, 0xc61c4000, v5, s2
	v_cmp_ne_u32_e64 s2, 2, v18
	v_cndmask_b32_e64 v17, 4, v19, s0
	s_cmp_lt_i32 s7, s4
	v_cndmask_b32_e64 v22, 0xc61c4000, v6, s2
	v_cmp_ne_u32_e64 s2, 3, v18
	v_ashrrev_i32_e32 v18, 31, v19
	s_delay_alu instid0(VALU_DEP_2) | instskip(NEXT) | instid1(VALU_DEP_2)
	v_cndmask_b32_e64 v23, 0xc61c4000, v7, s2
	v_cndmask_b32_e64 v18, 0, v18, s0
	s_cselect_b32 s0, -1, 0
	v_add_co_u32 v8, s2, v8, 4
	s_delay_alu instid0(VALU_DEP_3)
	v_cndmask_b32_e64 v7, v7, v23, s0
	v_cndmask_b32_e64 v6, v6, v22, s0
	;; [unrolled: 1-line block ×4, first 2 shown]
	global_store_b64 v[10:11], v[17:18], off
	v_add_co_u32 v10, s0, v10, 8
	v_add_co_ci_u32_e64 v9, s2, 0, v9, s2
	v_add_co_ci_u32_e64 v11, s0, 0, v11, s0
	s_cmp_eq_u32 s4, s7
	s_cbranch_scc0 .LBB50_8
; %bb.9:
	s_and_b32 vcc_lo, exec_lo, vcc_lo
	s_cbranch_vccnz .LBB50_12
	s_branch .LBB50_15
.LBB50_10:
                                        ; implicit-def: $vgpr4_vgpr5_vgpr6_vgpr7
	s_and_not1_b32 vcc_lo, exec_lo, s12
	s_cbranch_vccz .LBB50_5
	s_branch .LBB50_6
.LBB50_11:
	v_mov_b32_e32 v15, 0
	s_and_b32 vcc_lo, exec_lo, vcc_lo
	s_cbranch_vccz .LBB50_15
.LBB50_12:
	s_and_not1_b32 vcc_lo, exec_lo, s3
	s_cbranch_vccnz .LBB50_15
; %bb.13:
	v_mul_lo_u32 v0, v14, s4
	v_cmp_lt_f32_e32 vcc_lo, 0, v15
	v_cndmask_b32_e32 v2, 1.0, v15, vcc_lo
	s_delay_alu instid0(VALU_DEP_3) | instskip(NEXT) | instid1(VALU_DEP_1)
	v_ashrrev_i32_e32 v1, 31, v0
	v_lshlrev_b64 v[0:1], 2, v[0:1]
	s_delay_alu instid0(VALU_DEP_1) | instskip(NEXT) | instid1(VALU_DEP_2)
	v_add_co_u32 v0, vcc_lo, s8, v0
	v_add_co_ci_u32_e32 v1, vcc_lo, s9, v1, vcc_lo
	.p2align	6
.LBB50_14:                              ; =>This Inner Loop Header: Depth=1
	global_load_b32 v3, v[0:1], off
	s_add_i32 s4, s4, -1
	s_delay_alu instid0(SALU_CYCLE_1) | instskip(SKIP_3) | instid1(VALU_DEP_2)
	s_cmp_lg_u32 s4, 0
	s_waitcnt vmcnt(0)
	v_div_scale_f32 v4, null, v2, v2, v3
	v_div_scale_f32 v7, vcc_lo, v3, v2, v3
	v_rcp_f32_e32 v5, v4
	s_waitcnt_depctr 0xfff
	v_fma_f32 v6, -v4, v5, 1.0
	s_delay_alu instid0(VALU_DEP_1) | instskip(NEXT) | instid1(VALU_DEP_1)
	v_fmac_f32_e32 v5, v6, v5
	v_mul_f32_e32 v6, v7, v5
	s_delay_alu instid0(VALU_DEP_1) | instskip(NEXT) | instid1(VALU_DEP_1)
	v_fma_f32 v8, -v4, v6, v7
	v_fmac_f32_e32 v6, v8, v5
	s_delay_alu instid0(VALU_DEP_1) | instskip(NEXT) | instid1(VALU_DEP_1)
	v_fma_f32 v4, -v4, v6, v7
	v_div_fmas_f32 v4, v4, v5, v6
	s_delay_alu instid0(VALU_DEP_1)
	v_div_fixup_f32 v3, v4, v2, v3
	global_store_b32 v[0:1], v3, off
	v_add_co_u32 v0, vcc_lo, v0, 4
	v_add_co_ci_u32_e32 v1, vcc_lo, 0, v1, vcc_lo
	s_cbranch_scc1 .LBB50_14
.LBB50_15:
	s_nop 0
	s_sendmsg sendmsg(MSG_DEALLOC_VGPRS)
	s_endpgm
	.section	.rodata,"a",@progbits
	.p2align	6, 0x0
	.amdhsa_kernel _ZN4vllm3moe10topkGatingILi4ELi4ELi4ELi16ELi32ElfLNS0_11ScoringFuncE0EEEvPKT5_PKbPfiPT4_PiiiibPKf
		.amdhsa_group_segment_fixed_size 0
		.amdhsa_private_segment_fixed_size 0
		.amdhsa_kernarg_size 72
		.amdhsa_user_sgpr_count 15
		.amdhsa_user_sgpr_dispatch_ptr 0
		.amdhsa_user_sgpr_queue_ptr 0
		.amdhsa_user_sgpr_kernarg_segment_ptr 1
		.amdhsa_user_sgpr_dispatch_id 0
		.amdhsa_user_sgpr_private_segment_size 0
		.amdhsa_wavefront_size32 1
		.amdhsa_uses_dynamic_stack 0
		.amdhsa_enable_private_segment 0
		.amdhsa_system_sgpr_workgroup_id_x 1
		.amdhsa_system_sgpr_workgroup_id_y 0
		.amdhsa_system_sgpr_workgroup_id_z 0
		.amdhsa_system_sgpr_workgroup_info 0
		.amdhsa_system_vgpr_workitem_id 1
		.amdhsa_next_free_vgpr 24
		.amdhsa_next_free_sgpr 16
		.amdhsa_reserve_vcc 1
		.amdhsa_float_round_mode_32 0
		.amdhsa_float_round_mode_16_64 0
		.amdhsa_float_denorm_mode_32 3
		.amdhsa_float_denorm_mode_16_64 3
		.amdhsa_dx10_clamp 1
		.amdhsa_ieee_mode 1
		.amdhsa_fp16_overflow 0
		.amdhsa_workgroup_processor_mode 1
		.amdhsa_memory_ordered 1
		.amdhsa_forward_progress 0
		.amdhsa_shared_vgpr_count 0
		.amdhsa_exception_fp_ieee_invalid_op 0
		.amdhsa_exception_fp_denorm_src 0
		.amdhsa_exception_fp_ieee_div_zero 0
		.amdhsa_exception_fp_ieee_overflow 0
		.amdhsa_exception_fp_ieee_underflow 0
		.amdhsa_exception_fp_ieee_inexact 0
		.amdhsa_exception_int_div_zero 0
	.end_amdhsa_kernel
	.section	.text._ZN4vllm3moe10topkGatingILi4ELi4ELi4ELi16ELi32ElfLNS0_11ScoringFuncE0EEEvPKT5_PKbPfiPT4_PiiiibPKf,"axG",@progbits,_ZN4vllm3moe10topkGatingILi4ELi4ELi4ELi16ELi32ElfLNS0_11ScoringFuncE0EEEvPKT5_PKbPfiPT4_PiiiibPKf,comdat
.Lfunc_end50:
	.size	_ZN4vllm3moe10topkGatingILi4ELi4ELi4ELi16ELi32ElfLNS0_11ScoringFuncE0EEEvPKT5_PKbPfiPT4_PiiiibPKf, .Lfunc_end50-_ZN4vllm3moe10topkGatingILi4ELi4ELi4ELi16ELi32ElfLNS0_11ScoringFuncE0EEEvPKT5_PKbPfiPT4_PiiiibPKf
                                        ; -- End function
	.section	.AMDGPU.csdata,"",@progbits
; Kernel info:
; codeLenInByte = 1672
; NumSgprs: 18
; NumVgprs: 24
; ScratchSize: 0
; MemoryBound: 0
; FloatMode: 240
; IeeeMode: 1
; LDSByteSize: 0 bytes/workgroup (compile time only)
; SGPRBlocks: 2
; VGPRBlocks: 2
; NumSGPRsForWavesPerEU: 18
; NumVGPRsForWavesPerEU: 24
; Occupancy: 16
; WaveLimiterHint : 0
; COMPUTE_PGM_RSRC2:SCRATCH_EN: 0
; COMPUTE_PGM_RSRC2:USER_SGPR: 15
; COMPUTE_PGM_RSRC2:TRAP_HANDLER: 0
; COMPUTE_PGM_RSRC2:TGID_X_EN: 1
; COMPUTE_PGM_RSRC2:TGID_Y_EN: 0
; COMPUTE_PGM_RSRC2:TGID_Z_EN: 0
; COMPUTE_PGM_RSRC2:TIDIG_COMP_CNT: 1
	.section	.text._ZN4vllm3moe10topkGatingILi4ELi8ELi4ELi16ELi64ElfLNS0_11ScoringFuncE0EEEvPKT5_PKbPfiPT4_PiiiibPKf,"axG",@progbits,_ZN4vllm3moe10topkGatingILi4ELi8ELi4ELi16ELi64ElfLNS0_11ScoringFuncE0EEEvPKT5_PKbPfiPT4_PiiiibPKf,comdat
	.protected	_ZN4vllm3moe10topkGatingILi4ELi8ELi4ELi16ELi64ElfLNS0_11ScoringFuncE0EEEvPKT5_PKbPfiPT4_PiiiibPKf ; -- Begin function _ZN4vllm3moe10topkGatingILi4ELi8ELi4ELi16ELi64ElfLNS0_11ScoringFuncE0EEEvPKT5_PKbPfiPT4_PiiiibPKf
	.globl	_ZN4vllm3moe10topkGatingILi4ELi8ELi4ELi16ELi64ElfLNS0_11ScoringFuncE0EEEvPKT5_PKbPfiPT4_PiiiibPKf
	.p2align	8
	.type	_ZN4vllm3moe10topkGatingILi4ELi8ELi4ELi16ELi64ElfLNS0_11ScoringFuncE0EEEvPKT5_PKbPfiPT4_PiiiibPKf,@function
_ZN4vllm3moe10topkGatingILi4ELi8ELi4ELi16ELi64ElfLNS0_11ScoringFuncE0EEEvPKT5_PKbPfiPT4_PiiiibPKf: ; @_ZN4vllm3moe10topkGatingILi4ELi8ELi4ELi16ELi64ElfLNS0_11ScoringFuncE0EEEvPKT5_PKbPfiPT4_PiiiibPKf
; %bb.0:
	s_load_b32 s14, s[0:1], 0x18
	v_bfe_u32 v1, v0, 10, 10
	v_and_b32_e32 v0, 0x3ff, v0
	s_lshl_b32 s2, s15, 7
	s_delay_alu instid0(VALU_DEP_2) | instskip(NEXT) | instid1(VALU_DEP_2)
	v_lshlrev_b32_e32 v1, 5, v1
	v_lshrrev_b32_e32 v2, 1, v0
	s_delay_alu instid0(VALU_DEP_1) | instskip(SKIP_2) | instid1(VALU_DEP_1)
	v_add3_u32 v8, s2, v1, v2
	s_mov_b32 s2, exec_lo
	s_waitcnt lgkmcnt(0)
	v_cmpx_gt_i32_e64 s14, v8
	s_cbranch_execz .LBB51_25
; %bb.1:
	s_clause 0x1
	s_load_b128 s[4:7], s[0:1], 0x0
	s_load_b64 s[12:13], s[0:1], 0x10
	s_mov_b32 s8, -1
	s_mov_b32 s15, -1
	s_waitcnt lgkmcnt(0)
	s_cmp_eq_u64 s[6:7], 0
	s_cbranch_scc1 .LBB51_3
; %bb.2:
	v_ashrrev_i32_e32 v2, 31, v8
	v_add_co_u32 v1, vcc_lo, s6, v8
	s_delay_alu instid0(VALU_DEP_2) | instskip(SKIP_3) | instid1(VALU_DEP_1)
	v_add_co_ci_u32_e32 v2, vcc_lo, s7, v2, vcc_lo
	global_load_u8 v1, v[1:2], off
	s_waitcnt vmcnt(0)
	v_and_b32_e32 v1, 1, v1
	v_cmp_eq_u32_e32 vcc_lo, 1, v1
	s_xor_b32 s2, vcc_lo, -1
	s_delay_alu instid0(SALU_CYCLE_1)
	s_or_not1_b32 s15, s2, exec_lo
.LBB51_3:
	v_mbcnt_lo_u32_b32 v4, -1, 0
	v_and_b32_e32 v9, 1, v0
	s_load_b64 s[2:3], s[0:1], 0x40
	s_delay_alu instid0(VALU_DEP_2) | instskip(SKIP_2) | instid1(VALU_DEP_2)
	v_xor_b32_e32 v6, 1, v4
	v_lshlrev_b32_e32 v1, 3, v8
	v_and_b32_e32 v5, 30, v4
	v_ashrrev_i32_e32 v2, 31, v1
	s_delay_alu instid0(VALU_DEP_1) | instskip(SKIP_3) | instid1(VALU_DEP_2)
	v_lshlrev_b64 v[0:1], 2, v[1:2]
	v_lshlrev_b32_e32 v2, 4, v9
	s_waitcnt lgkmcnt(0)
	s_cmp_eq_u64 s[2:3], 0
	v_add_co_u32 v0, vcc_lo, s4, v0
	s_delay_alu instid0(VALU_DEP_3) | instskip(NEXT) | instid1(VALU_DEP_2)
	v_add_co_ci_u32_e32 v1, vcc_lo, s5, v1, vcc_lo
	v_add_co_u32 v0, vcc_lo, v0, v2
	s_delay_alu instid0(VALU_DEP_2) | instskip(SKIP_3) | instid1(VALU_DEP_1)
	v_add_co_ci_u32_e32 v1, vcc_lo, 0, v1, vcc_lo
	global_load_b128 v[0:3], v[0:1], off
	s_waitcnt vmcnt(0)
	v_dual_max_f32 v10, v0, v0 :: v_dual_add_nc_u32 v5, 2, v5
	v_cmp_lt_i32_e32 vcc_lo, v6, v5
	v_dual_cndmask_b32 v4, v4, v6 :: v_dual_max_f32 v7, v1, v1
	s_delay_alu instid0(VALU_DEP_1) | instskip(NEXT) | instid1(VALU_DEP_1)
	v_dual_max_f32 v5, v10, v7 :: v_dual_lshlrev_b32 v10, 2, v4
	v_max3_f32 v4, v5, v2, v3
	ds_bpermute_b32 v5, v10, v4
	s_waitcnt lgkmcnt(0)
	v_max_f32_e32 v5, v5, v5
	s_delay_alu instid0(VALU_DEP_1) | instskip(NEXT) | instid1(VALU_DEP_1)
	v_max_f32_e32 v4, v4, v5
	v_sub_f32_e32 v0, v0, v4
	v_sub_f32_e32 v1, v1, v4
	;; [unrolled: 1-line block ×4, first 2 shown]
	s_delay_alu instid0(VALU_DEP_4) | instskip(SKIP_1) | instid1(VALU_DEP_2)
	v_mul_f32_e32 v4, 0x3fb8aa3b, v0
	v_cmp_ngt_f32_e32 vcc_lo, 0xc2ce8ed0, v0
	v_fma_f32 v11, 0x3fb8aa3b, v0, -v4
	v_rndne_f32_e32 v12, v4
	s_delay_alu instid0(VALU_DEP_2) | instskip(NEXT) | instid1(VALU_DEP_2)
	v_fmac_f32_e32 v11, 0x32a5705f, v0
	v_sub_f32_e32 v4, v4, v12
	s_delay_alu instid0(VALU_DEP_1) | instskip(SKIP_2) | instid1(VALU_DEP_3)
	v_dual_add_f32 v4, v4, v11 :: v_dual_mul_f32 v5, 0x3fb8aa3b, v1
	v_mul_f32_e32 v6, 0x3fb8aa3b, v2
	v_cvt_i32_f32_e32 v11, v12
	v_exp_f32_e32 v4, v4
	s_delay_alu instid0(VALU_DEP_3) | instskip(SKIP_3) | instid1(VALU_DEP_4)
	v_fma_f32 v13, 0x3fb8aa3b, v1, -v5
	v_rndne_f32_e32 v14, v5
	v_fma_f32 v15, 0x3fb8aa3b, v2, -v6
	v_rndne_f32_e32 v16, v6
	v_fmac_f32_e32 v13, 0x32a5705f, v1
	s_delay_alu instid0(VALU_DEP_4) | instskip(SKIP_1) | instid1(VALU_DEP_4)
	v_sub_f32_e32 v5, v5, v14
	v_cvt_i32_f32_e32 v12, v14
	v_sub_f32_e32 v6, v6, v16
	s_delay_alu instid0(TRANS32_DEP_1) | instskip(SKIP_3) | instid1(VALU_DEP_4)
	v_ldexp_f32 v4, v4, v11
	v_fmac_f32_e32 v15, 0x32a5705f, v2
	v_add_f32_e32 v5, v5, v13
	v_cvt_i32_f32_e32 v13, v16
	v_cndmask_b32_e32 v4, 0, v4, vcc_lo
	s_delay_alu instid0(VALU_DEP_4) | instskip(NEXT) | instid1(VALU_DEP_4)
	v_add_f32_e32 v6, v6, v15
	v_exp_f32_e32 v5, v5
	v_cmp_ngt_f32_e32 vcc_lo, 0xc2ce8ed0, v1
	v_mul_f32_e32 v7, 0x3fb8aa3b, v3
	s_delay_alu instid0(VALU_DEP_3) | instskip(NEXT) | instid1(VALU_DEP_1)
	v_exp_f32_e32 v6, v6
	v_rndne_f32_e32 v18, v7
	v_fma_f32 v17, 0x3fb8aa3b, v3, -v7
	s_waitcnt_depctr 0xfff
	v_ldexp_f32 v5, v5, v12
	v_cvt_i32_f32_e32 v14, v18
	v_ldexp_f32 v6, v6, v13
	s_delay_alu instid0(VALU_DEP_3) | instskip(SKIP_1) | instid1(VALU_DEP_3)
	v_cndmask_b32_e32 v5, 0, v5, vcc_lo
	v_cmp_ngt_f32_e32 vcc_lo, 0xc2ce8ed0, v2
	v_cndmask_b32_e32 v6, 0, v6, vcc_lo
	v_cmp_nlt_f32_e32 vcc_lo, 0x42b17218, v0
	v_dual_sub_f32 v7, v7, v18 :: v_dual_cndmask_b32 v0, 0x7f800000, v4
	v_cmp_nlt_f32_e32 vcc_lo, 0x42b17218, v1
	v_cndmask_b32_e32 v1, 0x7f800000, v5, vcc_lo
	v_cmp_ngt_f32_e32 vcc_lo, 0xc2ce8ed0, v3
	s_delay_alu instid0(VALU_DEP_2) | instskip(SKIP_1) | instid1(VALU_DEP_1)
	v_add_f32_e32 v5, v0, v1
	v_fmac_f32_e32 v17, 0x32a5705f, v3
	v_add_f32_e32 v7, v7, v17
	s_delay_alu instid0(VALU_DEP_1) | instskip(SKIP_2) | instid1(VALU_DEP_1)
	v_exp_f32_e32 v7, v7
	s_waitcnt_depctr 0xfff
	v_ldexp_f32 v7, v7, v14
	v_cndmask_b32_e32 v4, 0, v7, vcc_lo
	v_cmp_nlt_f32_e32 vcc_lo, 0x42b17218, v2
	v_cndmask_b32_e32 v2, 0x7f800000, v6, vcc_lo
	v_cmp_nlt_f32_e32 vcc_lo, 0x42b17218, v3
	s_delay_alu instid0(VALU_DEP_2) | instskip(NEXT) | instid1(VALU_DEP_1)
	v_dual_cndmask_b32 v3, 0x7f800000, v4 :: v_dual_add_f32 v4, v5, v2
	v_add_f32_e32 v4, v4, v3
	ds_bpermute_b32 v5, v10, v4
	s_waitcnt lgkmcnt(0)
	v_add_f32_e32 v4, v4, v5
	s_delay_alu instid0(VALU_DEP_1) | instskip(SKIP_1) | instid1(VALU_DEP_2)
	v_div_scale_f32 v5, null, v4, v4, 1.0
	v_div_scale_f32 v11, vcc_lo, 1.0, v4, 1.0
	v_rcp_f32_e32 v6, v5
	s_waitcnt_depctr 0xfff
	v_fma_f32 v7, -v5, v6, 1.0
	s_delay_alu instid0(VALU_DEP_1) | instskip(NEXT) | instid1(VALU_DEP_1)
	v_fmac_f32_e32 v6, v7, v6
	v_mul_f32_e32 v7, v11, v6
	s_delay_alu instid0(VALU_DEP_1) | instskip(NEXT) | instid1(VALU_DEP_1)
	v_fma_f32 v12, -v5, v7, v11
	v_fmac_f32_e32 v7, v12, v6
	s_delay_alu instid0(VALU_DEP_1) | instskip(NEXT) | instid1(VALU_DEP_1)
	v_fma_f32 v5, -v5, v7, v11
	v_div_fmas_f32 v5, v5, v6, v7
	s_delay_alu instid0(VALU_DEP_1) | instskip(NEXT) | instid1(VALU_DEP_1)
	v_div_fixup_f32 v4, v5, v4, 1.0
	v_dual_mul_f32 v2, v4, v2 :: v_dual_lshlrev_b32 v11, 2, v9
	v_mul_f32_e32 v0, v4, v0
	v_mul_f32_e32 v1, v4, v1
	;; [unrolled: 1-line block ×3, first 2 shown]
	s_delay_alu instid0(VALU_DEP_3) | instskip(SKIP_1) | instid1(VALU_DEP_4)
	v_cmp_class_f32_e64 vcc_lo, v0, 0x1f8
	v_cndmask_b32_e32 v0, 0, v0, vcc_lo
	v_cmp_class_f32_e64 vcc_lo, v1, 0x1f8
	v_cndmask_b32_e32 v1, 0, v1, vcc_lo
	;; [unrolled: 2-line block ×4, first 2 shown]
	s_cbranch_scc1 .LBB51_19
; %bb.4:
	v_lshlrev_b32_e32 v4, 2, v11
	global_load_b128 v[4:7], v4, s[2:3]
	s_waitcnt vmcnt(0)
	v_dual_add_f32 v5, v5, v1 :: v_dual_add_f32 v4, v4, v0
	v_dual_add_f32 v7, v7, v3 :: v_dual_add_f32 v6, v6, v2
	s_cbranch_execnz .LBB51_6
.LBB51_5:
	v_dual_mov_b32 v7, v3 :: v_dual_mov_b32 v6, v2
	v_dual_mov_b32 v5, v1 :: v_dual_mov_b32 v4, v0
.LBB51_6:
	s_load_b128 s[4:7], s[0:1], 0x30
	v_cmp_eq_u32_e64 s2, 0, v9
	s_waitcnt lgkmcnt(0)
	s_bitcmp1_b32 s7, 0
	s_mov_b32 s7, 0
	s_cselect_b32 vcc_lo, -1, 0
	s_cmp_gt_i32 s4, 0
	s_cselect_b32 s3, -1, 0
	s_cmp_lt_i32 s4, 1
	s_cbranch_scc1 .LBB51_20
; %bb.7:
	s_load_b128 s[8:11], s[0:1], 0x20
	v_mul_lo_u32 v13, v8, s4
	v_mov_b32_e32 v12, 0
	v_mov_b32_e32 v14, v8
	s_branch .LBB51_10
.LBB51_8:                               ;   in Loop: Header=BB51_10 Depth=1
	s_or_b32 exec_lo, exec_lo, s1
.LBB51_9:                               ;   in Loop: Header=BB51_10 Depth=1
	v_add_nc_u32_e32 v14, s14, v14
	s_cmp_eq_u32 s4, s7
	s_cbranch_scc1 .LBB51_21
.LBB51_10:                              ; =>This Inner Loop Header: Depth=1
	v_cmp_gt_f32_e64 s0, v5, v4
	s_mov_b32 s17, exec_lo
	s_delay_alu instid0(VALU_DEP_1) | instskip(SKIP_2) | instid1(VALU_DEP_3)
	v_cndmask_b32_e64 v15, v4, v5, s0
	v_cndmask_b32_e64 v16, 0, 1, s0
	;; [unrolled: 1-line block ×3, first 2 shown]
	v_cmp_gt_f32_e64 s1, v6, v15
	s_delay_alu instid0(VALU_DEP_1) | instskip(NEXT) | instid1(VALU_DEP_4)
	v_cndmask_b32_e64 v15, v15, v6, s1
	v_cndmask_b32_e64 v16, v16, 2, s1
	s_delay_alu instid0(VALU_DEP_4) | instskip(NEXT) | instid1(VALU_DEP_3)
	v_cndmask_b32_e64 v17, v17, v2, s1
	v_cmp_gt_f32_e64 s0, v7, v15
	s_delay_alu instid0(VALU_DEP_1) | instskip(NEXT) | instid1(VALU_DEP_4)
	v_cndmask_b32_e64 v19, v15, v7, s0
	v_cndmask_b32_e64 v15, v16, 3, s0
	s_delay_alu instid0(VALU_DEP_4)
	v_cndmask_b32_e64 v16, v17, v3, s0
	ds_bpermute_b32 v20, v10, v19
	v_or_b32_e32 v15, v11, v15
	ds_bpermute_b32 v18, v10, v16
	ds_bpermute_b32 v17, v10, v15
	s_waitcnt lgkmcnt(0)
	v_cmp_lt_f32_e64 s16, v19, v20
	v_cmpx_nlt_f32_e32 v19, v20
	s_cbranch_execnz .LBB51_14
; %bb.11:                               ;   in Loop: Header=BB51_10 Depth=1
	s_or_b32 exec_lo, exec_lo, s17
	s_delay_alu instid0(VALU_DEP_2)
	s_and_saveexec_b32 s0, s16
	s_cbranch_execnz .LBB51_15
.LBB51_12:                              ;   in Loop: Header=BB51_10 Depth=1
	s_or_b32 exec_lo, exec_lo, s0
	s_and_saveexec_b32 s16, s2
	s_cbranch_execnz .LBB51_16
.LBB51_13:                              ;   in Loop: Header=BB51_10 Depth=1
	s_or_b32 exec_lo, exec_lo, s16
	s_add_i32 s7, s7, 1
	s_delay_alu instid0(SALU_CYCLE_1)
	s_cmp_ge_i32 s7, s4
	s_cbranch_scc1 .LBB51_9
	s_branch .LBB51_17
.LBB51_14:                              ;   in Loop: Header=BB51_10 Depth=1
	v_cmp_eq_f32_e64 s0, v19, v20
	v_cmp_lt_i32_e64 s1, v17, v15
	s_delay_alu instid0(VALU_DEP_1) | instskip(SKIP_2) | instid1(SALU_CYCLE_1)
	s_and_b32 s0, s0, s1
	s_and_not1_b32 s1, s16, exec_lo
	s_and_b32 s0, s0, exec_lo
	s_or_b32 s16, s1, s0
	s_or_b32 exec_lo, exec_lo, s17
	s_and_saveexec_b32 s0, s16
	s_cbranch_execz .LBB51_12
.LBB51_15:                              ;   in Loop: Header=BB51_10 Depth=1
	v_dual_mov_b32 v16, v18 :: v_dual_mov_b32 v15, v17
	s_or_b32 exec_lo, exec_lo, s0
	s_and_saveexec_b32 s16, s2
	s_cbranch_execz .LBB51_13
.LBB51_16:                              ;   in Loop: Header=BB51_10 Depth=1
	v_add_nc_u32_e32 v17, s7, v13
	v_subrev_nc_u32_e32 v21, s5, v15
	v_cmp_le_i32_e64 s0, s5, v15
	v_cmp_gt_i32_e64 s1, s6, v15
	v_add_f32_e32 v25, v12, v16
	v_ashrrev_i32_e32 v18, 31, v17
	v_ashrrev_i32_e32 v22, 31, v21
	s_delay_alu instid0(VALU_DEP_4) | instskip(NEXT) | instid1(VALU_DEP_3)
	s_and_b32 s0, s0, s1
	v_cndmask_b32_e32 v12, v12, v25, vcc_lo
	s_delay_alu instid0(VALU_DEP_3) | instskip(SKIP_2) | instid1(SALU_CYCLE_1)
	v_lshlrev_b64 v[19:20], 2, v[17:18]
	v_lshlrev_b64 v[17:18], 3, v[17:18]
	s_and_b32 s0, s15, s0
	v_cndmask_b32_e64 v22, 0, v22, s0
	v_cndmask_b32_e64 v21, 8, v21, s0
	s_delay_alu instid0(VALU_DEP_4) | instskip(NEXT) | instid1(VALU_DEP_1)
	v_add_co_u32 v23, s0, s12, v19
	v_add_co_ci_u32_e64 v24, s0, s13, v20, s0
	v_add_co_u32 v17, s0, s8, v17
	s_delay_alu instid0(VALU_DEP_1) | instskip(SKIP_1) | instid1(VALU_DEP_1)
	v_add_co_ci_u32_e64 v18, s0, s9, v18, s0
	v_add_co_u32 v19, s0, s10, v19
	v_add_co_ci_u32_e64 v20, s0, s11, v20, s0
	global_store_b32 v[23:24], v16, off
	global_store_b64 v[17:18], v[21:22], off
	global_store_b32 v[19:20], v14, off
	s_or_b32 exec_lo, exec_lo, s16
	s_add_i32 s7, s7, 1
	s_delay_alu instid0(SALU_CYCLE_1)
	s_cmp_ge_i32 s7, s4
	s_cbranch_scc1 .LBB51_9
.LBB51_17:                              ;   in Loop: Header=BB51_10 Depth=1
	v_ashrrev_i32_e32 v17, 31, v15
	s_mov_b32 s1, exec_lo
	s_delay_alu instid0(VALU_DEP_1) | instskip(NEXT) | instid1(VALU_DEP_1)
	v_lshrrev_b32_e32 v16, 30, v17
	v_add_nc_u32_e32 v18, v15, v16
	s_delay_alu instid0(VALU_DEP_1) | instskip(SKIP_1) | instid1(VALU_DEP_1)
	v_ashrrev_i32_e32 v16, 2, v18
	v_lshrrev_b32_e32 v18, 31, v18
	v_add_nc_u32_e32 v18, v16, v18
	s_delay_alu instid0(VALU_DEP_1) | instskip(NEXT) | instid1(VALU_DEP_1)
	v_and_b32_e32 v18, -2, v18
	v_sub_nc_u32_e32 v18, v16, v18
	s_delay_alu instid0(VALU_DEP_1)
	v_cmpx_eq_u32_e64 v9, v18
	s_cbranch_execz .LBB51_8
; %bb.18:                               ;   in Loop: Header=BB51_10 Depth=1
	v_lshrrev_b32_e32 v17, 29, v17
	v_lshlrev_b32_e32 v16, 2, v16
	s_delay_alu instid0(VALU_DEP_2) | instskip(NEXT) | instid1(VALU_DEP_2)
	v_add_nc_u32_e32 v17, v15, v17
	v_sub_nc_u32_e32 v15, v15, v16
	s_delay_alu instid0(VALU_DEP_2) | instskip(NEXT) | instid1(VALU_DEP_1)
	v_ashrrev_i32_e32 v16, 3, v17
	v_lshl_add_u32 v15, v16, 2, v15
	s_delay_alu instid0(VALU_DEP_1) | instskip(NEXT) | instid1(VALU_DEP_1)
	v_cmp_ne_u32_e64 s0, 3, v15
	v_cndmask_b32_e64 v7, 0xc61c4000, v7, s0
	v_cmp_ne_u32_e64 s0, 2, v15
	s_delay_alu instid0(VALU_DEP_1) | instskip(SKIP_1) | instid1(VALU_DEP_1)
	v_cndmask_b32_e64 v6, 0xc61c4000, v6, s0
	v_cmp_ne_u32_e64 s0, 1, v15
	v_cndmask_b32_e64 v5, 0xc61c4000, v5, s0
	v_cmp_ne_u32_e64 s0, 0, v15
	s_delay_alu instid0(VALU_DEP_1)
	v_cndmask_b32_e64 v4, 0xc61c4000, v4, s0
	s_branch .LBB51_8
.LBB51_19:
                                        ; implicit-def: $vgpr4_vgpr5_vgpr6_vgpr7
	s_and_not1_b32 vcc_lo, exec_lo, s8
	s_cbranch_vccz .LBB51_5
	s_branch .LBB51_6
.LBB51_20:
	v_mov_b32_e32 v12, 0
.LBB51_21:
	v_cmp_eq_u32_e64 s0, 0, v9
	s_delay_alu instid0(VALU_DEP_1) | instskip(NEXT) | instid1(SALU_CYCLE_1)
	s_and_b32 s0, s0, vcc_lo
	s_and_b32 exec_lo, exec_lo, s0
	s_cbranch_execz .LBB51_25
; %bb.22:
	s_and_not1_b32 vcc_lo, exec_lo, s3
	s_cbranch_vccnz .LBB51_25
; %bb.23:
	v_mul_lo_u32 v0, v8, s4
	v_cmp_lt_f32_e32 vcc_lo, 0, v12
	v_cndmask_b32_e32 v2, 1.0, v12, vcc_lo
	s_delay_alu instid0(VALU_DEP_3) | instskip(NEXT) | instid1(VALU_DEP_1)
	v_ashrrev_i32_e32 v1, 31, v0
	v_lshlrev_b64 v[0:1], 2, v[0:1]
	s_delay_alu instid0(VALU_DEP_1) | instskip(NEXT) | instid1(VALU_DEP_2)
	v_add_co_u32 v0, vcc_lo, s12, v0
	v_add_co_ci_u32_e32 v1, vcc_lo, s13, v1, vcc_lo
	.p2align	6
.LBB51_24:                              ; =>This Inner Loop Header: Depth=1
	global_load_b32 v3, v[0:1], off
	s_add_i32 s4, s4, -1
	s_delay_alu instid0(SALU_CYCLE_1) | instskip(SKIP_3) | instid1(VALU_DEP_2)
	s_cmp_lg_u32 s4, 0
	s_waitcnt vmcnt(0)
	v_div_scale_f32 v4, null, v2, v2, v3
	v_div_scale_f32 v7, vcc_lo, v3, v2, v3
	v_rcp_f32_e32 v5, v4
	s_waitcnt_depctr 0xfff
	v_fma_f32 v6, -v4, v5, 1.0
	s_delay_alu instid0(VALU_DEP_1) | instskip(NEXT) | instid1(VALU_DEP_1)
	v_fmac_f32_e32 v5, v6, v5
	v_mul_f32_e32 v6, v7, v5
	s_delay_alu instid0(VALU_DEP_1) | instskip(NEXT) | instid1(VALU_DEP_1)
	v_fma_f32 v8, -v4, v6, v7
	v_fmac_f32_e32 v6, v8, v5
	s_delay_alu instid0(VALU_DEP_1) | instskip(NEXT) | instid1(VALU_DEP_1)
	v_fma_f32 v4, -v4, v6, v7
	v_div_fmas_f32 v4, v4, v5, v6
	s_delay_alu instid0(VALU_DEP_1)
	v_div_fixup_f32 v3, v4, v2, v3
	global_store_b32 v[0:1], v3, off
	v_add_co_u32 v0, vcc_lo, v0, 4
	v_add_co_ci_u32_e32 v1, vcc_lo, 0, v1, vcc_lo
	s_cbranch_scc1 .LBB51_24
.LBB51_25:
	s_nop 0
	s_sendmsg sendmsg(MSG_DEALLOC_VGPRS)
	s_endpgm
	.section	.rodata,"a",@progbits
	.p2align	6, 0x0
	.amdhsa_kernel _ZN4vllm3moe10topkGatingILi4ELi8ELi4ELi16ELi64ElfLNS0_11ScoringFuncE0EEEvPKT5_PKbPfiPT4_PiiiibPKf
		.amdhsa_group_segment_fixed_size 0
		.amdhsa_private_segment_fixed_size 0
		.amdhsa_kernarg_size 72
		.amdhsa_user_sgpr_count 15
		.amdhsa_user_sgpr_dispatch_ptr 0
		.amdhsa_user_sgpr_queue_ptr 0
		.amdhsa_user_sgpr_kernarg_segment_ptr 1
		.amdhsa_user_sgpr_dispatch_id 0
		.amdhsa_user_sgpr_private_segment_size 0
		.amdhsa_wavefront_size32 1
		.amdhsa_uses_dynamic_stack 0
		.amdhsa_enable_private_segment 0
		.amdhsa_system_sgpr_workgroup_id_x 1
		.amdhsa_system_sgpr_workgroup_id_y 0
		.amdhsa_system_sgpr_workgroup_id_z 0
		.amdhsa_system_sgpr_workgroup_info 0
		.amdhsa_system_vgpr_workitem_id 1
		.amdhsa_next_free_vgpr 26
		.amdhsa_next_free_sgpr 18
		.amdhsa_reserve_vcc 1
		.amdhsa_float_round_mode_32 0
		.amdhsa_float_round_mode_16_64 0
		.amdhsa_float_denorm_mode_32 3
		.amdhsa_float_denorm_mode_16_64 3
		.amdhsa_dx10_clamp 1
		.amdhsa_ieee_mode 1
		.amdhsa_fp16_overflow 0
		.amdhsa_workgroup_processor_mode 1
		.amdhsa_memory_ordered 1
		.amdhsa_forward_progress 0
		.amdhsa_shared_vgpr_count 0
		.amdhsa_exception_fp_ieee_invalid_op 0
		.amdhsa_exception_fp_denorm_src 0
		.amdhsa_exception_fp_ieee_div_zero 0
		.amdhsa_exception_fp_ieee_overflow 0
		.amdhsa_exception_fp_ieee_underflow 0
		.amdhsa_exception_fp_ieee_inexact 0
		.amdhsa_exception_int_div_zero 0
	.end_amdhsa_kernel
	.section	.text._ZN4vllm3moe10topkGatingILi4ELi8ELi4ELi16ELi64ElfLNS0_11ScoringFuncE0EEEvPKT5_PKbPfiPT4_PiiiibPKf,"axG",@progbits,_ZN4vllm3moe10topkGatingILi4ELi8ELi4ELi16ELi64ElfLNS0_11ScoringFuncE0EEEvPKT5_PKbPfiPT4_PiiiibPKf,comdat
.Lfunc_end51:
	.size	_ZN4vllm3moe10topkGatingILi4ELi8ELi4ELi16ELi64ElfLNS0_11ScoringFuncE0EEEvPKT5_PKbPfiPT4_PiiiibPKf, .Lfunc_end51-_ZN4vllm3moe10topkGatingILi4ELi8ELi4ELi16ELi64ElfLNS0_11ScoringFuncE0EEEvPKT5_PKbPfiPT4_PiiiibPKf
                                        ; -- End function
	.section	.AMDGPU.csdata,"",@progbits
; Kernel info:
; codeLenInByte = 2024
; NumSgprs: 20
; NumVgprs: 26
; ScratchSize: 0
; MemoryBound: 0
; FloatMode: 240
; IeeeMode: 1
; LDSByteSize: 0 bytes/workgroup (compile time only)
; SGPRBlocks: 2
; VGPRBlocks: 3
; NumSGPRsForWavesPerEU: 20
; NumVGPRsForWavesPerEU: 26
; Occupancy: 16
; WaveLimiterHint : 0
; COMPUTE_PGM_RSRC2:SCRATCH_EN: 0
; COMPUTE_PGM_RSRC2:USER_SGPR: 15
; COMPUTE_PGM_RSRC2:TRAP_HANDLER: 0
; COMPUTE_PGM_RSRC2:TGID_X_EN: 1
; COMPUTE_PGM_RSRC2:TGID_Y_EN: 0
; COMPUTE_PGM_RSRC2:TGID_Z_EN: 0
; COMPUTE_PGM_RSRC2:TIDIG_COMP_CNT: 1
	.section	.text._ZN4vllm3moe10topkGatingILi4ELi8ELi4ELi16ELi32ElfLNS0_11ScoringFuncE0EEEvPKT5_PKbPfiPT4_PiiiibPKf,"axG",@progbits,_ZN4vllm3moe10topkGatingILi4ELi8ELi4ELi16ELi32ElfLNS0_11ScoringFuncE0EEEvPKT5_PKbPfiPT4_PiiiibPKf,comdat
	.protected	_ZN4vllm3moe10topkGatingILi4ELi8ELi4ELi16ELi32ElfLNS0_11ScoringFuncE0EEEvPKT5_PKbPfiPT4_PiiiibPKf ; -- Begin function _ZN4vllm3moe10topkGatingILi4ELi8ELi4ELi16ELi32ElfLNS0_11ScoringFuncE0EEEvPKT5_PKbPfiPT4_PiiiibPKf
	.globl	_ZN4vllm3moe10topkGatingILi4ELi8ELi4ELi16ELi32ElfLNS0_11ScoringFuncE0EEEvPKT5_PKbPfiPT4_PiiiibPKf
	.p2align	8
	.type	_ZN4vllm3moe10topkGatingILi4ELi8ELi4ELi16ELi32ElfLNS0_11ScoringFuncE0EEEvPKT5_PKbPfiPT4_PiiiibPKf,@function
_ZN4vllm3moe10topkGatingILi4ELi8ELi4ELi16ELi32ElfLNS0_11ScoringFuncE0EEEvPKT5_PKbPfiPT4_PiiiibPKf: ; @_ZN4vllm3moe10topkGatingILi4ELi8ELi4ELi16ELi32ElfLNS0_11ScoringFuncE0EEEvPKT5_PKbPfiPT4_PiiiibPKf
; %bb.0:
	s_load_b32 s14, s[0:1], 0x18
	v_bfe_u32 v1, v0, 10, 10
	v_and_b32_e32 v0, 0x3ff, v0
	s_lshl_b32 s2, s15, 6
	s_delay_alu instid0(VALU_DEP_2) | instskip(NEXT) | instid1(VALU_DEP_2)
	v_lshlrev_b32_e32 v1, 4, v1
	v_lshrrev_b32_e32 v2, 1, v0
	s_delay_alu instid0(VALU_DEP_1) | instskip(SKIP_2) | instid1(VALU_DEP_1)
	v_add3_u32 v8, s2, v1, v2
	s_mov_b32 s2, exec_lo
	s_waitcnt lgkmcnt(0)
	v_cmpx_gt_i32_e64 s14, v8
	s_cbranch_execz .LBB52_25
; %bb.1:
	s_clause 0x1
	s_load_b128 s[4:7], s[0:1], 0x0
	s_load_b64 s[12:13], s[0:1], 0x10
	s_mov_b32 s8, -1
	s_mov_b32 s15, -1
	s_waitcnt lgkmcnt(0)
	s_cmp_eq_u64 s[6:7], 0
	s_cbranch_scc1 .LBB52_3
; %bb.2:
	v_ashrrev_i32_e32 v2, 31, v8
	v_add_co_u32 v1, vcc_lo, s6, v8
	s_delay_alu instid0(VALU_DEP_2) | instskip(SKIP_3) | instid1(VALU_DEP_1)
	v_add_co_ci_u32_e32 v2, vcc_lo, s7, v2, vcc_lo
	global_load_u8 v1, v[1:2], off
	s_waitcnt vmcnt(0)
	v_and_b32_e32 v1, 1, v1
	v_cmp_eq_u32_e32 vcc_lo, 1, v1
	s_xor_b32 s2, vcc_lo, -1
	s_delay_alu instid0(SALU_CYCLE_1)
	s_or_not1_b32 s15, s2, exec_lo
.LBB52_3:
	v_mbcnt_lo_u32_b32 v4, -1, 0
	v_and_b32_e32 v9, 1, v0
	s_load_b64 s[2:3], s[0:1], 0x40
	s_delay_alu instid0(VALU_DEP_2) | instskip(SKIP_2) | instid1(VALU_DEP_2)
	v_xor_b32_e32 v6, 1, v4
	v_lshlrev_b32_e32 v1, 3, v8
	v_and_b32_e32 v5, 30, v4
	v_ashrrev_i32_e32 v2, 31, v1
	s_delay_alu instid0(VALU_DEP_1) | instskip(SKIP_3) | instid1(VALU_DEP_2)
	v_lshlrev_b64 v[0:1], 2, v[1:2]
	v_lshlrev_b32_e32 v2, 4, v9
	s_waitcnt lgkmcnt(0)
	s_cmp_eq_u64 s[2:3], 0
	v_add_co_u32 v0, vcc_lo, s4, v0
	s_delay_alu instid0(VALU_DEP_3) | instskip(NEXT) | instid1(VALU_DEP_2)
	v_add_co_ci_u32_e32 v1, vcc_lo, s5, v1, vcc_lo
	v_add_co_u32 v0, vcc_lo, v0, v2
	s_delay_alu instid0(VALU_DEP_2) | instskip(SKIP_3) | instid1(VALU_DEP_1)
	v_add_co_ci_u32_e32 v1, vcc_lo, 0, v1, vcc_lo
	global_load_b128 v[0:3], v[0:1], off
	s_waitcnt vmcnt(0)
	v_dual_max_f32 v10, v0, v0 :: v_dual_add_nc_u32 v5, 2, v5
	v_cmp_lt_i32_e32 vcc_lo, v6, v5
	v_dual_cndmask_b32 v4, v4, v6 :: v_dual_max_f32 v7, v1, v1
	s_delay_alu instid0(VALU_DEP_1) | instskip(NEXT) | instid1(VALU_DEP_1)
	v_dual_max_f32 v5, v10, v7 :: v_dual_lshlrev_b32 v10, 2, v4
	v_max3_f32 v4, v5, v2, v3
	ds_bpermute_b32 v5, v10, v4
	s_waitcnt lgkmcnt(0)
	v_max_f32_e32 v5, v5, v5
	s_delay_alu instid0(VALU_DEP_1) | instskip(NEXT) | instid1(VALU_DEP_1)
	v_max_f32_e32 v4, v4, v5
	v_sub_f32_e32 v0, v0, v4
	v_sub_f32_e32 v1, v1, v4
	;; [unrolled: 1-line block ×4, first 2 shown]
	s_delay_alu instid0(VALU_DEP_4) | instskip(SKIP_1) | instid1(VALU_DEP_2)
	v_mul_f32_e32 v4, 0x3fb8aa3b, v0
	v_cmp_ngt_f32_e32 vcc_lo, 0xc2ce8ed0, v0
	v_fma_f32 v11, 0x3fb8aa3b, v0, -v4
	v_rndne_f32_e32 v12, v4
	s_delay_alu instid0(VALU_DEP_2) | instskip(NEXT) | instid1(VALU_DEP_2)
	v_fmac_f32_e32 v11, 0x32a5705f, v0
	v_sub_f32_e32 v4, v4, v12
	s_delay_alu instid0(VALU_DEP_1) | instskip(SKIP_2) | instid1(VALU_DEP_3)
	v_dual_add_f32 v4, v4, v11 :: v_dual_mul_f32 v5, 0x3fb8aa3b, v1
	v_mul_f32_e32 v6, 0x3fb8aa3b, v2
	v_cvt_i32_f32_e32 v11, v12
	v_exp_f32_e32 v4, v4
	s_delay_alu instid0(VALU_DEP_3) | instskip(SKIP_3) | instid1(VALU_DEP_4)
	v_fma_f32 v13, 0x3fb8aa3b, v1, -v5
	v_rndne_f32_e32 v14, v5
	v_fma_f32 v15, 0x3fb8aa3b, v2, -v6
	v_rndne_f32_e32 v16, v6
	v_fmac_f32_e32 v13, 0x32a5705f, v1
	s_delay_alu instid0(VALU_DEP_4) | instskip(SKIP_1) | instid1(VALU_DEP_4)
	v_sub_f32_e32 v5, v5, v14
	v_cvt_i32_f32_e32 v12, v14
	v_sub_f32_e32 v6, v6, v16
	s_delay_alu instid0(TRANS32_DEP_1) | instskip(SKIP_3) | instid1(VALU_DEP_4)
	v_ldexp_f32 v4, v4, v11
	v_fmac_f32_e32 v15, 0x32a5705f, v2
	v_add_f32_e32 v5, v5, v13
	v_cvt_i32_f32_e32 v13, v16
	v_cndmask_b32_e32 v4, 0, v4, vcc_lo
	s_delay_alu instid0(VALU_DEP_4) | instskip(NEXT) | instid1(VALU_DEP_4)
	v_add_f32_e32 v6, v6, v15
	v_exp_f32_e32 v5, v5
	v_cmp_ngt_f32_e32 vcc_lo, 0xc2ce8ed0, v1
	v_mul_f32_e32 v7, 0x3fb8aa3b, v3
	s_delay_alu instid0(VALU_DEP_3) | instskip(NEXT) | instid1(VALU_DEP_1)
	v_exp_f32_e32 v6, v6
	v_rndne_f32_e32 v18, v7
	v_fma_f32 v17, 0x3fb8aa3b, v3, -v7
	s_waitcnt_depctr 0xfff
	v_ldexp_f32 v5, v5, v12
	v_cvt_i32_f32_e32 v14, v18
	v_ldexp_f32 v6, v6, v13
	s_delay_alu instid0(VALU_DEP_3) | instskip(SKIP_1) | instid1(VALU_DEP_3)
	v_cndmask_b32_e32 v5, 0, v5, vcc_lo
	v_cmp_ngt_f32_e32 vcc_lo, 0xc2ce8ed0, v2
	v_cndmask_b32_e32 v6, 0, v6, vcc_lo
	v_cmp_nlt_f32_e32 vcc_lo, 0x42b17218, v0
	v_dual_sub_f32 v7, v7, v18 :: v_dual_cndmask_b32 v0, 0x7f800000, v4
	v_cmp_nlt_f32_e32 vcc_lo, 0x42b17218, v1
	v_cndmask_b32_e32 v1, 0x7f800000, v5, vcc_lo
	v_cmp_ngt_f32_e32 vcc_lo, 0xc2ce8ed0, v3
	s_delay_alu instid0(VALU_DEP_2) | instskip(SKIP_1) | instid1(VALU_DEP_1)
	v_add_f32_e32 v5, v0, v1
	v_fmac_f32_e32 v17, 0x32a5705f, v3
	v_add_f32_e32 v7, v7, v17
	s_delay_alu instid0(VALU_DEP_1) | instskip(SKIP_2) | instid1(VALU_DEP_1)
	v_exp_f32_e32 v7, v7
	s_waitcnt_depctr 0xfff
	v_ldexp_f32 v7, v7, v14
	v_cndmask_b32_e32 v4, 0, v7, vcc_lo
	v_cmp_nlt_f32_e32 vcc_lo, 0x42b17218, v2
	v_cndmask_b32_e32 v2, 0x7f800000, v6, vcc_lo
	v_cmp_nlt_f32_e32 vcc_lo, 0x42b17218, v3
	s_delay_alu instid0(VALU_DEP_2) | instskip(NEXT) | instid1(VALU_DEP_1)
	v_dual_cndmask_b32 v3, 0x7f800000, v4 :: v_dual_add_f32 v4, v5, v2
	v_add_f32_e32 v4, v4, v3
	ds_bpermute_b32 v5, v10, v4
	s_waitcnt lgkmcnt(0)
	v_add_f32_e32 v4, v4, v5
	s_delay_alu instid0(VALU_DEP_1) | instskip(SKIP_1) | instid1(VALU_DEP_2)
	v_div_scale_f32 v5, null, v4, v4, 1.0
	v_div_scale_f32 v11, vcc_lo, 1.0, v4, 1.0
	v_rcp_f32_e32 v6, v5
	s_waitcnt_depctr 0xfff
	v_fma_f32 v7, -v5, v6, 1.0
	s_delay_alu instid0(VALU_DEP_1) | instskip(NEXT) | instid1(VALU_DEP_1)
	v_fmac_f32_e32 v6, v7, v6
	v_mul_f32_e32 v7, v11, v6
	s_delay_alu instid0(VALU_DEP_1) | instskip(NEXT) | instid1(VALU_DEP_1)
	v_fma_f32 v12, -v5, v7, v11
	v_fmac_f32_e32 v7, v12, v6
	s_delay_alu instid0(VALU_DEP_1) | instskip(NEXT) | instid1(VALU_DEP_1)
	v_fma_f32 v5, -v5, v7, v11
	v_div_fmas_f32 v5, v5, v6, v7
	s_delay_alu instid0(VALU_DEP_1) | instskip(NEXT) | instid1(VALU_DEP_1)
	v_div_fixup_f32 v4, v5, v4, 1.0
	v_dual_mul_f32 v2, v4, v2 :: v_dual_lshlrev_b32 v11, 2, v9
	v_mul_f32_e32 v0, v4, v0
	v_mul_f32_e32 v1, v4, v1
	;; [unrolled: 1-line block ×3, first 2 shown]
	s_delay_alu instid0(VALU_DEP_3) | instskip(SKIP_1) | instid1(VALU_DEP_4)
	v_cmp_class_f32_e64 vcc_lo, v0, 0x1f8
	v_cndmask_b32_e32 v0, 0, v0, vcc_lo
	v_cmp_class_f32_e64 vcc_lo, v1, 0x1f8
	v_cndmask_b32_e32 v1, 0, v1, vcc_lo
	;; [unrolled: 2-line block ×4, first 2 shown]
	s_cbranch_scc1 .LBB52_19
; %bb.4:
	v_lshlrev_b32_e32 v4, 2, v11
	global_load_b128 v[4:7], v4, s[2:3]
	s_waitcnt vmcnt(0)
	v_dual_add_f32 v5, v5, v1 :: v_dual_add_f32 v4, v4, v0
	v_dual_add_f32 v7, v7, v3 :: v_dual_add_f32 v6, v6, v2
	s_cbranch_execnz .LBB52_6
.LBB52_5:
	v_dual_mov_b32 v7, v3 :: v_dual_mov_b32 v6, v2
	v_dual_mov_b32 v5, v1 :: v_dual_mov_b32 v4, v0
.LBB52_6:
	s_load_b128 s[4:7], s[0:1], 0x30
	v_cmp_eq_u32_e64 s2, 0, v9
	s_waitcnt lgkmcnt(0)
	s_bitcmp1_b32 s7, 0
	s_mov_b32 s7, 0
	s_cselect_b32 vcc_lo, -1, 0
	s_cmp_gt_i32 s4, 0
	s_cselect_b32 s3, -1, 0
	s_cmp_lt_i32 s4, 1
	s_cbranch_scc1 .LBB52_20
; %bb.7:
	s_load_b128 s[8:11], s[0:1], 0x20
	v_mul_lo_u32 v13, v8, s4
	v_mov_b32_e32 v12, 0
	v_mov_b32_e32 v14, v8
	s_branch .LBB52_10
.LBB52_8:                               ;   in Loop: Header=BB52_10 Depth=1
	s_or_b32 exec_lo, exec_lo, s1
.LBB52_9:                               ;   in Loop: Header=BB52_10 Depth=1
	v_add_nc_u32_e32 v14, s14, v14
	s_cmp_eq_u32 s4, s7
	s_cbranch_scc1 .LBB52_21
.LBB52_10:                              ; =>This Inner Loop Header: Depth=1
	v_cmp_gt_f32_e64 s0, v5, v4
	s_mov_b32 s17, exec_lo
	s_delay_alu instid0(VALU_DEP_1) | instskip(SKIP_2) | instid1(VALU_DEP_3)
	v_cndmask_b32_e64 v15, v4, v5, s0
	v_cndmask_b32_e64 v16, 0, 1, s0
	;; [unrolled: 1-line block ×3, first 2 shown]
	v_cmp_gt_f32_e64 s1, v6, v15
	s_delay_alu instid0(VALU_DEP_1) | instskip(NEXT) | instid1(VALU_DEP_4)
	v_cndmask_b32_e64 v15, v15, v6, s1
	v_cndmask_b32_e64 v16, v16, 2, s1
	s_delay_alu instid0(VALU_DEP_4) | instskip(NEXT) | instid1(VALU_DEP_3)
	v_cndmask_b32_e64 v17, v17, v2, s1
	v_cmp_gt_f32_e64 s0, v7, v15
	s_delay_alu instid0(VALU_DEP_1) | instskip(NEXT) | instid1(VALU_DEP_4)
	v_cndmask_b32_e64 v19, v15, v7, s0
	v_cndmask_b32_e64 v15, v16, 3, s0
	s_delay_alu instid0(VALU_DEP_4)
	v_cndmask_b32_e64 v16, v17, v3, s0
	ds_bpermute_b32 v20, v10, v19
	v_or_b32_e32 v15, v11, v15
	ds_bpermute_b32 v18, v10, v16
	ds_bpermute_b32 v17, v10, v15
	s_waitcnt lgkmcnt(0)
	v_cmp_lt_f32_e64 s16, v19, v20
	v_cmpx_nlt_f32_e32 v19, v20
	s_cbranch_execnz .LBB52_14
; %bb.11:                               ;   in Loop: Header=BB52_10 Depth=1
	s_or_b32 exec_lo, exec_lo, s17
	s_delay_alu instid0(VALU_DEP_2)
	s_and_saveexec_b32 s0, s16
	s_cbranch_execnz .LBB52_15
.LBB52_12:                              ;   in Loop: Header=BB52_10 Depth=1
	s_or_b32 exec_lo, exec_lo, s0
	s_and_saveexec_b32 s16, s2
	s_cbranch_execnz .LBB52_16
.LBB52_13:                              ;   in Loop: Header=BB52_10 Depth=1
	s_or_b32 exec_lo, exec_lo, s16
	s_add_i32 s7, s7, 1
	s_delay_alu instid0(SALU_CYCLE_1)
	s_cmp_ge_i32 s7, s4
	s_cbranch_scc1 .LBB52_9
	s_branch .LBB52_17
.LBB52_14:                              ;   in Loop: Header=BB52_10 Depth=1
	v_cmp_eq_f32_e64 s0, v19, v20
	v_cmp_lt_i32_e64 s1, v17, v15
	s_delay_alu instid0(VALU_DEP_1) | instskip(SKIP_2) | instid1(SALU_CYCLE_1)
	s_and_b32 s0, s0, s1
	s_and_not1_b32 s1, s16, exec_lo
	s_and_b32 s0, s0, exec_lo
	s_or_b32 s16, s1, s0
	s_or_b32 exec_lo, exec_lo, s17
	s_and_saveexec_b32 s0, s16
	s_cbranch_execz .LBB52_12
.LBB52_15:                              ;   in Loop: Header=BB52_10 Depth=1
	v_dual_mov_b32 v16, v18 :: v_dual_mov_b32 v15, v17
	s_or_b32 exec_lo, exec_lo, s0
	s_and_saveexec_b32 s16, s2
	s_cbranch_execz .LBB52_13
.LBB52_16:                              ;   in Loop: Header=BB52_10 Depth=1
	v_add_nc_u32_e32 v17, s7, v13
	v_subrev_nc_u32_e32 v21, s5, v15
	v_cmp_le_i32_e64 s0, s5, v15
	v_cmp_gt_i32_e64 s1, s6, v15
	v_add_f32_e32 v25, v12, v16
	v_ashrrev_i32_e32 v18, 31, v17
	v_ashrrev_i32_e32 v22, 31, v21
	s_delay_alu instid0(VALU_DEP_4) | instskip(NEXT) | instid1(VALU_DEP_3)
	s_and_b32 s0, s0, s1
	v_cndmask_b32_e32 v12, v12, v25, vcc_lo
	s_delay_alu instid0(VALU_DEP_3) | instskip(SKIP_2) | instid1(SALU_CYCLE_1)
	v_lshlrev_b64 v[19:20], 2, v[17:18]
	v_lshlrev_b64 v[17:18], 3, v[17:18]
	s_and_b32 s0, s15, s0
	v_cndmask_b32_e64 v22, 0, v22, s0
	v_cndmask_b32_e64 v21, 8, v21, s0
	s_delay_alu instid0(VALU_DEP_4) | instskip(NEXT) | instid1(VALU_DEP_1)
	v_add_co_u32 v23, s0, s12, v19
	v_add_co_ci_u32_e64 v24, s0, s13, v20, s0
	v_add_co_u32 v17, s0, s8, v17
	s_delay_alu instid0(VALU_DEP_1) | instskip(SKIP_1) | instid1(VALU_DEP_1)
	v_add_co_ci_u32_e64 v18, s0, s9, v18, s0
	v_add_co_u32 v19, s0, s10, v19
	v_add_co_ci_u32_e64 v20, s0, s11, v20, s0
	global_store_b32 v[23:24], v16, off
	global_store_b64 v[17:18], v[21:22], off
	global_store_b32 v[19:20], v14, off
	s_or_b32 exec_lo, exec_lo, s16
	s_add_i32 s7, s7, 1
	s_delay_alu instid0(SALU_CYCLE_1)
	s_cmp_ge_i32 s7, s4
	s_cbranch_scc1 .LBB52_9
.LBB52_17:                              ;   in Loop: Header=BB52_10 Depth=1
	v_ashrrev_i32_e32 v17, 31, v15
	s_mov_b32 s1, exec_lo
	s_delay_alu instid0(VALU_DEP_1) | instskip(NEXT) | instid1(VALU_DEP_1)
	v_lshrrev_b32_e32 v16, 30, v17
	v_add_nc_u32_e32 v18, v15, v16
	s_delay_alu instid0(VALU_DEP_1) | instskip(SKIP_1) | instid1(VALU_DEP_1)
	v_ashrrev_i32_e32 v16, 2, v18
	v_lshrrev_b32_e32 v18, 31, v18
	v_add_nc_u32_e32 v18, v16, v18
	s_delay_alu instid0(VALU_DEP_1) | instskip(NEXT) | instid1(VALU_DEP_1)
	v_and_b32_e32 v18, -2, v18
	v_sub_nc_u32_e32 v18, v16, v18
	s_delay_alu instid0(VALU_DEP_1)
	v_cmpx_eq_u32_e64 v9, v18
	s_cbranch_execz .LBB52_8
; %bb.18:                               ;   in Loop: Header=BB52_10 Depth=1
	v_lshrrev_b32_e32 v17, 29, v17
	v_lshlrev_b32_e32 v16, 2, v16
	s_delay_alu instid0(VALU_DEP_2) | instskip(NEXT) | instid1(VALU_DEP_2)
	v_add_nc_u32_e32 v17, v15, v17
	v_sub_nc_u32_e32 v15, v15, v16
	s_delay_alu instid0(VALU_DEP_2) | instskip(NEXT) | instid1(VALU_DEP_1)
	v_ashrrev_i32_e32 v16, 3, v17
	v_lshl_add_u32 v15, v16, 2, v15
	s_delay_alu instid0(VALU_DEP_1) | instskip(NEXT) | instid1(VALU_DEP_1)
	v_cmp_ne_u32_e64 s0, 3, v15
	v_cndmask_b32_e64 v7, 0xc61c4000, v7, s0
	v_cmp_ne_u32_e64 s0, 2, v15
	s_delay_alu instid0(VALU_DEP_1) | instskip(SKIP_1) | instid1(VALU_DEP_1)
	v_cndmask_b32_e64 v6, 0xc61c4000, v6, s0
	v_cmp_ne_u32_e64 s0, 1, v15
	v_cndmask_b32_e64 v5, 0xc61c4000, v5, s0
	v_cmp_ne_u32_e64 s0, 0, v15
	s_delay_alu instid0(VALU_DEP_1)
	v_cndmask_b32_e64 v4, 0xc61c4000, v4, s0
	s_branch .LBB52_8
.LBB52_19:
                                        ; implicit-def: $vgpr4_vgpr5_vgpr6_vgpr7
	s_and_not1_b32 vcc_lo, exec_lo, s8
	s_cbranch_vccz .LBB52_5
	s_branch .LBB52_6
.LBB52_20:
	v_mov_b32_e32 v12, 0
.LBB52_21:
	v_cmp_eq_u32_e64 s0, 0, v9
	s_delay_alu instid0(VALU_DEP_1) | instskip(NEXT) | instid1(SALU_CYCLE_1)
	s_and_b32 s0, s0, vcc_lo
	s_and_b32 exec_lo, exec_lo, s0
	s_cbranch_execz .LBB52_25
; %bb.22:
	s_and_not1_b32 vcc_lo, exec_lo, s3
	s_cbranch_vccnz .LBB52_25
; %bb.23:
	v_mul_lo_u32 v0, v8, s4
	v_cmp_lt_f32_e32 vcc_lo, 0, v12
	v_cndmask_b32_e32 v2, 1.0, v12, vcc_lo
	s_delay_alu instid0(VALU_DEP_3) | instskip(NEXT) | instid1(VALU_DEP_1)
	v_ashrrev_i32_e32 v1, 31, v0
	v_lshlrev_b64 v[0:1], 2, v[0:1]
	s_delay_alu instid0(VALU_DEP_1) | instskip(NEXT) | instid1(VALU_DEP_2)
	v_add_co_u32 v0, vcc_lo, s12, v0
	v_add_co_ci_u32_e32 v1, vcc_lo, s13, v1, vcc_lo
	.p2align	6
.LBB52_24:                              ; =>This Inner Loop Header: Depth=1
	global_load_b32 v3, v[0:1], off
	s_add_i32 s4, s4, -1
	s_delay_alu instid0(SALU_CYCLE_1) | instskip(SKIP_3) | instid1(VALU_DEP_2)
	s_cmp_lg_u32 s4, 0
	s_waitcnt vmcnt(0)
	v_div_scale_f32 v4, null, v2, v2, v3
	v_div_scale_f32 v7, vcc_lo, v3, v2, v3
	v_rcp_f32_e32 v5, v4
	s_waitcnt_depctr 0xfff
	v_fma_f32 v6, -v4, v5, 1.0
	s_delay_alu instid0(VALU_DEP_1) | instskip(NEXT) | instid1(VALU_DEP_1)
	v_fmac_f32_e32 v5, v6, v5
	v_mul_f32_e32 v6, v7, v5
	s_delay_alu instid0(VALU_DEP_1) | instskip(NEXT) | instid1(VALU_DEP_1)
	v_fma_f32 v8, -v4, v6, v7
	v_fmac_f32_e32 v6, v8, v5
	s_delay_alu instid0(VALU_DEP_1) | instskip(NEXT) | instid1(VALU_DEP_1)
	v_fma_f32 v4, -v4, v6, v7
	v_div_fmas_f32 v4, v4, v5, v6
	s_delay_alu instid0(VALU_DEP_1)
	v_div_fixup_f32 v3, v4, v2, v3
	global_store_b32 v[0:1], v3, off
	v_add_co_u32 v0, vcc_lo, v0, 4
	v_add_co_ci_u32_e32 v1, vcc_lo, 0, v1, vcc_lo
	s_cbranch_scc1 .LBB52_24
.LBB52_25:
	s_nop 0
	s_sendmsg sendmsg(MSG_DEALLOC_VGPRS)
	s_endpgm
	.section	.rodata,"a",@progbits
	.p2align	6, 0x0
	.amdhsa_kernel _ZN4vllm3moe10topkGatingILi4ELi8ELi4ELi16ELi32ElfLNS0_11ScoringFuncE0EEEvPKT5_PKbPfiPT4_PiiiibPKf
		.amdhsa_group_segment_fixed_size 0
		.amdhsa_private_segment_fixed_size 0
		.amdhsa_kernarg_size 72
		.amdhsa_user_sgpr_count 15
		.amdhsa_user_sgpr_dispatch_ptr 0
		.amdhsa_user_sgpr_queue_ptr 0
		.amdhsa_user_sgpr_kernarg_segment_ptr 1
		.amdhsa_user_sgpr_dispatch_id 0
		.amdhsa_user_sgpr_private_segment_size 0
		.amdhsa_wavefront_size32 1
		.amdhsa_uses_dynamic_stack 0
		.amdhsa_enable_private_segment 0
		.amdhsa_system_sgpr_workgroup_id_x 1
		.amdhsa_system_sgpr_workgroup_id_y 0
		.amdhsa_system_sgpr_workgroup_id_z 0
		.amdhsa_system_sgpr_workgroup_info 0
		.amdhsa_system_vgpr_workitem_id 1
		.amdhsa_next_free_vgpr 26
		.amdhsa_next_free_sgpr 18
		.amdhsa_reserve_vcc 1
		.amdhsa_float_round_mode_32 0
		.amdhsa_float_round_mode_16_64 0
		.amdhsa_float_denorm_mode_32 3
		.amdhsa_float_denorm_mode_16_64 3
		.amdhsa_dx10_clamp 1
		.amdhsa_ieee_mode 1
		.amdhsa_fp16_overflow 0
		.amdhsa_workgroup_processor_mode 1
		.amdhsa_memory_ordered 1
		.amdhsa_forward_progress 0
		.amdhsa_shared_vgpr_count 0
		.amdhsa_exception_fp_ieee_invalid_op 0
		.amdhsa_exception_fp_denorm_src 0
		.amdhsa_exception_fp_ieee_div_zero 0
		.amdhsa_exception_fp_ieee_overflow 0
		.amdhsa_exception_fp_ieee_underflow 0
		.amdhsa_exception_fp_ieee_inexact 0
		.amdhsa_exception_int_div_zero 0
	.end_amdhsa_kernel
	.section	.text._ZN4vllm3moe10topkGatingILi4ELi8ELi4ELi16ELi32ElfLNS0_11ScoringFuncE0EEEvPKT5_PKbPfiPT4_PiiiibPKf,"axG",@progbits,_ZN4vllm3moe10topkGatingILi4ELi8ELi4ELi16ELi32ElfLNS0_11ScoringFuncE0EEEvPKT5_PKbPfiPT4_PiiiibPKf,comdat
.Lfunc_end52:
	.size	_ZN4vllm3moe10topkGatingILi4ELi8ELi4ELi16ELi32ElfLNS0_11ScoringFuncE0EEEvPKT5_PKbPfiPT4_PiiiibPKf, .Lfunc_end52-_ZN4vllm3moe10topkGatingILi4ELi8ELi4ELi16ELi32ElfLNS0_11ScoringFuncE0EEEvPKT5_PKbPfiPT4_PiiiibPKf
                                        ; -- End function
	.section	.AMDGPU.csdata,"",@progbits
; Kernel info:
; codeLenInByte = 2024
; NumSgprs: 20
; NumVgprs: 26
; ScratchSize: 0
; MemoryBound: 0
; FloatMode: 240
; IeeeMode: 1
; LDSByteSize: 0 bytes/workgroup (compile time only)
; SGPRBlocks: 2
; VGPRBlocks: 3
; NumSGPRsForWavesPerEU: 20
; NumVGPRsForWavesPerEU: 26
; Occupancy: 16
; WaveLimiterHint : 0
; COMPUTE_PGM_RSRC2:SCRATCH_EN: 0
; COMPUTE_PGM_RSRC2:USER_SGPR: 15
; COMPUTE_PGM_RSRC2:TRAP_HANDLER: 0
; COMPUTE_PGM_RSRC2:TGID_X_EN: 1
; COMPUTE_PGM_RSRC2:TGID_Y_EN: 0
; COMPUTE_PGM_RSRC2:TGID_Z_EN: 0
; COMPUTE_PGM_RSRC2:TIDIG_COMP_CNT: 1
	.section	.text._ZN4vllm3moe10topkGatingILi4ELi16ELi4ELi16ELi64ElfLNS0_11ScoringFuncE0EEEvPKT5_PKbPfiPT4_PiiiibPKf,"axG",@progbits,_ZN4vllm3moe10topkGatingILi4ELi16ELi4ELi16ELi64ElfLNS0_11ScoringFuncE0EEEvPKT5_PKbPfiPT4_PiiiibPKf,comdat
	.protected	_ZN4vllm3moe10topkGatingILi4ELi16ELi4ELi16ELi64ElfLNS0_11ScoringFuncE0EEEvPKT5_PKbPfiPT4_PiiiibPKf ; -- Begin function _ZN4vllm3moe10topkGatingILi4ELi16ELi4ELi16ELi64ElfLNS0_11ScoringFuncE0EEEvPKT5_PKbPfiPT4_PiiiibPKf
	.globl	_ZN4vllm3moe10topkGatingILi4ELi16ELi4ELi16ELi64ElfLNS0_11ScoringFuncE0EEEvPKT5_PKbPfiPT4_PiiiibPKf
	.p2align	8
	.type	_ZN4vllm3moe10topkGatingILi4ELi16ELi4ELi16ELi64ElfLNS0_11ScoringFuncE0EEEvPKT5_PKbPfiPT4_PiiiibPKf,@function
_ZN4vllm3moe10topkGatingILi4ELi16ELi4ELi16ELi64ElfLNS0_11ScoringFuncE0EEEvPKT5_PKbPfiPT4_PiiiibPKf: ; @_ZN4vllm3moe10topkGatingILi4ELi16ELi4ELi16ELi64ElfLNS0_11ScoringFuncE0EEEvPKT5_PKbPfiPT4_PiiiibPKf
; %bb.0:
	s_load_b32 s14, s[0:1], 0x18
	v_bfe_u32 v1, v0, 10, 10
	v_and_b32_e32 v0, 0x3ff, v0
	s_lshl_b32 s2, s15, 6
	s_delay_alu instid0(VALU_DEP_2) | instskip(NEXT) | instid1(VALU_DEP_2)
	v_lshlrev_b32_e32 v1, 4, v1
	v_lshrrev_b32_e32 v2, 2, v0
	s_delay_alu instid0(VALU_DEP_1) | instskip(SKIP_2) | instid1(VALU_DEP_1)
	v_add3_u32 v8, s2, v1, v2
	s_mov_b32 s2, exec_lo
	s_waitcnt lgkmcnt(0)
	v_cmpx_gt_i32_e64 s14, v8
	s_cbranch_execz .LBB53_29
; %bb.1:
	s_clause 0x1
	s_load_b128 s[4:7], s[0:1], 0x0
	s_load_b64 s[12:13], s[0:1], 0x10
	s_mov_b32 s8, -1
	s_mov_b32 s15, -1
	s_waitcnt lgkmcnt(0)
	s_cmp_eq_u64 s[6:7], 0
	s_cbranch_scc1 .LBB53_3
; %bb.2:
	v_ashrrev_i32_e32 v2, 31, v8
	v_add_co_u32 v1, vcc_lo, s6, v8
	s_delay_alu instid0(VALU_DEP_2) | instskip(SKIP_3) | instid1(VALU_DEP_1)
	v_add_co_ci_u32_e32 v2, vcc_lo, s7, v2, vcc_lo
	global_load_u8 v1, v[1:2], off
	s_waitcnt vmcnt(0)
	v_and_b32_e32 v1, 1, v1
	v_cmp_eq_u32_e32 vcc_lo, 1, v1
	s_xor_b32 s2, vcc_lo, -1
	s_delay_alu instid0(SALU_CYCLE_1)
	s_or_not1_b32 s15, s2, exec_lo
.LBB53_3:
	v_mbcnt_lo_u32_b32 v4, -1, 0
	s_load_b64 s[2:3], s[0:1], 0x40
	s_delay_alu instid0(VALU_DEP_1) | instskip(SKIP_4) | instid1(VALU_DEP_4)
	v_xor_b32_e32 v6, 2, v4
	v_lshlrev_b32_e32 v1, 4, v8
	v_xor_b32_e32 v11, 1, v4
	v_and_b32_e32 v9, 3, v0
	v_and_b32_e32 v5, 28, v4
	v_ashrrev_i32_e32 v2, 31, v1
	s_delay_alu instid0(VALU_DEP_1) | instskip(NEXT) | instid1(VALU_DEP_4)
	v_lshlrev_b64 v[0:1], 2, v[1:2]
	v_lshlrev_b32_e32 v2, 4, v9
	s_waitcnt lgkmcnt(0)
	s_cmp_eq_u64 s[2:3], 0
	s_delay_alu instid0(VALU_DEP_2) | instskip(NEXT) | instid1(VALU_DEP_3)
	v_add_co_u32 v0, vcc_lo, s4, v0
	v_add_co_ci_u32_e32 v1, vcc_lo, s5, v1, vcc_lo
	s_delay_alu instid0(VALU_DEP_2) | instskip(NEXT) | instid1(VALU_DEP_2)
	v_add_co_u32 v0, vcc_lo, v0, v2
	v_add_co_ci_u32_e32 v1, vcc_lo, 0, v1, vcc_lo
	global_load_b128 v[0:3], v[0:1], off
	s_waitcnt vmcnt(0)
	v_dual_max_f32 v10, v0, v0 :: v_dual_add_nc_u32 v5, 4, v5
	s_delay_alu instid0(VALU_DEP_1) | instskip(SKIP_2) | instid1(VALU_DEP_2)
	v_cmp_lt_i32_e32 vcc_lo, v6, v5
	v_dual_cndmask_b32 v6, v4, v6 :: v_dual_max_f32 v7, v1, v1
	v_cmp_lt_i32_e32 vcc_lo, v11, v5
	v_dual_max_f32 v7, v10, v7 :: v_dual_lshlrev_b32 v10, 2, v6
	v_cndmask_b32_e32 v4, v4, v11, vcc_lo
	s_delay_alu instid0(VALU_DEP_2) | instskip(SKIP_3) | instid1(VALU_DEP_1)
	v_max3_f32 v6, v7, v2, v3
	ds_bpermute_b32 v7, v10, v6
	s_waitcnt lgkmcnt(0)
	v_max_f32_e32 v5, v7, v7
	v_dual_max_f32 v4, v6, v5 :: v_dual_lshlrev_b32 v11, 2, v4
	ds_bpermute_b32 v5, v11, v4
	s_waitcnt lgkmcnt(0)
	v_max_f32_e32 v5, v5, v5
	s_delay_alu instid0(VALU_DEP_1) | instskip(NEXT) | instid1(VALU_DEP_1)
	v_max_f32_e32 v4, v4, v5
	v_sub_f32_e32 v3, v3, v4
	s_delay_alu instid0(VALU_DEP_1) | instskip(SKIP_2) | instid1(VALU_DEP_3)
	v_dual_mul_f32 v7, 0x3fb8aa3b, v3 :: v_dual_sub_f32 v0, v0, v4
	v_sub_f32_e32 v1, v1, v4
	v_sub_f32_e32 v2, v2, v4
	v_rndne_f32_e32 v19, v7
	s_delay_alu instid0(VALU_DEP_4) | instskip(SKIP_1) | instid1(VALU_DEP_4)
	v_mul_f32_e32 v4, 0x3fb8aa3b, v0
	v_cmp_ngt_f32_e32 vcc_lo, 0xc2ce8ed0, v0
	v_mul_f32_e32 v6, 0x3fb8aa3b, v2
	s_delay_alu instid0(VALU_DEP_3) | instskip(SKIP_1) | instid1(VALU_DEP_3)
	v_rndne_f32_e32 v13, v4
	v_fma_f32 v12, 0x3fb8aa3b, v0, -v4
	v_fma_f32 v16, 0x3fb8aa3b, v2, -v6
	v_rndne_f32_e32 v17, v6
	s_delay_alu instid0(VALU_DEP_4) | instskip(SKIP_1) | instid1(VALU_DEP_4)
	v_sub_f32_e32 v4, v4, v13
	v_mul_f32_e32 v5, 0x3fb8aa3b, v1
	v_fmac_f32_e32 v16, 0x32a5705f, v2
	s_delay_alu instid0(VALU_DEP_2) | instskip(SKIP_2) | instid1(VALU_DEP_2)
	v_fma_f32 v14, 0x3fb8aa3b, v1, -v5
	v_rndne_f32_e32 v15, v5
	v_fmac_f32_e32 v12, 0x32a5705f, v0
	v_dual_fmac_f32 v14, 0x32a5705f, v1 :: v_dual_sub_f32 v5, v5, v15
	v_fma_f32 v18, 0x3fb8aa3b, v3, -v7
	s_delay_alu instid0(VALU_DEP_3) | instskip(NEXT) | instid1(VALU_DEP_3)
	v_dual_sub_f32 v7, v7, v19 :: v_dual_add_f32 v4, v4, v12
	v_dual_sub_f32 v6, v6, v17 :: v_dual_add_f32 v5, v5, v14
	v_cvt_i32_f32_e32 v12, v13
	v_cvt_i32_f32_e32 v13, v15
	s_delay_alu instid0(VALU_DEP_4)
	v_exp_f32_e32 v4, v4
	v_cvt_i32_f32_e32 v14, v17
	v_exp_f32_e32 v5, v5
	v_cvt_i32_f32_e32 v15, v19
	s_waitcnt_depctr 0xfff
	v_ldexp_f32 v4, v4, v12
	v_ldexp_f32 v5, v5, v13
	s_delay_alu instid0(VALU_DEP_2) | instskip(SKIP_1) | instid1(VALU_DEP_3)
	v_cndmask_b32_e32 v4, 0, v4, vcc_lo
	v_cmp_ngt_f32_e32 vcc_lo, 0xc2ce8ed0, v1
	v_dual_fmac_f32 v18, 0x32a5705f, v3 :: v_dual_cndmask_b32 v5, 0, v5
	s_delay_alu instid0(VALU_DEP_1) | instskip(SKIP_1) | instid1(VALU_DEP_2)
	v_dual_add_f32 v6, v6, v16 :: v_dual_add_f32 v7, v7, v18
	v_cmp_ngt_f32_e32 vcc_lo, 0xc2ce8ed0, v2
	v_exp_f32_e32 v6, v6
	s_delay_alu instid0(VALU_DEP_2) | instskip(SKIP_3) | instid1(VALU_DEP_2)
	v_exp_f32_e32 v7, v7
	s_waitcnt_depctr 0xfff
	v_ldexp_f32 v6, v6, v14
	v_ldexp_f32 v7, v7, v15
	v_cndmask_b32_e32 v6, 0, v6, vcc_lo
	v_cmp_nlt_f32_e32 vcc_lo, 0x42b17218, v0
	v_cndmask_b32_e32 v0, 0x7f800000, v4, vcc_lo
	v_cmp_nlt_f32_e32 vcc_lo, 0x42b17218, v1
	v_cndmask_b32_e32 v1, 0x7f800000, v5, vcc_lo
	v_cmp_ngt_f32_e32 vcc_lo, 0xc2ce8ed0, v3
	s_delay_alu instid0(VALU_DEP_2) | instskip(SKIP_3) | instid1(VALU_DEP_2)
	v_dual_add_f32 v5, v0, v1 :: v_dual_cndmask_b32 v4, 0, v7
	v_cmp_nlt_f32_e32 vcc_lo, 0x42b17218, v2
	v_cndmask_b32_e32 v2, 0x7f800000, v6, vcc_lo
	v_cmp_nlt_f32_e32 vcc_lo, 0x42b17218, v3
	v_dual_cndmask_b32 v3, 0x7f800000, v4 :: v_dual_add_f32 v4, v5, v2
	s_delay_alu instid0(VALU_DEP_1)
	v_add_f32_e32 v4, v4, v3
	ds_bpermute_b32 v5, v10, v4
	s_waitcnt lgkmcnt(0)
	v_add_f32_e32 v4, v4, v5
	ds_bpermute_b32 v5, v11, v4
	s_waitcnt lgkmcnt(0)
	v_add_f32_e32 v4, v4, v5
	s_delay_alu instid0(VALU_DEP_1) | instskip(SKIP_1) | instid1(VALU_DEP_2)
	v_div_scale_f32 v5, null, v4, v4, 1.0
	v_div_scale_f32 v12, vcc_lo, 1.0, v4, 1.0
	v_rcp_f32_e32 v6, v5
	s_waitcnt_depctr 0xfff
	v_fma_f32 v7, -v5, v6, 1.0
	s_delay_alu instid0(VALU_DEP_1) | instskip(NEXT) | instid1(VALU_DEP_1)
	v_fmac_f32_e32 v6, v7, v6
	v_mul_f32_e32 v7, v12, v6
	s_delay_alu instid0(VALU_DEP_1) | instskip(NEXT) | instid1(VALU_DEP_1)
	v_fma_f32 v13, -v5, v7, v12
	v_fmac_f32_e32 v7, v13, v6
	s_delay_alu instid0(VALU_DEP_1) | instskip(SKIP_1) | instid1(VALU_DEP_2)
	v_fma_f32 v5, -v5, v7, v12
	v_lshlrev_b32_e32 v12, 2, v9
	v_div_fmas_f32 v5, v5, v6, v7
	s_delay_alu instid0(VALU_DEP_1) | instskip(NEXT) | instid1(VALU_DEP_1)
	v_div_fixup_f32 v4, v5, v4, 1.0
	v_mul_f32_e32 v0, v4, v0
	v_mul_f32_e32 v1, v4, v1
	v_mul_f32_e32 v3, v4, v3
	v_mul_f32_e32 v2, v4, v2
	s_delay_alu instid0(VALU_DEP_4)
	v_cmp_class_f32_e64 vcc_lo, v0, 0x1f8
	v_cndmask_b32_e32 v0, 0, v0, vcc_lo
	v_cmp_class_f32_e64 vcc_lo, v1, 0x1f8
	v_cndmask_b32_e32 v1, 0, v1, vcc_lo
	;; [unrolled: 2-line block ×4, first 2 shown]
	s_cbranch_scc1 .LBB53_23
; %bb.4:
	v_lshlrev_b32_e32 v4, 2, v12
	global_load_b128 v[4:7], v4, s[2:3]
	s_waitcnt vmcnt(0)
	v_dual_add_f32 v5, v5, v1 :: v_dual_add_f32 v4, v4, v0
	v_dual_add_f32 v7, v7, v3 :: v_dual_add_f32 v6, v6, v2
	s_cbranch_execnz .LBB53_6
.LBB53_5:
	v_dual_mov_b32 v7, v3 :: v_dual_mov_b32 v6, v2
	v_dual_mov_b32 v5, v1 :: v_dual_mov_b32 v4, v0
.LBB53_6:
	s_load_b128 s[4:7], s[0:1], 0x30
	v_cmp_eq_u32_e64 s2, 0, v9
	s_waitcnt lgkmcnt(0)
	s_bitcmp1_b32 s7, 0
	s_mov_b32 s7, 0
	s_cselect_b32 vcc_lo, -1, 0
	s_cmp_gt_i32 s4, 0
	s_cselect_b32 s3, -1, 0
	s_cmp_lt_i32 s4, 1
	s_cbranch_scc1 .LBB53_24
; %bb.7:
	s_load_b128 s[8:11], s[0:1], 0x20
	v_mul_lo_u32 v14, v8, s4
	v_mov_b32_e32 v13, 0
	v_mov_b32_e32 v15, v8
	s_branch .LBB53_10
.LBB53_8:                               ;   in Loop: Header=BB53_10 Depth=1
	s_or_b32 exec_lo, exec_lo, s1
.LBB53_9:                               ;   in Loop: Header=BB53_10 Depth=1
	v_add_nc_u32_e32 v15, s14, v15
	s_cmp_eq_u32 s4, s7
	s_cbranch_scc1 .LBB53_25
.LBB53_10:                              ; =>This Inner Loop Header: Depth=1
	v_cmp_gt_f32_e64 s0, v5, v4
	s_mov_b32 s17, exec_lo
	s_delay_alu instid0(VALU_DEP_1) | instskip(SKIP_2) | instid1(VALU_DEP_3)
	v_cndmask_b32_e64 v16, v4, v5, s0
	v_cndmask_b32_e64 v17, 0, 1, s0
	;; [unrolled: 1-line block ×3, first 2 shown]
	v_cmp_gt_f32_e64 s1, v6, v16
	s_delay_alu instid0(VALU_DEP_1) | instskip(NEXT) | instid1(VALU_DEP_4)
	v_cndmask_b32_e64 v16, v16, v6, s1
	v_cndmask_b32_e64 v17, v17, 2, s1
	s_waitcnt lgkmcnt(0)
	v_cndmask_b32_e64 v19, v18, v2, s1
	s_delay_alu instid0(VALU_DEP_3) | instskip(NEXT) | instid1(VALU_DEP_1)
	v_cmp_gt_f32_e64 s0, v7, v16
	v_cndmask_b32_e64 v18, v16, v7, s0
	v_cndmask_b32_e64 v16, v17, 3, s0
	s_delay_alu instid0(VALU_DEP_4)
	v_cndmask_b32_e64 v17, v19, v3, s0
	ds_bpermute_b32 v19, v10, v18
	v_or_b32_e32 v16, v12, v16
	ds_bpermute_b32 v21, v10, v17
	ds_bpermute_b32 v20, v10, v16
	s_waitcnt lgkmcnt(0)
	v_cmp_lt_f32_e64 s16, v18, v19
	v_cmpx_nlt_f32_e32 v18, v19
; %bb.11:                               ;   in Loop: Header=BB53_10 Depth=1
	v_cmp_eq_f32_e64 s0, v18, v19
	v_cmp_lt_i32_e64 s1, v20, v16
	s_delay_alu instid0(VALU_DEP_1) | instskip(SKIP_2) | instid1(SALU_CYCLE_1)
	s_and_b32 s0, s0, s1
	s_and_not1_b32 s1, s16, exec_lo
	s_and_b32 s0, s0, exec_lo
	s_or_b32 s16, s1, s0
; %bb.12:                               ;   in Loop: Header=BB53_10 Depth=1
	s_or_b32 exec_lo, exec_lo, s17
	s_and_saveexec_b32 s0, s16
; %bb.13:                               ;   in Loop: Header=BB53_10 Depth=1
	v_dual_mov_b32 v17, v21 :: v_dual_mov_b32 v18, v19
	v_mov_b32_e32 v16, v20
; %bb.14:                               ;   in Loop: Header=BB53_10 Depth=1
	s_or_b32 exec_lo, exec_lo, s0
	ds_bpermute_b32 v21, v11, v18
	ds_bpermute_b32 v20, v11, v17
	;; [unrolled: 1-line block ×3, first 2 shown]
	s_mov_b32 s17, exec_lo
	s_waitcnt lgkmcnt(2)
	v_cmp_lt_f32_e64 s16, v18, v21
	v_cmpx_nlt_f32_e32 v18, v21
	s_cbranch_execnz .LBB53_18
; %bb.15:                               ;   in Loop: Header=BB53_10 Depth=1
	s_or_b32 exec_lo, exec_lo, s17
	s_delay_alu instid0(VALU_DEP_2)
	s_and_saveexec_b32 s0, s16
	s_cbranch_execnz .LBB53_19
.LBB53_16:                              ;   in Loop: Header=BB53_10 Depth=1
	s_or_b32 exec_lo, exec_lo, s0
	s_and_saveexec_b32 s16, s2
	s_cbranch_execnz .LBB53_20
.LBB53_17:                              ;   in Loop: Header=BB53_10 Depth=1
	s_or_b32 exec_lo, exec_lo, s16
	s_add_i32 s7, s7, 1
	s_delay_alu instid0(SALU_CYCLE_1)
	s_cmp_ge_i32 s7, s4
	s_cbranch_scc1 .LBB53_9
	s_branch .LBB53_21
.LBB53_18:                              ;   in Loop: Header=BB53_10 Depth=1
	v_cmp_eq_f32_e64 s0, v18, v21
	s_waitcnt lgkmcnt(0)
	v_cmp_lt_i32_e64 s1, v19, v16
	s_delay_alu instid0(VALU_DEP_1) | instskip(SKIP_2) | instid1(SALU_CYCLE_1)
	s_and_b32 s0, s0, s1
	s_and_not1_b32 s1, s16, exec_lo
	s_and_b32 s0, s0, exec_lo
	s_or_b32 s16, s1, s0
	s_or_b32 exec_lo, exec_lo, s17
	s_and_saveexec_b32 s0, s16
	s_cbranch_execz .LBB53_16
.LBB53_19:                              ;   in Loop: Header=BB53_10 Depth=1
	s_waitcnt lgkmcnt(0)
	v_dual_mov_b32 v17, v20 :: v_dual_mov_b32 v16, v19
	s_or_b32 exec_lo, exec_lo, s0
	s_and_saveexec_b32 s16, s2
	s_cbranch_execz .LBB53_17
.LBB53_20:                              ;   in Loop: Header=BB53_10 Depth=1
	v_add_nc_u32_e32 v18, s7, v14
	v_subrev_nc_u32_e32 v22, s5, v16
	v_cmp_le_i32_e64 s0, s5, v16
	v_cmp_gt_i32_e64 s1, s6, v16
	v_add_f32_e32 v26, v13, v17
	s_waitcnt lgkmcnt(0)
	v_ashrrev_i32_e32 v19, 31, v18
	v_ashrrev_i32_e32 v23, 31, v22
	s_and_b32 s0, s0, s1
	v_cndmask_b32_e32 v13, v13, v26, vcc_lo
	s_delay_alu instid0(VALU_DEP_3) | instskip(SKIP_2) | instid1(SALU_CYCLE_1)
	v_lshlrev_b64 v[20:21], 2, v[18:19]
	v_lshlrev_b64 v[18:19], 3, v[18:19]
	s_and_b32 s0, s15, s0
	v_cndmask_b32_e64 v23, 0, v23, s0
	v_cndmask_b32_e64 v22, 16, v22, s0
	s_delay_alu instid0(VALU_DEP_4) | instskip(NEXT) | instid1(VALU_DEP_1)
	v_add_co_u32 v24, s0, s12, v20
	v_add_co_ci_u32_e64 v25, s0, s13, v21, s0
	v_add_co_u32 v18, s0, s8, v18
	s_delay_alu instid0(VALU_DEP_1) | instskip(SKIP_1) | instid1(VALU_DEP_1)
	v_add_co_ci_u32_e64 v19, s0, s9, v19, s0
	v_add_co_u32 v20, s0, s10, v20
	v_add_co_ci_u32_e64 v21, s0, s11, v21, s0
	global_store_b32 v[24:25], v17, off
	global_store_b64 v[18:19], v[22:23], off
	global_store_b32 v[20:21], v15, off
	s_or_b32 exec_lo, exec_lo, s16
	s_add_i32 s7, s7, 1
	s_delay_alu instid0(SALU_CYCLE_1)
	s_cmp_ge_i32 s7, s4
	s_cbranch_scc1 .LBB53_9
.LBB53_21:                              ;   in Loop: Header=BB53_10 Depth=1
	v_ashrrev_i32_e32 v18, 31, v16
	s_mov_b32 s1, exec_lo
	s_delay_alu instid0(VALU_DEP_1) | instskip(NEXT) | instid1(VALU_DEP_1)
	v_lshrrev_b32_e32 v17, 30, v18
	v_add_nc_u32_e32 v17, v16, v17
	s_delay_alu instid0(VALU_DEP_1) | instskip(SKIP_1) | instid1(VALU_DEP_1)
	v_ashrrev_i32_e32 v17, 2, v17
	s_waitcnt lgkmcnt(0)
	v_lshrrev_b32_e32 v19, 30, v17
	s_delay_alu instid0(VALU_DEP_1) | instskip(NEXT) | instid1(VALU_DEP_1)
	v_add_nc_u32_e32 v19, v17, v19
	v_and_b32_e32 v19, -4, v19
	s_delay_alu instid0(VALU_DEP_1) | instskip(NEXT) | instid1(VALU_DEP_1)
	v_sub_nc_u32_e32 v19, v17, v19
	v_cmpx_eq_u32_e64 v9, v19
	s_cbranch_execz .LBB53_8
; %bb.22:                               ;   in Loop: Header=BB53_10 Depth=1
	v_lshrrev_b32_e32 v18, 28, v18
	v_lshlrev_b32_e32 v17, 2, v17
	s_delay_alu instid0(VALU_DEP_2) | instskip(NEXT) | instid1(VALU_DEP_2)
	v_add_nc_u32_e32 v18, v16, v18
	v_sub_nc_u32_e32 v16, v16, v17
	s_delay_alu instid0(VALU_DEP_2) | instskip(NEXT) | instid1(VALU_DEP_1)
	v_ashrrev_i32_e32 v17, 4, v18
	v_lshl_add_u32 v16, v17, 2, v16
	s_delay_alu instid0(VALU_DEP_1) | instskip(NEXT) | instid1(VALU_DEP_1)
	v_cmp_ne_u32_e64 s0, 3, v16
	v_cndmask_b32_e64 v7, 0xc61c4000, v7, s0
	v_cmp_ne_u32_e64 s0, 2, v16
	s_delay_alu instid0(VALU_DEP_1) | instskip(SKIP_1) | instid1(VALU_DEP_1)
	v_cndmask_b32_e64 v6, 0xc61c4000, v6, s0
	v_cmp_ne_u32_e64 s0, 1, v16
	v_cndmask_b32_e64 v5, 0xc61c4000, v5, s0
	v_cmp_ne_u32_e64 s0, 0, v16
	s_delay_alu instid0(VALU_DEP_1)
	v_cndmask_b32_e64 v4, 0xc61c4000, v4, s0
	s_branch .LBB53_8
.LBB53_23:
                                        ; implicit-def: $vgpr4_vgpr5_vgpr6_vgpr7
	s_and_not1_b32 vcc_lo, exec_lo, s8
	s_cbranch_vccz .LBB53_5
	s_branch .LBB53_6
.LBB53_24:
	v_mov_b32_e32 v13, 0
.LBB53_25:
	v_cmp_eq_u32_e64 s0, 0, v9
	s_delay_alu instid0(VALU_DEP_1) | instskip(NEXT) | instid1(SALU_CYCLE_1)
	s_and_b32 s0, s0, vcc_lo
	s_and_b32 exec_lo, exec_lo, s0
	s_cbranch_execz .LBB53_29
; %bb.26:
	s_and_not1_b32 vcc_lo, exec_lo, s3
	s_cbranch_vccnz .LBB53_29
; %bb.27:
	v_mul_lo_u32 v0, v8, s4
	v_cmp_lt_f32_e32 vcc_lo, 0, v13
	v_cndmask_b32_e32 v2, 1.0, v13, vcc_lo
	s_delay_alu instid0(VALU_DEP_3) | instskip(NEXT) | instid1(VALU_DEP_1)
	v_ashrrev_i32_e32 v1, 31, v0
	v_lshlrev_b64 v[0:1], 2, v[0:1]
	s_delay_alu instid0(VALU_DEP_1) | instskip(NEXT) | instid1(VALU_DEP_2)
	v_add_co_u32 v0, vcc_lo, s12, v0
	v_add_co_ci_u32_e32 v1, vcc_lo, s13, v1, vcc_lo
	.p2align	6
.LBB53_28:                              ; =>This Inner Loop Header: Depth=1
	global_load_b32 v3, v[0:1], off
	s_add_i32 s4, s4, -1
	s_delay_alu instid0(SALU_CYCLE_1) | instskip(SKIP_3) | instid1(VALU_DEP_2)
	s_cmp_lg_u32 s4, 0
	s_waitcnt vmcnt(0)
	v_div_scale_f32 v4, null, v2, v2, v3
	v_div_scale_f32 v7, vcc_lo, v3, v2, v3
	v_rcp_f32_e32 v5, v4
	s_waitcnt_depctr 0xfff
	v_fma_f32 v6, -v4, v5, 1.0
	s_delay_alu instid0(VALU_DEP_1) | instskip(NEXT) | instid1(VALU_DEP_1)
	v_fmac_f32_e32 v5, v6, v5
	v_mul_f32_e32 v6, v7, v5
	s_delay_alu instid0(VALU_DEP_1) | instskip(NEXT) | instid1(VALU_DEP_1)
	v_fma_f32 v8, -v4, v6, v7
	v_fmac_f32_e32 v6, v8, v5
	s_delay_alu instid0(VALU_DEP_1) | instskip(NEXT) | instid1(VALU_DEP_1)
	v_fma_f32 v4, -v4, v6, v7
	v_div_fmas_f32 v4, v4, v5, v6
	s_delay_alu instid0(VALU_DEP_1)
	v_div_fixup_f32 v3, v4, v2, v3
	global_store_b32 v[0:1], v3, off
	v_add_co_u32 v0, vcc_lo, v0, 4
	v_add_co_ci_u32_e32 v1, vcc_lo, 0, v1, vcc_lo
	s_cbranch_scc1 .LBB53_28
.LBB53_29:
	s_nop 0
	s_sendmsg sendmsg(MSG_DEALLOC_VGPRS)
	s_endpgm
	.section	.rodata,"a",@progbits
	.p2align	6, 0x0
	.amdhsa_kernel _ZN4vllm3moe10topkGatingILi4ELi16ELi4ELi16ELi64ElfLNS0_11ScoringFuncE0EEEvPKT5_PKbPfiPT4_PiiiibPKf
		.amdhsa_group_segment_fixed_size 0
		.amdhsa_private_segment_fixed_size 0
		.amdhsa_kernarg_size 72
		.amdhsa_user_sgpr_count 15
		.amdhsa_user_sgpr_dispatch_ptr 0
		.amdhsa_user_sgpr_queue_ptr 0
		.amdhsa_user_sgpr_kernarg_segment_ptr 1
		.amdhsa_user_sgpr_dispatch_id 0
		.amdhsa_user_sgpr_private_segment_size 0
		.amdhsa_wavefront_size32 1
		.amdhsa_uses_dynamic_stack 0
		.amdhsa_enable_private_segment 0
		.amdhsa_system_sgpr_workgroup_id_x 1
		.amdhsa_system_sgpr_workgroup_id_y 0
		.amdhsa_system_sgpr_workgroup_id_z 0
		.amdhsa_system_sgpr_workgroup_info 0
		.amdhsa_system_vgpr_workitem_id 1
		.amdhsa_next_free_vgpr 27
		.amdhsa_next_free_sgpr 18
		.amdhsa_reserve_vcc 1
		.amdhsa_float_round_mode_32 0
		.amdhsa_float_round_mode_16_64 0
		.amdhsa_float_denorm_mode_32 3
		.amdhsa_float_denorm_mode_16_64 3
		.amdhsa_dx10_clamp 1
		.amdhsa_ieee_mode 1
		.amdhsa_fp16_overflow 0
		.amdhsa_workgroup_processor_mode 1
		.amdhsa_memory_ordered 1
		.amdhsa_forward_progress 0
		.amdhsa_shared_vgpr_count 0
		.amdhsa_exception_fp_ieee_invalid_op 0
		.amdhsa_exception_fp_denorm_src 0
		.amdhsa_exception_fp_ieee_div_zero 0
		.amdhsa_exception_fp_ieee_overflow 0
		.amdhsa_exception_fp_ieee_underflow 0
		.amdhsa_exception_fp_ieee_inexact 0
		.amdhsa_exception_int_div_zero 0
	.end_amdhsa_kernel
	.section	.text._ZN4vllm3moe10topkGatingILi4ELi16ELi4ELi16ELi64ElfLNS0_11ScoringFuncE0EEEvPKT5_PKbPfiPT4_PiiiibPKf,"axG",@progbits,_ZN4vllm3moe10topkGatingILi4ELi16ELi4ELi16ELi64ElfLNS0_11ScoringFuncE0EEEvPKT5_PKbPfiPT4_PiiiibPKf,comdat
.Lfunc_end53:
	.size	_ZN4vllm3moe10topkGatingILi4ELi16ELi4ELi16ELi64ElfLNS0_11ScoringFuncE0EEEvPKT5_PKbPfiPT4_PiiiibPKf, .Lfunc_end53-_ZN4vllm3moe10topkGatingILi4ELi16ELi4ELi16ELi64ElfLNS0_11ScoringFuncE0EEEvPKT5_PKbPfiPT4_PiiiibPKf
                                        ; -- End function
	.section	.AMDGPU.csdata,"",@progbits
; Kernel info:
; codeLenInByte = 2196
; NumSgprs: 20
; NumVgprs: 27
; ScratchSize: 0
; MemoryBound: 0
; FloatMode: 240
; IeeeMode: 1
; LDSByteSize: 0 bytes/workgroup (compile time only)
; SGPRBlocks: 2
; VGPRBlocks: 3
; NumSGPRsForWavesPerEU: 20
; NumVGPRsForWavesPerEU: 27
; Occupancy: 16
; WaveLimiterHint : 0
; COMPUTE_PGM_RSRC2:SCRATCH_EN: 0
; COMPUTE_PGM_RSRC2:USER_SGPR: 15
; COMPUTE_PGM_RSRC2:TRAP_HANDLER: 0
; COMPUTE_PGM_RSRC2:TGID_X_EN: 1
; COMPUTE_PGM_RSRC2:TGID_Y_EN: 0
; COMPUTE_PGM_RSRC2:TGID_Z_EN: 0
; COMPUTE_PGM_RSRC2:TIDIG_COMP_CNT: 1
	.section	.text._ZN4vllm3moe10topkGatingILi4ELi16ELi4ELi16ELi32ElfLNS0_11ScoringFuncE0EEEvPKT5_PKbPfiPT4_PiiiibPKf,"axG",@progbits,_ZN4vllm3moe10topkGatingILi4ELi16ELi4ELi16ELi32ElfLNS0_11ScoringFuncE0EEEvPKT5_PKbPfiPT4_PiiiibPKf,comdat
	.protected	_ZN4vllm3moe10topkGatingILi4ELi16ELi4ELi16ELi32ElfLNS0_11ScoringFuncE0EEEvPKT5_PKbPfiPT4_PiiiibPKf ; -- Begin function _ZN4vllm3moe10topkGatingILi4ELi16ELi4ELi16ELi32ElfLNS0_11ScoringFuncE0EEEvPKT5_PKbPfiPT4_PiiiibPKf
	.globl	_ZN4vllm3moe10topkGatingILi4ELi16ELi4ELi16ELi32ElfLNS0_11ScoringFuncE0EEEvPKT5_PKbPfiPT4_PiiiibPKf
	.p2align	8
	.type	_ZN4vllm3moe10topkGatingILi4ELi16ELi4ELi16ELi32ElfLNS0_11ScoringFuncE0EEEvPKT5_PKbPfiPT4_PiiiibPKf,@function
_ZN4vllm3moe10topkGatingILi4ELi16ELi4ELi16ELi32ElfLNS0_11ScoringFuncE0EEEvPKT5_PKbPfiPT4_PiiiibPKf: ; @_ZN4vllm3moe10topkGatingILi4ELi16ELi4ELi16ELi32ElfLNS0_11ScoringFuncE0EEEvPKT5_PKbPfiPT4_PiiiibPKf
; %bb.0:
	s_load_b32 s14, s[0:1], 0x18
	v_bfe_u32 v1, v0, 10, 10
	v_and_b32_e32 v0, 0x3ff, v0
	s_lshl_b32 s2, s15, 5
	s_delay_alu instid0(VALU_DEP_2) | instskip(NEXT) | instid1(VALU_DEP_2)
	v_lshlrev_b32_e32 v1, 3, v1
	v_lshrrev_b32_e32 v2, 2, v0
	s_delay_alu instid0(VALU_DEP_1) | instskip(SKIP_2) | instid1(VALU_DEP_1)
	v_add3_u32 v8, s2, v1, v2
	s_mov_b32 s2, exec_lo
	s_waitcnt lgkmcnt(0)
	v_cmpx_gt_i32_e64 s14, v8
	s_cbranch_execz .LBB54_29
; %bb.1:
	s_clause 0x1
	s_load_b128 s[4:7], s[0:1], 0x0
	s_load_b64 s[12:13], s[0:1], 0x10
	s_mov_b32 s8, -1
	s_mov_b32 s15, -1
	s_waitcnt lgkmcnt(0)
	s_cmp_eq_u64 s[6:7], 0
	s_cbranch_scc1 .LBB54_3
; %bb.2:
	v_ashrrev_i32_e32 v2, 31, v8
	v_add_co_u32 v1, vcc_lo, s6, v8
	s_delay_alu instid0(VALU_DEP_2) | instskip(SKIP_3) | instid1(VALU_DEP_1)
	v_add_co_ci_u32_e32 v2, vcc_lo, s7, v2, vcc_lo
	global_load_u8 v1, v[1:2], off
	s_waitcnt vmcnt(0)
	v_and_b32_e32 v1, 1, v1
	v_cmp_eq_u32_e32 vcc_lo, 1, v1
	s_xor_b32 s2, vcc_lo, -1
	s_delay_alu instid0(SALU_CYCLE_1)
	s_or_not1_b32 s15, s2, exec_lo
.LBB54_3:
	v_mbcnt_lo_u32_b32 v4, -1, 0
	s_load_b64 s[2:3], s[0:1], 0x40
	s_delay_alu instid0(VALU_DEP_1) | instskip(SKIP_4) | instid1(VALU_DEP_4)
	v_xor_b32_e32 v6, 2, v4
	v_lshlrev_b32_e32 v1, 4, v8
	v_xor_b32_e32 v11, 1, v4
	v_and_b32_e32 v9, 3, v0
	v_and_b32_e32 v5, 28, v4
	v_ashrrev_i32_e32 v2, 31, v1
	s_delay_alu instid0(VALU_DEP_1) | instskip(NEXT) | instid1(VALU_DEP_4)
	v_lshlrev_b64 v[0:1], 2, v[1:2]
	v_lshlrev_b32_e32 v2, 4, v9
	s_waitcnt lgkmcnt(0)
	s_cmp_eq_u64 s[2:3], 0
	s_delay_alu instid0(VALU_DEP_2) | instskip(NEXT) | instid1(VALU_DEP_3)
	v_add_co_u32 v0, vcc_lo, s4, v0
	v_add_co_ci_u32_e32 v1, vcc_lo, s5, v1, vcc_lo
	s_delay_alu instid0(VALU_DEP_2) | instskip(NEXT) | instid1(VALU_DEP_2)
	v_add_co_u32 v0, vcc_lo, v0, v2
	v_add_co_ci_u32_e32 v1, vcc_lo, 0, v1, vcc_lo
	global_load_b128 v[0:3], v[0:1], off
	s_waitcnt vmcnt(0)
	v_dual_max_f32 v10, v0, v0 :: v_dual_add_nc_u32 v5, 4, v5
	s_delay_alu instid0(VALU_DEP_1) | instskip(SKIP_2) | instid1(VALU_DEP_2)
	v_cmp_lt_i32_e32 vcc_lo, v6, v5
	v_dual_cndmask_b32 v6, v4, v6 :: v_dual_max_f32 v7, v1, v1
	v_cmp_lt_i32_e32 vcc_lo, v11, v5
	v_dual_max_f32 v7, v10, v7 :: v_dual_lshlrev_b32 v10, 2, v6
	v_cndmask_b32_e32 v4, v4, v11, vcc_lo
	s_delay_alu instid0(VALU_DEP_2) | instskip(SKIP_3) | instid1(VALU_DEP_1)
	v_max3_f32 v6, v7, v2, v3
	ds_bpermute_b32 v7, v10, v6
	s_waitcnt lgkmcnt(0)
	v_max_f32_e32 v5, v7, v7
	v_dual_max_f32 v4, v6, v5 :: v_dual_lshlrev_b32 v11, 2, v4
	ds_bpermute_b32 v5, v11, v4
	s_waitcnt lgkmcnt(0)
	v_max_f32_e32 v5, v5, v5
	s_delay_alu instid0(VALU_DEP_1) | instskip(NEXT) | instid1(VALU_DEP_1)
	v_max_f32_e32 v4, v4, v5
	v_sub_f32_e32 v3, v3, v4
	s_delay_alu instid0(VALU_DEP_1) | instskip(SKIP_2) | instid1(VALU_DEP_3)
	v_dual_mul_f32 v7, 0x3fb8aa3b, v3 :: v_dual_sub_f32 v0, v0, v4
	v_sub_f32_e32 v1, v1, v4
	v_sub_f32_e32 v2, v2, v4
	v_rndne_f32_e32 v19, v7
	s_delay_alu instid0(VALU_DEP_4) | instskip(SKIP_1) | instid1(VALU_DEP_4)
	v_mul_f32_e32 v4, 0x3fb8aa3b, v0
	v_cmp_ngt_f32_e32 vcc_lo, 0xc2ce8ed0, v0
	v_mul_f32_e32 v6, 0x3fb8aa3b, v2
	s_delay_alu instid0(VALU_DEP_3) | instskip(SKIP_1) | instid1(VALU_DEP_3)
	v_rndne_f32_e32 v13, v4
	v_fma_f32 v12, 0x3fb8aa3b, v0, -v4
	v_fma_f32 v16, 0x3fb8aa3b, v2, -v6
	v_rndne_f32_e32 v17, v6
	s_delay_alu instid0(VALU_DEP_4) | instskip(SKIP_1) | instid1(VALU_DEP_4)
	v_sub_f32_e32 v4, v4, v13
	v_mul_f32_e32 v5, 0x3fb8aa3b, v1
	v_fmac_f32_e32 v16, 0x32a5705f, v2
	s_delay_alu instid0(VALU_DEP_2) | instskip(SKIP_2) | instid1(VALU_DEP_2)
	v_fma_f32 v14, 0x3fb8aa3b, v1, -v5
	v_rndne_f32_e32 v15, v5
	v_fmac_f32_e32 v12, 0x32a5705f, v0
	v_dual_fmac_f32 v14, 0x32a5705f, v1 :: v_dual_sub_f32 v5, v5, v15
	v_fma_f32 v18, 0x3fb8aa3b, v3, -v7
	s_delay_alu instid0(VALU_DEP_3) | instskip(NEXT) | instid1(VALU_DEP_3)
	v_dual_sub_f32 v7, v7, v19 :: v_dual_add_f32 v4, v4, v12
	v_dual_sub_f32 v6, v6, v17 :: v_dual_add_f32 v5, v5, v14
	v_cvt_i32_f32_e32 v12, v13
	v_cvt_i32_f32_e32 v13, v15
	s_delay_alu instid0(VALU_DEP_4)
	v_exp_f32_e32 v4, v4
	v_cvt_i32_f32_e32 v14, v17
	v_exp_f32_e32 v5, v5
	v_cvt_i32_f32_e32 v15, v19
	s_waitcnt_depctr 0xfff
	v_ldexp_f32 v4, v4, v12
	v_ldexp_f32 v5, v5, v13
	s_delay_alu instid0(VALU_DEP_2) | instskip(SKIP_1) | instid1(VALU_DEP_3)
	v_cndmask_b32_e32 v4, 0, v4, vcc_lo
	v_cmp_ngt_f32_e32 vcc_lo, 0xc2ce8ed0, v1
	v_dual_fmac_f32 v18, 0x32a5705f, v3 :: v_dual_cndmask_b32 v5, 0, v5
	s_delay_alu instid0(VALU_DEP_1) | instskip(SKIP_1) | instid1(VALU_DEP_2)
	v_dual_add_f32 v6, v6, v16 :: v_dual_add_f32 v7, v7, v18
	v_cmp_ngt_f32_e32 vcc_lo, 0xc2ce8ed0, v2
	v_exp_f32_e32 v6, v6
	s_delay_alu instid0(VALU_DEP_2) | instskip(SKIP_3) | instid1(VALU_DEP_2)
	v_exp_f32_e32 v7, v7
	s_waitcnt_depctr 0xfff
	v_ldexp_f32 v6, v6, v14
	v_ldexp_f32 v7, v7, v15
	v_cndmask_b32_e32 v6, 0, v6, vcc_lo
	v_cmp_nlt_f32_e32 vcc_lo, 0x42b17218, v0
	v_cndmask_b32_e32 v0, 0x7f800000, v4, vcc_lo
	v_cmp_nlt_f32_e32 vcc_lo, 0x42b17218, v1
	v_cndmask_b32_e32 v1, 0x7f800000, v5, vcc_lo
	v_cmp_ngt_f32_e32 vcc_lo, 0xc2ce8ed0, v3
	s_delay_alu instid0(VALU_DEP_2) | instskip(SKIP_3) | instid1(VALU_DEP_2)
	v_dual_add_f32 v5, v0, v1 :: v_dual_cndmask_b32 v4, 0, v7
	v_cmp_nlt_f32_e32 vcc_lo, 0x42b17218, v2
	v_cndmask_b32_e32 v2, 0x7f800000, v6, vcc_lo
	v_cmp_nlt_f32_e32 vcc_lo, 0x42b17218, v3
	v_dual_cndmask_b32 v3, 0x7f800000, v4 :: v_dual_add_f32 v4, v5, v2
	s_delay_alu instid0(VALU_DEP_1)
	v_add_f32_e32 v4, v4, v3
	ds_bpermute_b32 v5, v10, v4
	s_waitcnt lgkmcnt(0)
	v_add_f32_e32 v4, v4, v5
	ds_bpermute_b32 v5, v11, v4
	s_waitcnt lgkmcnt(0)
	v_add_f32_e32 v4, v4, v5
	s_delay_alu instid0(VALU_DEP_1) | instskip(SKIP_1) | instid1(VALU_DEP_2)
	v_div_scale_f32 v5, null, v4, v4, 1.0
	v_div_scale_f32 v12, vcc_lo, 1.0, v4, 1.0
	v_rcp_f32_e32 v6, v5
	s_waitcnt_depctr 0xfff
	v_fma_f32 v7, -v5, v6, 1.0
	s_delay_alu instid0(VALU_DEP_1) | instskip(NEXT) | instid1(VALU_DEP_1)
	v_fmac_f32_e32 v6, v7, v6
	v_mul_f32_e32 v7, v12, v6
	s_delay_alu instid0(VALU_DEP_1) | instskip(NEXT) | instid1(VALU_DEP_1)
	v_fma_f32 v13, -v5, v7, v12
	v_fmac_f32_e32 v7, v13, v6
	s_delay_alu instid0(VALU_DEP_1) | instskip(SKIP_1) | instid1(VALU_DEP_2)
	v_fma_f32 v5, -v5, v7, v12
	v_lshlrev_b32_e32 v12, 2, v9
	v_div_fmas_f32 v5, v5, v6, v7
	s_delay_alu instid0(VALU_DEP_1) | instskip(NEXT) | instid1(VALU_DEP_1)
	v_div_fixup_f32 v4, v5, v4, 1.0
	v_mul_f32_e32 v0, v4, v0
	v_mul_f32_e32 v1, v4, v1
	;; [unrolled: 1-line block ×4, first 2 shown]
	s_delay_alu instid0(VALU_DEP_4)
	v_cmp_class_f32_e64 vcc_lo, v0, 0x1f8
	v_cndmask_b32_e32 v0, 0, v0, vcc_lo
	v_cmp_class_f32_e64 vcc_lo, v1, 0x1f8
	v_cndmask_b32_e32 v1, 0, v1, vcc_lo
	v_cmp_class_f32_e64 vcc_lo, v2, 0x1f8
	v_cndmask_b32_e32 v2, 0, v2, vcc_lo
	v_cmp_class_f32_e64 vcc_lo, v3, 0x1f8
	v_cndmask_b32_e32 v3, 0, v3, vcc_lo
	s_cbranch_scc1 .LBB54_23
; %bb.4:
	v_lshlrev_b32_e32 v4, 2, v12
	global_load_b128 v[4:7], v4, s[2:3]
	s_waitcnt vmcnt(0)
	v_dual_add_f32 v5, v5, v1 :: v_dual_add_f32 v4, v4, v0
	v_dual_add_f32 v7, v7, v3 :: v_dual_add_f32 v6, v6, v2
	s_cbranch_execnz .LBB54_6
.LBB54_5:
	v_dual_mov_b32 v7, v3 :: v_dual_mov_b32 v6, v2
	v_dual_mov_b32 v5, v1 :: v_dual_mov_b32 v4, v0
.LBB54_6:
	s_load_b128 s[4:7], s[0:1], 0x30
	v_cmp_eq_u32_e64 s2, 0, v9
	s_waitcnt lgkmcnt(0)
	s_bitcmp1_b32 s7, 0
	s_mov_b32 s7, 0
	s_cselect_b32 vcc_lo, -1, 0
	s_cmp_gt_i32 s4, 0
	s_cselect_b32 s3, -1, 0
	s_cmp_lt_i32 s4, 1
	s_cbranch_scc1 .LBB54_24
; %bb.7:
	s_load_b128 s[8:11], s[0:1], 0x20
	v_mul_lo_u32 v14, v8, s4
	v_mov_b32_e32 v13, 0
	v_mov_b32_e32 v15, v8
	s_branch .LBB54_10
.LBB54_8:                               ;   in Loop: Header=BB54_10 Depth=1
	s_or_b32 exec_lo, exec_lo, s1
.LBB54_9:                               ;   in Loop: Header=BB54_10 Depth=1
	v_add_nc_u32_e32 v15, s14, v15
	s_cmp_eq_u32 s4, s7
	s_cbranch_scc1 .LBB54_25
.LBB54_10:                              ; =>This Inner Loop Header: Depth=1
	v_cmp_gt_f32_e64 s0, v5, v4
	s_mov_b32 s17, exec_lo
	s_delay_alu instid0(VALU_DEP_1) | instskip(SKIP_2) | instid1(VALU_DEP_3)
	v_cndmask_b32_e64 v16, v4, v5, s0
	v_cndmask_b32_e64 v17, 0, 1, s0
	;; [unrolled: 1-line block ×3, first 2 shown]
	v_cmp_gt_f32_e64 s1, v6, v16
	s_delay_alu instid0(VALU_DEP_1) | instskip(NEXT) | instid1(VALU_DEP_4)
	v_cndmask_b32_e64 v16, v16, v6, s1
	v_cndmask_b32_e64 v17, v17, 2, s1
	s_waitcnt lgkmcnt(0)
	v_cndmask_b32_e64 v19, v18, v2, s1
	s_delay_alu instid0(VALU_DEP_3) | instskip(NEXT) | instid1(VALU_DEP_1)
	v_cmp_gt_f32_e64 s0, v7, v16
	v_cndmask_b32_e64 v18, v16, v7, s0
	v_cndmask_b32_e64 v16, v17, 3, s0
	s_delay_alu instid0(VALU_DEP_4)
	v_cndmask_b32_e64 v17, v19, v3, s0
	ds_bpermute_b32 v19, v10, v18
	v_or_b32_e32 v16, v12, v16
	ds_bpermute_b32 v21, v10, v17
	ds_bpermute_b32 v20, v10, v16
	s_waitcnt lgkmcnt(0)
	v_cmp_lt_f32_e64 s16, v18, v19
	v_cmpx_nlt_f32_e32 v18, v19
; %bb.11:                               ;   in Loop: Header=BB54_10 Depth=1
	v_cmp_eq_f32_e64 s0, v18, v19
	v_cmp_lt_i32_e64 s1, v20, v16
	s_delay_alu instid0(VALU_DEP_1) | instskip(SKIP_2) | instid1(SALU_CYCLE_1)
	s_and_b32 s0, s0, s1
	s_and_not1_b32 s1, s16, exec_lo
	s_and_b32 s0, s0, exec_lo
	s_or_b32 s16, s1, s0
; %bb.12:                               ;   in Loop: Header=BB54_10 Depth=1
	s_or_b32 exec_lo, exec_lo, s17
	s_and_saveexec_b32 s0, s16
; %bb.13:                               ;   in Loop: Header=BB54_10 Depth=1
	v_dual_mov_b32 v17, v21 :: v_dual_mov_b32 v18, v19
	v_mov_b32_e32 v16, v20
; %bb.14:                               ;   in Loop: Header=BB54_10 Depth=1
	s_or_b32 exec_lo, exec_lo, s0
	ds_bpermute_b32 v21, v11, v18
	ds_bpermute_b32 v20, v11, v17
	;; [unrolled: 1-line block ×3, first 2 shown]
	s_mov_b32 s17, exec_lo
	s_waitcnt lgkmcnt(2)
	v_cmp_lt_f32_e64 s16, v18, v21
	v_cmpx_nlt_f32_e32 v18, v21
	s_cbranch_execnz .LBB54_18
; %bb.15:                               ;   in Loop: Header=BB54_10 Depth=1
	s_or_b32 exec_lo, exec_lo, s17
	s_delay_alu instid0(VALU_DEP_2)
	s_and_saveexec_b32 s0, s16
	s_cbranch_execnz .LBB54_19
.LBB54_16:                              ;   in Loop: Header=BB54_10 Depth=1
	s_or_b32 exec_lo, exec_lo, s0
	s_and_saveexec_b32 s16, s2
	s_cbranch_execnz .LBB54_20
.LBB54_17:                              ;   in Loop: Header=BB54_10 Depth=1
	s_or_b32 exec_lo, exec_lo, s16
	s_add_i32 s7, s7, 1
	s_delay_alu instid0(SALU_CYCLE_1)
	s_cmp_ge_i32 s7, s4
	s_cbranch_scc1 .LBB54_9
	s_branch .LBB54_21
.LBB54_18:                              ;   in Loop: Header=BB54_10 Depth=1
	v_cmp_eq_f32_e64 s0, v18, v21
	s_waitcnt lgkmcnt(0)
	v_cmp_lt_i32_e64 s1, v19, v16
	s_delay_alu instid0(VALU_DEP_1) | instskip(SKIP_2) | instid1(SALU_CYCLE_1)
	s_and_b32 s0, s0, s1
	s_and_not1_b32 s1, s16, exec_lo
	s_and_b32 s0, s0, exec_lo
	s_or_b32 s16, s1, s0
	s_or_b32 exec_lo, exec_lo, s17
	s_and_saveexec_b32 s0, s16
	s_cbranch_execz .LBB54_16
.LBB54_19:                              ;   in Loop: Header=BB54_10 Depth=1
	s_waitcnt lgkmcnt(0)
	v_dual_mov_b32 v17, v20 :: v_dual_mov_b32 v16, v19
	s_or_b32 exec_lo, exec_lo, s0
	s_and_saveexec_b32 s16, s2
	s_cbranch_execz .LBB54_17
.LBB54_20:                              ;   in Loop: Header=BB54_10 Depth=1
	v_add_nc_u32_e32 v18, s7, v14
	v_subrev_nc_u32_e32 v22, s5, v16
	v_cmp_le_i32_e64 s0, s5, v16
	v_cmp_gt_i32_e64 s1, s6, v16
	v_add_f32_e32 v26, v13, v17
	s_waitcnt lgkmcnt(0)
	v_ashrrev_i32_e32 v19, 31, v18
	v_ashrrev_i32_e32 v23, 31, v22
	s_and_b32 s0, s0, s1
	v_cndmask_b32_e32 v13, v13, v26, vcc_lo
	s_delay_alu instid0(VALU_DEP_3) | instskip(SKIP_2) | instid1(SALU_CYCLE_1)
	v_lshlrev_b64 v[20:21], 2, v[18:19]
	v_lshlrev_b64 v[18:19], 3, v[18:19]
	s_and_b32 s0, s15, s0
	v_cndmask_b32_e64 v23, 0, v23, s0
	v_cndmask_b32_e64 v22, 16, v22, s0
	s_delay_alu instid0(VALU_DEP_4) | instskip(NEXT) | instid1(VALU_DEP_1)
	v_add_co_u32 v24, s0, s12, v20
	v_add_co_ci_u32_e64 v25, s0, s13, v21, s0
	v_add_co_u32 v18, s0, s8, v18
	s_delay_alu instid0(VALU_DEP_1) | instskip(SKIP_1) | instid1(VALU_DEP_1)
	v_add_co_ci_u32_e64 v19, s0, s9, v19, s0
	v_add_co_u32 v20, s0, s10, v20
	v_add_co_ci_u32_e64 v21, s0, s11, v21, s0
	global_store_b32 v[24:25], v17, off
	global_store_b64 v[18:19], v[22:23], off
	global_store_b32 v[20:21], v15, off
	s_or_b32 exec_lo, exec_lo, s16
	s_add_i32 s7, s7, 1
	s_delay_alu instid0(SALU_CYCLE_1)
	s_cmp_ge_i32 s7, s4
	s_cbranch_scc1 .LBB54_9
.LBB54_21:                              ;   in Loop: Header=BB54_10 Depth=1
	v_ashrrev_i32_e32 v18, 31, v16
	s_mov_b32 s1, exec_lo
	s_delay_alu instid0(VALU_DEP_1) | instskip(NEXT) | instid1(VALU_DEP_1)
	v_lshrrev_b32_e32 v17, 30, v18
	v_add_nc_u32_e32 v17, v16, v17
	s_delay_alu instid0(VALU_DEP_1) | instskip(SKIP_1) | instid1(VALU_DEP_1)
	v_ashrrev_i32_e32 v17, 2, v17
	s_waitcnt lgkmcnt(0)
	v_lshrrev_b32_e32 v19, 30, v17
	s_delay_alu instid0(VALU_DEP_1) | instskip(NEXT) | instid1(VALU_DEP_1)
	v_add_nc_u32_e32 v19, v17, v19
	v_and_b32_e32 v19, -4, v19
	s_delay_alu instid0(VALU_DEP_1) | instskip(NEXT) | instid1(VALU_DEP_1)
	v_sub_nc_u32_e32 v19, v17, v19
	v_cmpx_eq_u32_e64 v9, v19
	s_cbranch_execz .LBB54_8
; %bb.22:                               ;   in Loop: Header=BB54_10 Depth=1
	v_lshrrev_b32_e32 v18, 28, v18
	v_lshlrev_b32_e32 v17, 2, v17
	s_delay_alu instid0(VALU_DEP_2) | instskip(NEXT) | instid1(VALU_DEP_2)
	v_add_nc_u32_e32 v18, v16, v18
	v_sub_nc_u32_e32 v16, v16, v17
	s_delay_alu instid0(VALU_DEP_2) | instskip(NEXT) | instid1(VALU_DEP_1)
	v_ashrrev_i32_e32 v17, 4, v18
	v_lshl_add_u32 v16, v17, 2, v16
	s_delay_alu instid0(VALU_DEP_1) | instskip(NEXT) | instid1(VALU_DEP_1)
	v_cmp_ne_u32_e64 s0, 3, v16
	v_cndmask_b32_e64 v7, 0xc61c4000, v7, s0
	v_cmp_ne_u32_e64 s0, 2, v16
	s_delay_alu instid0(VALU_DEP_1) | instskip(SKIP_1) | instid1(VALU_DEP_1)
	v_cndmask_b32_e64 v6, 0xc61c4000, v6, s0
	v_cmp_ne_u32_e64 s0, 1, v16
	v_cndmask_b32_e64 v5, 0xc61c4000, v5, s0
	v_cmp_ne_u32_e64 s0, 0, v16
	s_delay_alu instid0(VALU_DEP_1)
	v_cndmask_b32_e64 v4, 0xc61c4000, v4, s0
	s_branch .LBB54_8
.LBB54_23:
                                        ; implicit-def: $vgpr4_vgpr5_vgpr6_vgpr7
	s_and_not1_b32 vcc_lo, exec_lo, s8
	s_cbranch_vccz .LBB54_5
	s_branch .LBB54_6
.LBB54_24:
	v_mov_b32_e32 v13, 0
.LBB54_25:
	v_cmp_eq_u32_e64 s0, 0, v9
	s_delay_alu instid0(VALU_DEP_1) | instskip(NEXT) | instid1(SALU_CYCLE_1)
	s_and_b32 s0, s0, vcc_lo
	s_and_b32 exec_lo, exec_lo, s0
	s_cbranch_execz .LBB54_29
; %bb.26:
	s_and_not1_b32 vcc_lo, exec_lo, s3
	s_cbranch_vccnz .LBB54_29
; %bb.27:
	v_mul_lo_u32 v0, v8, s4
	v_cmp_lt_f32_e32 vcc_lo, 0, v13
	v_cndmask_b32_e32 v2, 1.0, v13, vcc_lo
	s_delay_alu instid0(VALU_DEP_3) | instskip(NEXT) | instid1(VALU_DEP_1)
	v_ashrrev_i32_e32 v1, 31, v0
	v_lshlrev_b64 v[0:1], 2, v[0:1]
	s_delay_alu instid0(VALU_DEP_1) | instskip(NEXT) | instid1(VALU_DEP_2)
	v_add_co_u32 v0, vcc_lo, s12, v0
	v_add_co_ci_u32_e32 v1, vcc_lo, s13, v1, vcc_lo
	.p2align	6
.LBB54_28:                              ; =>This Inner Loop Header: Depth=1
	global_load_b32 v3, v[0:1], off
	s_add_i32 s4, s4, -1
	s_delay_alu instid0(SALU_CYCLE_1) | instskip(SKIP_3) | instid1(VALU_DEP_2)
	s_cmp_lg_u32 s4, 0
	s_waitcnt vmcnt(0)
	v_div_scale_f32 v4, null, v2, v2, v3
	v_div_scale_f32 v7, vcc_lo, v3, v2, v3
	v_rcp_f32_e32 v5, v4
	s_waitcnt_depctr 0xfff
	v_fma_f32 v6, -v4, v5, 1.0
	s_delay_alu instid0(VALU_DEP_1) | instskip(NEXT) | instid1(VALU_DEP_1)
	v_fmac_f32_e32 v5, v6, v5
	v_mul_f32_e32 v6, v7, v5
	s_delay_alu instid0(VALU_DEP_1) | instskip(NEXT) | instid1(VALU_DEP_1)
	v_fma_f32 v8, -v4, v6, v7
	v_fmac_f32_e32 v6, v8, v5
	s_delay_alu instid0(VALU_DEP_1) | instskip(NEXT) | instid1(VALU_DEP_1)
	v_fma_f32 v4, -v4, v6, v7
	v_div_fmas_f32 v4, v4, v5, v6
	s_delay_alu instid0(VALU_DEP_1)
	v_div_fixup_f32 v3, v4, v2, v3
	global_store_b32 v[0:1], v3, off
	v_add_co_u32 v0, vcc_lo, v0, 4
	v_add_co_ci_u32_e32 v1, vcc_lo, 0, v1, vcc_lo
	s_cbranch_scc1 .LBB54_28
.LBB54_29:
	s_nop 0
	s_sendmsg sendmsg(MSG_DEALLOC_VGPRS)
	s_endpgm
	.section	.rodata,"a",@progbits
	.p2align	6, 0x0
	.amdhsa_kernel _ZN4vllm3moe10topkGatingILi4ELi16ELi4ELi16ELi32ElfLNS0_11ScoringFuncE0EEEvPKT5_PKbPfiPT4_PiiiibPKf
		.amdhsa_group_segment_fixed_size 0
		.amdhsa_private_segment_fixed_size 0
		.amdhsa_kernarg_size 72
		.amdhsa_user_sgpr_count 15
		.amdhsa_user_sgpr_dispatch_ptr 0
		.amdhsa_user_sgpr_queue_ptr 0
		.amdhsa_user_sgpr_kernarg_segment_ptr 1
		.amdhsa_user_sgpr_dispatch_id 0
		.amdhsa_user_sgpr_private_segment_size 0
		.amdhsa_wavefront_size32 1
		.amdhsa_uses_dynamic_stack 0
		.amdhsa_enable_private_segment 0
		.amdhsa_system_sgpr_workgroup_id_x 1
		.amdhsa_system_sgpr_workgroup_id_y 0
		.amdhsa_system_sgpr_workgroup_id_z 0
		.amdhsa_system_sgpr_workgroup_info 0
		.amdhsa_system_vgpr_workitem_id 1
		.amdhsa_next_free_vgpr 27
		.amdhsa_next_free_sgpr 18
		.amdhsa_reserve_vcc 1
		.amdhsa_float_round_mode_32 0
		.amdhsa_float_round_mode_16_64 0
		.amdhsa_float_denorm_mode_32 3
		.amdhsa_float_denorm_mode_16_64 3
		.amdhsa_dx10_clamp 1
		.amdhsa_ieee_mode 1
		.amdhsa_fp16_overflow 0
		.amdhsa_workgroup_processor_mode 1
		.amdhsa_memory_ordered 1
		.amdhsa_forward_progress 0
		.amdhsa_shared_vgpr_count 0
		.amdhsa_exception_fp_ieee_invalid_op 0
		.amdhsa_exception_fp_denorm_src 0
		.amdhsa_exception_fp_ieee_div_zero 0
		.amdhsa_exception_fp_ieee_overflow 0
		.amdhsa_exception_fp_ieee_underflow 0
		.amdhsa_exception_fp_ieee_inexact 0
		.amdhsa_exception_int_div_zero 0
	.end_amdhsa_kernel
	.section	.text._ZN4vllm3moe10topkGatingILi4ELi16ELi4ELi16ELi32ElfLNS0_11ScoringFuncE0EEEvPKT5_PKbPfiPT4_PiiiibPKf,"axG",@progbits,_ZN4vllm3moe10topkGatingILi4ELi16ELi4ELi16ELi32ElfLNS0_11ScoringFuncE0EEEvPKT5_PKbPfiPT4_PiiiibPKf,comdat
.Lfunc_end54:
	.size	_ZN4vllm3moe10topkGatingILi4ELi16ELi4ELi16ELi32ElfLNS0_11ScoringFuncE0EEEvPKT5_PKbPfiPT4_PiiiibPKf, .Lfunc_end54-_ZN4vllm3moe10topkGatingILi4ELi16ELi4ELi16ELi32ElfLNS0_11ScoringFuncE0EEEvPKT5_PKbPfiPT4_PiiiibPKf
                                        ; -- End function
	.section	.AMDGPU.csdata,"",@progbits
; Kernel info:
; codeLenInByte = 2196
; NumSgprs: 20
; NumVgprs: 27
; ScratchSize: 0
; MemoryBound: 0
; FloatMode: 240
; IeeeMode: 1
; LDSByteSize: 0 bytes/workgroup (compile time only)
; SGPRBlocks: 2
; VGPRBlocks: 3
; NumSGPRsForWavesPerEU: 20
; NumVGPRsForWavesPerEU: 27
; Occupancy: 16
; WaveLimiterHint : 0
; COMPUTE_PGM_RSRC2:SCRATCH_EN: 0
; COMPUTE_PGM_RSRC2:USER_SGPR: 15
; COMPUTE_PGM_RSRC2:TRAP_HANDLER: 0
; COMPUTE_PGM_RSRC2:TGID_X_EN: 1
; COMPUTE_PGM_RSRC2:TGID_Y_EN: 0
; COMPUTE_PGM_RSRC2:TGID_Z_EN: 0
; COMPUTE_PGM_RSRC2:TIDIG_COMP_CNT: 1
	.section	.text._ZN4vllm3moe10topkGatingILi4ELi32ELi4ELi16ELi64ElfLNS0_11ScoringFuncE0EEEvPKT5_PKbPfiPT4_PiiiibPKf,"axG",@progbits,_ZN4vllm3moe10topkGatingILi4ELi32ELi4ELi16ELi64ElfLNS0_11ScoringFuncE0EEEvPKT5_PKbPfiPT4_PiiiibPKf,comdat
	.protected	_ZN4vllm3moe10topkGatingILi4ELi32ELi4ELi16ELi64ElfLNS0_11ScoringFuncE0EEEvPKT5_PKbPfiPT4_PiiiibPKf ; -- Begin function _ZN4vllm3moe10topkGatingILi4ELi32ELi4ELi16ELi64ElfLNS0_11ScoringFuncE0EEEvPKT5_PKbPfiPT4_PiiiibPKf
	.globl	_ZN4vllm3moe10topkGatingILi4ELi32ELi4ELi16ELi64ElfLNS0_11ScoringFuncE0EEEvPKT5_PKbPfiPT4_PiiiibPKf
	.p2align	8
	.type	_ZN4vllm3moe10topkGatingILi4ELi32ELi4ELi16ELi64ElfLNS0_11ScoringFuncE0EEEvPKT5_PKbPfiPT4_PiiiibPKf,@function
_ZN4vllm3moe10topkGatingILi4ELi32ELi4ELi16ELi64ElfLNS0_11ScoringFuncE0EEEvPKT5_PKbPfiPT4_PiiiibPKf: ; @_ZN4vllm3moe10topkGatingILi4ELi32ELi4ELi16ELi64ElfLNS0_11ScoringFuncE0EEEvPKT5_PKbPfiPT4_PiiiibPKf
; %bb.0:
	s_load_b32 s14, s[0:1], 0x18
	v_bfe_u32 v1, v0, 10, 10
	v_and_b32_e32 v0, 0x3ff, v0
	s_lshl_b32 s2, s15, 5
	s_delay_alu instid0(VALU_DEP_2) | instskip(NEXT) | instid1(VALU_DEP_2)
	v_lshlrev_b32_e32 v1, 3, v1
	v_lshrrev_b32_e32 v2, 3, v0
	s_delay_alu instid0(VALU_DEP_1) | instskip(SKIP_2) | instid1(VALU_DEP_1)
	v_add3_u32 v8, s2, v1, v2
	s_mov_b32 s2, exec_lo
	s_waitcnt lgkmcnt(0)
	v_cmpx_gt_i32_e64 s14, v8
	s_cbranch_execz .LBB55_33
; %bb.1:
	s_clause 0x1
	s_load_b128 s[4:7], s[0:1], 0x0
	s_load_b64 s[12:13], s[0:1], 0x10
	s_mov_b32 s8, -1
	s_mov_b32 s15, -1
	s_waitcnt lgkmcnt(0)
	s_cmp_eq_u64 s[6:7], 0
	s_cbranch_scc1 .LBB55_3
; %bb.2:
	v_ashrrev_i32_e32 v2, 31, v8
	v_add_co_u32 v1, vcc_lo, s6, v8
	s_delay_alu instid0(VALU_DEP_2) | instskip(SKIP_3) | instid1(VALU_DEP_1)
	v_add_co_ci_u32_e32 v2, vcc_lo, s7, v2, vcc_lo
	global_load_u8 v1, v[1:2], off
	s_waitcnt vmcnt(0)
	v_and_b32_e32 v1, 1, v1
	v_cmp_eq_u32_e32 vcc_lo, 1, v1
	s_xor_b32 s2, vcc_lo, -1
	s_delay_alu instid0(SALU_CYCLE_1)
	s_or_not1_b32 s15, s2, exec_lo
.LBB55_3:
	v_mbcnt_lo_u32_b32 v4, -1, 0
	v_and_b32_e32 v9, 7, v0
	s_load_b64 s[2:3], s[0:1], 0x40
	s_delay_alu instid0(VALU_DEP_2) | instskip(SKIP_4) | instid1(VALU_DEP_4)
	v_xor_b32_e32 v6, 4, v4
	v_lshlrev_b32_e32 v1, 5, v8
	v_and_b32_e32 v5, 24, v4
	v_xor_b32_e32 v11, 2, v4
	v_xor_b32_e32 v12, 1, v4
	v_ashrrev_i32_e32 v2, 31, v1
	s_delay_alu instid0(VALU_DEP_1) | instskip(SKIP_3) | instid1(VALU_DEP_2)
	v_lshlrev_b64 v[0:1], 2, v[1:2]
	v_lshlrev_b32_e32 v2, 4, v9
	s_waitcnt lgkmcnt(0)
	s_cmp_eq_u64 s[2:3], 0
	v_add_co_u32 v0, vcc_lo, s4, v0
	s_delay_alu instid0(VALU_DEP_3) | instskip(NEXT) | instid1(VALU_DEP_2)
	v_add_co_ci_u32_e32 v1, vcc_lo, s5, v1, vcc_lo
	v_add_co_u32 v0, vcc_lo, v0, v2
	s_delay_alu instid0(VALU_DEP_2) | instskip(SKIP_3) | instid1(VALU_DEP_1)
	v_add_co_ci_u32_e32 v1, vcc_lo, 0, v1, vcc_lo
	global_load_b128 v[0:3], v[0:1], off
	s_waitcnt vmcnt(0)
	v_dual_max_f32 v10, v0, v0 :: v_dual_add_nc_u32 v5, 8, v5
	v_cmp_lt_i32_e32 vcc_lo, v6, v5
	v_dual_cndmask_b32 v6, v4, v6 :: v_dual_max_f32 v7, v1, v1
	v_cmp_lt_i32_e32 vcc_lo, v11, v5
	s_delay_alu instid0(VALU_DEP_2) | instskip(SKIP_2) | instid1(VALU_DEP_3)
	v_dual_max_f32 v7, v10, v7 :: v_dual_lshlrev_b32 v10, 2, v6
	v_cndmask_b32_e32 v11, v4, v11, vcc_lo
	v_cmp_lt_i32_e32 vcc_lo, v12, v5
	v_max3_f32 v6, v7, v2, v3
	v_cndmask_b32_e32 v4, v4, v12, vcc_lo
	ds_bpermute_b32 v7, v10, v6
	s_waitcnt lgkmcnt(0)
	v_dual_max_f32 v7, v7, v7 :: v_dual_lshlrev_b32 v12, 2, v4
	s_delay_alu instid0(VALU_DEP_1) | instskip(SKIP_4) | instid1(VALU_DEP_1)
	v_max_f32_e32 v6, v6, v7
	v_lshlrev_b32_e32 v11, 2, v11
	ds_bpermute_b32 v7, v11, v6
	s_waitcnt lgkmcnt(0)
	v_max_f32_e32 v5, v7, v7
	v_max_f32_e32 v4, v6, v5
	ds_bpermute_b32 v5, v12, v4
	s_waitcnt lgkmcnt(0)
	v_max_f32_e32 v5, v5, v5
	s_delay_alu instid0(VALU_DEP_1) | instskip(NEXT) | instid1(VALU_DEP_1)
	v_max_f32_e32 v4, v4, v5
	v_sub_f32_e32 v3, v3, v4
	s_delay_alu instid0(VALU_DEP_1) | instskip(SKIP_2) | instid1(VALU_DEP_3)
	v_dual_mul_f32 v7, 0x3fb8aa3b, v3 :: v_dual_sub_f32 v0, v0, v4
	v_sub_f32_e32 v1, v1, v4
	v_sub_f32_e32 v2, v2, v4
	v_rndne_f32_e32 v20, v7
	s_delay_alu instid0(VALU_DEP_4) | instskip(SKIP_1) | instid1(VALU_DEP_4)
	v_mul_f32_e32 v4, 0x3fb8aa3b, v0
	v_cmp_ngt_f32_e32 vcc_lo, 0xc2ce8ed0, v0
	v_mul_f32_e32 v6, 0x3fb8aa3b, v2
	s_delay_alu instid0(VALU_DEP_3) | instskip(SKIP_1) | instid1(VALU_DEP_3)
	v_rndne_f32_e32 v14, v4
	v_fma_f32 v13, 0x3fb8aa3b, v0, -v4
	v_fma_f32 v17, 0x3fb8aa3b, v2, -v6
	v_rndne_f32_e32 v18, v6
	s_delay_alu instid0(VALU_DEP_4) | instskip(NEXT) | instid1(VALU_DEP_3)
	v_dual_sub_f32 v4, v4, v14 :: v_dual_mul_f32 v5, 0x3fb8aa3b, v1
	v_fmac_f32_e32 v17, 0x32a5705f, v2
	s_delay_alu instid0(VALU_DEP_3) | instskip(SKIP_1) | instid1(VALU_DEP_4)
	v_dual_sub_f32 v6, v6, v18 :: v_dual_fmac_f32 v13, 0x32a5705f, v0
	v_fma_f32 v19, 0x3fb8aa3b, v3, -v7
	v_rndne_f32_e32 v16, v5
	v_fma_f32 v15, 0x3fb8aa3b, v1, -v5
	s_delay_alu instid0(VALU_DEP_4)
	v_add_f32_e32 v6, v6, v17
	v_add_f32_e32 v4, v4, v13
	v_cvt_i32_f32_e32 v13, v14
	v_sub_f32_e32 v5, v5, v16
	v_cvt_i32_f32_e32 v14, v16
	v_exp_f32_e32 v6, v6
	v_exp_f32_e32 v4, v4
	v_cvt_i32_f32_e32 v16, v20
	s_waitcnt_depctr 0xfff
	v_ldexp_f32 v4, v4, v13
	s_delay_alu instid0(VALU_DEP_1) | instskip(NEXT) | instid1(VALU_DEP_1)
	v_dual_fmac_f32 v15, 0x32a5705f, v1 :: v_dual_cndmask_b32 v4, 0, v4
	v_add_f32_e32 v5, v5, v15
	v_cvt_i32_f32_e32 v15, v18
	v_cmp_ngt_f32_e32 vcc_lo, 0xc2ce8ed0, v1
	s_delay_alu instid0(VALU_DEP_3) | instskip(NEXT) | instid1(VALU_DEP_2)
	v_exp_f32_e32 v5, v5
	v_ldexp_f32 v6, v6, v15
	s_waitcnt_depctr 0xfff
	v_ldexp_f32 v5, v5, v14
	s_delay_alu instid0(VALU_DEP_1)
	v_cndmask_b32_e32 v5, 0, v5, vcc_lo
	v_cmp_ngt_f32_e32 vcc_lo, 0xc2ce8ed0, v2
	v_dual_fmac_f32 v19, 0x32a5705f, v3 :: v_dual_cndmask_b32 v6, 0, v6
	v_cmp_nlt_f32_e32 vcc_lo, 0x42b17218, v0
	v_sub_f32_e32 v7, v7, v20
	v_cndmask_b32_e32 v0, 0x7f800000, v4, vcc_lo
	v_cmp_nlt_f32_e32 vcc_lo, 0x42b17218, v1
	v_cndmask_b32_e32 v1, 0x7f800000, v5, vcc_lo
	v_cmp_ngt_f32_e32 vcc_lo, 0xc2ce8ed0, v3
	s_delay_alu instid0(VALU_DEP_2) | instskip(SKIP_1) | instid1(VALU_DEP_1)
	v_add_f32_e32 v5, v0, v1
	v_add_f32_e32 v7, v7, v19
	v_exp_f32_e32 v7, v7
	s_waitcnt_depctr 0xfff
	v_ldexp_f32 v7, v7, v16
	s_delay_alu instid0(VALU_DEP_1) | instskip(SKIP_3) | instid1(VALU_DEP_2)
	v_cndmask_b32_e32 v4, 0, v7, vcc_lo
	v_cmp_nlt_f32_e32 vcc_lo, 0x42b17218, v2
	v_cndmask_b32_e32 v2, 0x7f800000, v6, vcc_lo
	v_cmp_nlt_f32_e32 vcc_lo, 0x42b17218, v3
	v_dual_cndmask_b32 v3, 0x7f800000, v4 :: v_dual_add_f32 v4, v5, v2
	s_delay_alu instid0(VALU_DEP_1)
	v_add_f32_e32 v4, v4, v3
	ds_bpermute_b32 v5, v10, v4
	s_waitcnt lgkmcnt(0)
	v_add_f32_e32 v4, v4, v5
	ds_bpermute_b32 v5, v11, v4
	s_waitcnt lgkmcnt(0)
	;; [unrolled: 3-line block ×3, first 2 shown]
	v_add_f32_e32 v4, v4, v5
	s_delay_alu instid0(VALU_DEP_1) | instskip(SKIP_1) | instid1(VALU_DEP_2)
	v_div_scale_f32 v5, null, v4, v4, 1.0
	v_div_scale_f32 v13, vcc_lo, 1.0, v4, 1.0
	v_rcp_f32_e32 v6, v5
	s_waitcnt_depctr 0xfff
	v_fma_f32 v7, -v5, v6, 1.0
	s_delay_alu instid0(VALU_DEP_1) | instskip(NEXT) | instid1(VALU_DEP_1)
	v_fmac_f32_e32 v6, v7, v6
	v_mul_f32_e32 v7, v13, v6
	s_delay_alu instid0(VALU_DEP_1) | instskip(NEXT) | instid1(VALU_DEP_1)
	v_fma_f32 v14, -v5, v7, v13
	v_fmac_f32_e32 v7, v14, v6
	s_delay_alu instid0(VALU_DEP_1) | instskip(SKIP_1) | instid1(VALU_DEP_2)
	v_fma_f32 v5, -v5, v7, v13
	v_lshlrev_b32_e32 v13, 2, v9
	v_div_fmas_f32 v5, v5, v6, v7
	s_delay_alu instid0(VALU_DEP_1) | instskip(NEXT) | instid1(VALU_DEP_1)
	v_div_fixup_f32 v4, v5, v4, 1.0
	v_mul_f32_e32 v0, v4, v0
	v_mul_f32_e32 v2, v4, v2
	v_mul_f32_e32 v1, v4, v1
	v_mul_f32_e32 v3, v4, v3
	s_delay_alu instid0(VALU_DEP_4) | instskip(SKIP_1) | instid1(VALU_DEP_4)
	v_cmp_class_f32_e64 vcc_lo, v0, 0x1f8
	v_cndmask_b32_e32 v0, 0, v0, vcc_lo
	v_cmp_class_f32_e64 vcc_lo, v1, 0x1f8
	v_cndmask_b32_e32 v1, 0, v1, vcc_lo
	;; [unrolled: 2-line block ×4, first 2 shown]
	s_cbranch_scc1 .LBB55_27
; %bb.4:
	v_lshlrev_b32_e32 v4, 2, v13
	global_load_b128 v[4:7], v4, s[2:3]
	s_waitcnt vmcnt(0)
	v_dual_add_f32 v7, v7, v3 :: v_dual_add_f32 v4, v4, v0
	v_dual_add_f32 v5, v5, v1 :: v_dual_add_f32 v6, v6, v2
	s_cbranch_execnz .LBB55_6
.LBB55_5:
	v_dual_mov_b32 v7, v3 :: v_dual_mov_b32 v6, v2
	v_dual_mov_b32 v5, v1 :: v_dual_mov_b32 v4, v0
.LBB55_6:
	s_load_b128 s[4:7], s[0:1], 0x30
	v_cmp_eq_u32_e64 s2, 0, v9
	s_waitcnt lgkmcnt(0)
	s_bitcmp1_b32 s7, 0
	s_mov_b32 s7, 0
	s_cselect_b32 vcc_lo, -1, 0
	s_cmp_gt_i32 s4, 0
	s_cselect_b32 s3, -1, 0
	s_cmp_lt_i32 s4, 1
	s_cbranch_scc1 .LBB55_28
; %bb.7:
	s_load_b128 s[8:11], s[0:1], 0x20
	v_mul_lo_u32 v15, v8, s4
	v_mov_b32_e32 v14, 0
	v_mov_b32_e32 v16, v8
	s_branch .LBB55_10
.LBB55_8:                               ;   in Loop: Header=BB55_10 Depth=1
	s_or_b32 exec_lo, exec_lo, s1
.LBB55_9:                               ;   in Loop: Header=BB55_10 Depth=1
	v_add_nc_u32_e32 v16, s14, v16
	s_cmp_eq_u32 s4, s7
	s_cbranch_scc1 .LBB55_29
.LBB55_10:                              ; =>This Inner Loop Header: Depth=1
	v_cmp_gt_f32_e64 s0, v5, v4
	s_mov_b32 s17, exec_lo
	s_delay_alu instid0(VALU_DEP_1) | instskip(SKIP_2) | instid1(VALU_DEP_3)
	v_cndmask_b32_e64 v17, v4, v5, s0
	v_cndmask_b32_e64 v18, 0, 1, s0
	v_cndmask_b32_e64 v19, v0, v1, s0
	v_cmp_gt_f32_e64 s1, v6, v17
	s_delay_alu instid0(VALU_DEP_1) | instskip(NEXT) | instid1(VALU_DEP_4)
	v_cndmask_b32_e64 v17, v17, v6, s1
	v_cndmask_b32_e64 v18, v18, 2, s1
	s_waitcnt lgkmcnt(0)
	v_cndmask_b32_e64 v20, v19, v2, s1
	s_delay_alu instid0(VALU_DEP_3) | instskip(NEXT) | instid1(VALU_DEP_1)
	v_cmp_gt_f32_e64 s0, v7, v17
	v_cndmask_b32_e64 v19, v17, v7, s0
	v_cndmask_b32_e64 v17, v18, 3, s0
	s_delay_alu instid0(VALU_DEP_4)
	v_cndmask_b32_e64 v18, v20, v3, s0
	ds_bpermute_b32 v20, v10, v19
	v_or_b32_e32 v17, v13, v17
	ds_bpermute_b32 v22, v10, v18
	ds_bpermute_b32 v21, v10, v17
	s_waitcnt lgkmcnt(0)
	v_cmp_lt_f32_e64 s16, v19, v20
	v_cmpx_nlt_f32_e32 v19, v20
; %bb.11:                               ;   in Loop: Header=BB55_10 Depth=1
	v_cmp_eq_f32_e64 s0, v19, v20
	v_cmp_lt_i32_e64 s1, v21, v17
	s_delay_alu instid0(VALU_DEP_1) | instskip(SKIP_2) | instid1(SALU_CYCLE_1)
	s_and_b32 s0, s0, s1
	s_and_not1_b32 s1, s16, exec_lo
	s_and_b32 s0, s0, exec_lo
	s_or_b32 s16, s1, s0
; %bb.12:                               ;   in Loop: Header=BB55_10 Depth=1
	s_or_b32 exec_lo, exec_lo, s17
	s_and_saveexec_b32 s0, s16
; %bb.13:                               ;   in Loop: Header=BB55_10 Depth=1
	v_dual_mov_b32 v18, v22 :: v_dual_mov_b32 v19, v20
	v_mov_b32_e32 v17, v21
; %bb.14:                               ;   in Loop: Header=BB55_10 Depth=1
	s_or_b32 exec_lo, exec_lo, s0
	ds_bpermute_b32 v21, v11, v19
	ds_bpermute_b32 v22, v11, v18
	;; [unrolled: 1-line block ×3, first 2 shown]
	s_mov_b32 s17, exec_lo
	s_waitcnt lgkmcnt(2)
	v_cmp_lt_f32_e64 s16, v19, v21
	v_cmpx_nlt_f32_e32 v19, v21
	s_cbranch_execz .LBB55_16
; %bb.15:                               ;   in Loop: Header=BB55_10 Depth=1
	v_cmp_eq_f32_e64 s0, v19, v21
	s_waitcnt lgkmcnt(0)
	v_cmp_lt_i32_e64 s1, v20, v17
	s_delay_alu instid0(VALU_DEP_1) | instskip(SKIP_2) | instid1(SALU_CYCLE_1)
	s_and_b32 s0, s0, s1
	s_and_not1_b32 s1, s16, exec_lo
	s_and_b32 s0, s0, exec_lo
	s_or_b32 s16, s1, s0
.LBB55_16:                              ;   in Loop: Header=BB55_10 Depth=1
	s_or_b32 exec_lo, exec_lo, s17
	s_delay_alu instid0(VALU_DEP_2)
	s_and_saveexec_b32 s0, s16
	s_cbranch_execz .LBB55_18
; %bb.17:                               ;   in Loop: Header=BB55_10 Depth=1
	s_waitcnt lgkmcnt(1)
	v_dual_mov_b32 v18, v22 :: v_dual_mov_b32 v19, v21
	s_waitcnt lgkmcnt(0)
	v_mov_b32_e32 v17, v20
.LBB55_18:                              ;   in Loop: Header=BB55_10 Depth=1
	s_or_b32 exec_lo, exec_lo, s0
	s_waitcnt lgkmcnt(1)
	ds_bpermute_b32 v22, v12, v19
	ds_bpermute_b32 v21, v12, v18
	s_waitcnt lgkmcnt(2)
	ds_bpermute_b32 v20, v12, v17
	s_mov_b32 s17, exec_lo
	s_waitcnt lgkmcnt(2)
	v_cmp_lt_f32_e64 s16, v19, v22
	v_cmpx_nlt_f32_e32 v19, v22
	s_cbranch_execnz .LBB55_22
; %bb.19:                               ;   in Loop: Header=BB55_10 Depth=1
	s_or_b32 exec_lo, exec_lo, s17
	s_delay_alu instid0(VALU_DEP_2)
	s_and_saveexec_b32 s0, s16
	s_cbranch_execnz .LBB55_23
.LBB55_20:                              ;   in Loop: Header=BB55_10 Depth=1
	s_or_b32 exec_lo, exec_lo, s0
	s_and_saveexec_b32 s16, s2
	s_cbranch_execnz .LBB55_24
.LBB55_21:                              ;   in Loop: Header=BB55_10 Depth=1
	s_or_b32 exec_lo, exec_lo, s16
	s_add_i32 s7, s7, 1
	s_delay_alu instid0(SALU_CYCLE_1)
	s_cmp_ge_i32 s7, s4
	s_cbranch_scc1 .LBB55_9
	s_branch .LBB55_25
.LBB55_22:                              ;   in Loop: Header=BB55_10 Depth=1
	v_cmp_eq_f32_e64 s0, v19, v22
	s_waitcnt lgkmcnt(0)
	v_cmp_lt_i32_e64 s1, v20, v17
	s_delay_alu instid0(VALU_DEP_1) | instskip(SKIP_2) | instid1(SALU_CYCLE_1)
	s_and_b32 s0, s0, s1
	s_and_not1_b32 s1, s16, exec_lo
	s_and_b32 s0, s0, exec_lo
	s_or_b32 s16, s1, s0
	s_or_b32 exec_lo, exec_lo, s17
	s_and_saveexec_b32 s0, s16
	s_cbranch_execz .LBB55_20
.LBB55_23:                              ;   in Loop: Header=BB55_10 Depth=1
	s_waitcnt lgkmcnt(0)
	v_dual_mov_b32 v18, v21 :: v_dual_mov_b32 v17, v20
	s_or_b32 exec_lo, exec_lo, s0
	s_and_saveexec_b32 s16, s2
	s_cbranch_execz .LBB55_21
.LBB55_24:                              ;   in Loop: Header=BB55_10 Depth=1
	v_add_nc_u32_e32 v19, s7, v15
	v_subrev_nc_u32_e32 v23, s5, v17
	v_cmp_le_i32_e64 s0, s5, v17
	v_cmp_gt_i32_e64 s1, s6, v17
	v_add_f32_e32 v27, v14, v18
	s_waitcnt lgkmcnt(0)
	v_ashrrev_i32_e32 v20, 31, v19
	v_ashrrev_i32_e32 v24, 31, v23
	s_and_b32 s0, s0, s1
	v_cndmask_b32_e32 v14, v14, v27, vcc_lo
	s_delay_alu instid0(VALU_DEP_3) | instskip(SKIP_2) | instid1(SALU_CYCLE_1)
	v_lshlrev_b64 v[21:22], 2, v[19:20]
	v_lshlrev_b64 v[19:20], 3, v[19:20]
	s_and_b32 s0, s15, s0
	v_cndmask_b32_e64 v24, 0, v24, s0
	v_cndmask_b32_e64 v23, 32, v23, s0
	s_delay_alu instid0(VALU_DEP_4) | instskip(NEXT) | instid1(VALU_DEP_1)
	v_add_co_u32 v25, s0, s12, v21
	v_add_co_ci_u32_e64 v26, s0, s13, v22, s0
	v_add_co_u32 v19, s0, s8, v19
	s_delay_alu instid0(VALU_DEP_1) | instskip(SKIP_1) | instid1(VALU_DEP_1)
	v_add_co_ci_u32_e64 v20, s0, s9, v20, s0
	v_add_co_u32 v21, s0, s10, v21
	v_add_co_ci_u32_e64 v22, s0, s11, v22, s0
	global_store_b32 v[25:26], v18, off
	global_store_b64 v[19:20], v[23:24], off
	global_store_b32 v[21:22], v16, off
	s_or_b32 exec_lo, exec_lo, s16
	s_add_i32 s7, s7, 1
	s_delay_alu instid0(SALU_CYCLE_1)
	s_cmp_ge_i32 s7, s4
	s_cbranch_scc1 .LBB55_9
.LBB55_25:                              ;   in Loop: Header=BB55_10 Depth=1
	v_ashrrev_i32_e32 v19, 31, v17
	s_mov_b32 s1, exec_lo
	s_delay_alu instid0(VALU_DEP_1) | instskip(NEXT) | instid1(VALU_DEP_1)
	v_lshrrev_b32_e32 v18, 30, v19
	v_add_nc_u32_e32 v18, v17, v18
	s_delay_alu instid0(VALU_DEP_1) | instskip(SKIP_1) | instid1(VALU_DEP_1)
	v_ashrrev_i32_e32 v18, 2, v18
	s_waitcnt lgkmcnt(0)
	v_lshrrev_b32_e32 v20, 29, v18
	s_delay_alu instid0(VALU_DEP_1) | instskip(NEXT) | instid1(VALU_DEP_1)
	v_add_nc_u32_e32 v20, v18, v20
	v_and_b32_e32 v20, -8, v20
	s_delay_alu instid0(VALU_DEP_1) | instskip(NEXT) | instid1(VALU_DEP_1)
	v_sub_nc_u32_e32 v20, v18, v20
	v_cmpx_eq_u32_e64 v9, v20
	s_cbranch_execz .LBB55_8
; %bb.26:                               ;   in Loop: Header=BB55_10 Depth=1
	v_lshrrev_b32_e32 v19, 27, v19
	v_lshlrev_b32_e32 v18, 2, v18
	s_delay_alu instid0(VALU_DEP_2) | instskip(NEXT) | instid1(VALU_DEP_2)
	v_add_nc_u32_e32 v19, v17, v19
	v_sub_nc_u32_e32 v17, v17, v18
	s_delay_alu instid0(VALU_DEP_2) | instskip(NEXT) | instid1(VALU_DEP_1)
	v_ashrrev_i32_e32 v18, 5, v19
	v_lshl_add_u32 v17, v18, 2, v17
	s_delay_alu instid0(VALU_DEP_1) | instskip(NEXT) | instid1(VALU_DEP_1)
	v_cmp_ne_u32_e64 s0, 3, v17
	v_cndmask_b32_e64 v7, 0xc61c4000, v7, s0
	v_cmp_ne_u32_e64 s0, 2, v17
	s_delay_alu instid0(VALU_DEP_1) | instskip(SKIP_1) | instid1(VALU_DEP_1)
	v_cndmask_b32_e64 v6, 0xc61c4000, v6, s0
	v_cmp_ne_u32_e64 s0, 1, v17
	v_cndmask_b32_e64 v5, 0xc61c4000, v5, s0
	v_cmp_ne_u32_e64 s0, 0, v17
	s_delay_alu instid0(VALU_DEP_1)
	v_cndmask_b32_e64 v4, 0xc61c4000, v4, s0
	s_branch .LBB55_8
.LBB55_27:
                                        ; implicit-def: $vgpr4_vgpr5_vgpr6_vgpr7
	s_and_not1_b32 vcc_lo, exec_lo, s8
	s_cbranch_vccz .LBB55_5
	s_branch .LBB55_6
.LBB55_28:
	v_mov_b32_e32 v14, 0
.LBB55_29:
	v_cmp_eq_u32_e64 s0, 0, v9
	s_delay_alu instid0(VALU_DEP_1) | instskip(NEXT) | instid1(SALU_CYCLE_1)
	s_and_b32 s0, s0, vcc_lo
	s_and_b32 exec_lo, exec_lo, s0
	s_cbranch_execz .LBB55_33
; %bb.30:
	s_and_not1_b32 vcc_lo, exec_lo, s3
	s_cbranch_vccnz .LBB55_33
; %bb.31:
	v_mul_lo_u32 v0, v8, s4
	v_cmp_lt_f32_e32 vcc_lo, 0, v14
	v_cndmask_b32_e32 v2, 1.0, v14, vcc_lo
	s_delay_alu instid0(VALU_DEP_3) | instskip(NEXT) | instid1(VALU_DEP_1)
	v_ashrrev_i32_e32 v1, 31, v0
	v_lshlrev_b64 v[0:1], 2, v[0:1]
	s_delay_alu instid0(VALU_DEP_1) | instskip(NEXT) | instid1(VALU_DEP_2)
	v_add_co_u32 v0, vcc_lo, s12, v0
	v_add_co_ci_u32_e32 v1, vcc_lo, s13, v1, vcc_lo
	.p2align	6
.LBB55_32:                              ; =>This Inner Loop Header: Depth=1
	global_load_b32 v3, v[0:1], off
	s_add_i32 s4, s4, -1
	s_delay_alu instid0(SALU_CYCLE_1) | instskip(SKIP_3) | instid1(VALU_DEP_2)
	s_cmp_lg_u32 s4, 0
	s_waitcnt vmcnt(0)
	v_div_scale_f32 v4, null, v2, v2, v3
	v_div_scale_f32 v7, vcc_lo, v3, v2, v3
	v_rcp_f32_e32 v5, v4
	s_waitcnt_depctr 0xfff
	v_fma_f32 v6, -v4, v5, 1.0
	s_delay_alu instid0(VALU_DEP_1) | instskip(NEXT) | instid1(VALU_DEP_1)
	v_fmac_f32_e32 v5, v6, v5
	v_mul_f32_e32 v6, v7, v5
	s_delay_alu instid0(VALU_DEP_1) | instskip(NEXT) | instid1(VALU_DEP_1)
	v_fma_f32 v8, -v4, v6, v7
	v_fmac_f32_e32 v6, v8, v5
	s_delay_alu instid0(VALU_DEP_1) | instskip(NEXT) | instid1(VALU_DEP_1)
	v_fma_f32 v4, -v4, v6, v7
	v_div_fmas_f32 v4, v4, v5, v6
	s_delay_alu instid0(VALU_DEP_1)
	v_div_fixup_f32 v3, v4, v2, v3
	global_store_b32 v[0:1], v3, off
	v_add_co_u32 v0, vcc_lo, v0, 4
	v_add_co_ci_u32_e32 v1, vcc_lo, 0, v1, vcc_lo
	s_cbranch_scc1 .LBB55_32
.LBB55_33:
	s_nop 0
	s_sendmsg sendmsg(MSG_DEALLOC_VGPRS)
	s_endpgm
	.section	.rodata,"a",@progbits
	.p2align	6, 0x0
	.amdhsa_kernel _ZN4vllm3moe10topkGatingILi4ELi32ELi4ELi16ELi64ElfLNS0_11ScoringFuncE0EEEvPKT5_PKbPfiPT4_PiiiibPKf
		.amdhsa_group_segment_fixed_size 0
		.amdhsa_private_segment_fixed_size 0
		.amdhsa_kernarg_size 72
		.amdhsa_user_sgpr_count 15
		.amdhsa_user_sgpr_dispatch_ptr 0
		.amdhsa_user_sgpr_queue_ptr 0
		.amdhsa_user_sgpr_kernarg_segment_ptr 1
		.amdhsa_user_sgpr_dispatch_id 0
		.amdhsa_user_sgpr_private_segment_size 0
		.amdhsa_wavefront_size32 1
		.amdhsa_uses_dynamic_stack 0
		.amdhsa_enable_private_segment 0
		.amdhsa_system_sgpr_workgroup_id_x 1
		.amdhsa_system_sgpr_workgroup_id_y 0
		.amdhsa_system_sgpr_workgroup_id_z 0
		.amdhsa_system_sgpr_workgroup_info 0
		.amdhsa_system_vgpr_workitem_id 1
		.amdhsa_next_free_vgpr 28
		.amdhsa_next_free_sgpr 18
		.amdhsa_reserve_vcc 1
		.amdhsa_float_round_mode_32 0
		.amdhsa_float_round_mode_16_64 0
		.amdhsa_float_denorm_mode_32 3
		.amdhsa_float_denorm_mode_16_64 3
		.amdhsa_dx10_clamp 1
		.amdhsa_ieee_mode 1
		.amdhsa_fp16_overflow 0
		.amdhsa_workgroup_processor_mode 1
		.amdhsa_memory_ordered 1
		.amdhsa_forward_progress 0
		.amdhsa_shared_vgpr_count 0
		.amdhsa_exception_fp_ieee_invalid_op 0
		.amdhsa_exception_fp_denorm_src 0
		.amdhsa_exception_fp_ieee_div_zero 0
		.amdhsa_exception_fp_ieee_overflow 0
		.amdhsa_exception_fp_ieee_underflow 0
		.amdhsa_exception_fp_ieee_inexact 0
		.amdhsa_exception_int_div_zero 0
	.end_amdhsa_kernel
	.section	.text._ZN4vllm3moe10topkGatingILi4ELi32ELi4ELi16ELi64ElfLNS0_11ScoringFuncE0EEEvPKT5_PKbPfiPT4_PiiiibPKf,"axG",@progbits,_ZN4vllm3moe10topkGatingILi4ELi32ELi4ELi16ELi64ElfLNS0_11ScoringFuncE0EEEvPKT5_PKbPfiPT4_PiiiibPKf,comdat
.Lfunc_end55:
	.size	_ZN4vllm3moe10topkGatingILi4ELi32ELi4ELi16ELi64ElfLNS0_11ScoringFuncE0EEEvPKT5_PKbPfiPT4_PiiiibPKf, .Lfunc_end55-_ZN4vllm3moe10topkGatingILi4ELi32ELi4ELi16ELi64ElfLNS0_11ScoringFuncE0EEEvPKT5_PKbPfiPT4_PiiiibPKf
                                        ; -- End function
	.section	.AMDGPU.csdata,"",@progbits
; Kernel info:
; codeLenInByte = 2388
; NumSgprs: 20
; NumVgprs: 28
; ScratchSize: 0
; MemoryBound: 0
; FloatMode: 240
; IeeeMode: 1
; LDSByteSize: 0 bytes/workgroup (compile time only)
; SGPRBlocks: 2
; VGPRBlocks: 3
; NumSGPRsForWavesPerEU: 20
; NumVGPRsForWavesPerEU: 28
; Occupancy: 16
; WaveLimiterHint : 0
; COMPUTE_PGM_RSRC2:SCRATCH_EN: 0
; COMPUTE_PGM_RSRC2:USER_SGPR: 15
; COMPUTE_PGM_RSRC2:TRAP_HANDLER: 0
; COMPUTE_PGM_RSRC2:TGID_X_EN: 1
; COMPUTE_PGM_RSRC2:TGID_Y_EN: 0
; COMPUTE_PGM_RSRC2:TGID_Z_EN: 0
; COMPUTE_PGM_RSRC2:TIDIG_COMP_CNT: 1
	.section	.text._ZN4vllm3moe10topkGatingILi4ELi32ELi4ELi16ELi32ElfLNS0_11ScoringFuncE0EEEvPKT5_PKbPfiPT4_PiiiibPKf,"axG",@progbits,_ZN4vllm3moe10topkGatingILi4ELi32ELi4ELi16ELi32ElfLNS0_11ScoringFuncE0EEEvPKT5_PKbPfiPT4_PiiiibPKf,comdat
	.protected	_ZN4vllm3moe10topkGatingILi4ELi32ELi4ELi16ELi32ElfLNS0_11ScoringFuncE0EEEvPKT5_PKbPfiPT4_PiiiibPKf ; -- Begin function _ZN4vllm3moe10topkGatingILi4ELi32ELi4ELi16ELi32ElfLNS0_11ScoringFuncE0EEEvPKT5_PKbPfiPT4_PiiiibPKf
	.globl	_ZN4vllm3moe10topkGatingILi4ELi32ELi4ELi16ELi32ElfLNS0_11ScoringFuncE0EEEvPKT5_PKbPfiPT4_PiiiibPKf
	.p2align	8
	.type	_ZN4vllm3moe10topkGatingILi4ELi32ELi4ELi16ELi32ElfLNS0_11ScoringFuncE0EEEvPKT5_PKbPfiPT4_PiiiibPKf,@function
_ZN4vllm3moe10topkGatingILi4ELi32ELi4ELi16ELi32ElfLNS0_11ScoringFuncE0EEEvPKT5_PKbPfiPT4_PiiiibPKf: ; @_ZN4vllm3moe10topkGatingILi4ELi32ELi4ELi16ELi32ElfLNS0_11ScoringFuncE0EEEvPKT5_PKbPfiPT4_PiiiibPKf
; %bb.0:
	s_load_b32 s14, s[0:1], 0x18
	v_bfe_u32 v1, v0, 10, 10
	v_and_b32_e32 v0, 0x3ff, v0
	s_lshl_b32 s2, s15, 4
	s_delay_alu instid0(VALU_DEP_2) | instskip(NEXT) | instid1(VALU_DEP_2)
	v_lshlrev_b32_e32 v1, 2, v1
	v_lshrrev_b32_e32 v2, 3, v0
	s_delay_alu instid0(VALU_DEP_1) | instskip(SKIP_2) | instid1(VALU_DEP_1)
	v_add3_u32 v8, s2, v1, v2
	s_mov_b32 s2, exec_lo
	s_waitcnt lgkmcnt(0)
	v_cmpx_gt_i32_e64 s14, v8
	s_cbranch_execz .LBB56_33
; %bb.1:
	s_clause 0x1
	s_load_b128 s[4:7], s[0:1], 0x0
	s_load_b64 s[12:13], s[0:1], 0x10
	s_mov_b32 s8, -1
	s_mov_b32 s15, -1
	s_waitcnt lgkmcnt(0)
	s_cmp_eq_u64 s[6:7], 0
	s_cbranch_scc1 .LBB56_3
; %bb.2:
	v_ashrrev_i32_e32 v2, 31, v8
	v_add_co_u32 v1, vcc_lo, s6, v8
	s_delay_alu instid0(VALU_DEP_2) | instskip(SKIP_3) | instid1(VALU_DEP_1)
	v_add_co_ci_u32_e32 v2, vcc_lo, s7, v2, vcc_lo
	global_load_u8 v1, v[1:2], off
	s_waitcnt vmcnt(0)
	v_and_b32_e32 v1, 1, v1
	v_cmp_eq_u32_e32 vcc_lo, 1, v1
	s_xor_b32 s2, vcc_lo, -1
	s_delay_alu instid0(SALU_CYCLE_1)
	s_or_not1_b32 s15, s2, exec_lo
.LBB56_3:
	v_mbcnt_lo_u32_b32 v4, -1, 0
	v_and_b32_e32 v9, 7, v0
	s_load_b64 s[2:3], s[0:1], 0x40
	s_delay_alu instid0(VALU_DEP_2) | instskip(SKIP_4) | instid1(VALU_DEP_4)
	v_xor_b32_e32 v6, 4, v4
	v_lshlrev_b32_e32 v1, 5, v8
	v_and_b32_e32 v5, 24, v4
	v_xor_b32_e32 v11, 2, v4
	v_xor_b32_e32 v12, 1, v4
	v_ashrrev_i32_e32 v2, 31, v1
	s_delay_alu instid0(VALU_DEP_1) | instskip(SKIP_3) | instid1(VALU_DEP_2)
	v_lshlrev_b64 v[0:1], 2, v[1:2]
	v_lshlrev_b32_e32 v2, 4, v9
	s_waitcnt lgkmcnt(0)
	s_cmp_eq_u64 s[2:3], 0
	v_add_co_u32 v0, vcc_lo, s4, v0
	s_delay_alu instid0(VALU_DEP_3) | instskip(NEXT) | instid1(VALU_DEP_2)
	v_add_co_ci_u32_e32 v1, vcc_lo, s5, v1, vcc_lo
	v_add_co_u32 v0, vcc_lo, v0, v2
	s_delay_alu instid0(VALU_DEP_2) | instskip(SKIP_3) | instid1(VALU_DEP_1)
	v_add_co_ci_u32_e32 v1, vcc_lo, 0, v1, vcc_lo
	global_load_b128 v[0:3], v[0:1], off
	s_waitcnt vmcnt(0)
	v_dual_max_f32 v10, v0, v0 :: v_dual_add_nc_u32 v5, 8, v5
	v_cmp_lt_i32_e32 vcc_lo, v6, v5
	v_dual_cndmask_b32 v6, v4, v6 :: v_dual_max_f32 v7, v1, v1
	v_cmp_lt_i32_e32 vcc_lo, v11, v5
	s_delay_alu instid0(VALU_DEP_2) | instskip(SKIP_2) | instid1(VALU_DEP_3)
	v_dual_max_f32 v7, v10, v7 :: v_dual_lshlrev_b32 v10, 2, v6
	v_cndmask_b32_e32 v11, v4, v11, vcc_lo
	v_cmp_lt_i32_e32 vcc_lo, v12, v5
	v_max3_f32 v6, v7, v2, v3
	v_cndmask_b32_e32 v4, v4, v12, vcc_lo
	ds_bpermute_b32 v7, v10, v6
	s_waitcnt lgkmcnt(0)
	v_dual_max_f32 v7, v7, v7 :: v_dual_lshlrev_b32 v12, 2, v4
	s_delay_alu instid0(VALU_DEP_1) | instskip(SKIP_4) | instid1(VALU_DEP_1)
	v_max_f32_e32 v6, v6, v7
	v_lshlrev_b32_e32 v11, 2, v11
	ds_bpermute_b32 v7, v11, v6
	s_waitcnt lgkmcnt(0)
	v_max_f32_e32 v5, v7, v7
	v_max_f32_e32 v4, v6, v5
	ds_bpermute_b32 v5, v12, v4
	s_waitcnt lgkmcnt(0)
	v_max_f32_e32 v5, v5, v5
	s_delay_alu instid0(VALU_DEP_1) | instskip(NEXT) | instid1(VALU_DEP_1)
	v_max_f32_e32 v4, v4, v5
	v_sub_f32_e32 v3, v3, v4
	s_delay_alu instid0(VALU_DEP_1) | instskip(SKIP_2) | instid1(VALU_DEP_3)
	v_dual_mul_f32 v7, 0x3fb8aa3b, v3 :: v_dual_sub_f32 v0, v0, v4
	v_sub_f32_e32 v1, v1, v4
	v_sub_f32_e32 v2, v2, v4
	v_rndne_f32_e32 v20, v7
	s_delay_alu instid0(VALU_DEP_4) | instskip(SKIP_1) | instid1(VALU_DEP_4)
	v_mul_f32_e32 v4, 0x3fb8aa3b, v0
	v_cmp_ngt_f32_e32 vcc_lo, 0xc2ce8ed0, v0
	v_mul_f32_e32 v6, 0x3fb8aa3b, v2
	s_delay_alu instid0(VALU_DEP_3) | instskip(SKIP_1) | instid1(VALU_DEP_3)
	v_rndne_f32_e32 v14, v4
	v_fma_f32 v13, 0x3fb8aa3b, v0, -v4
	v_fma_f32 v17, 0x3fb8aa3b, v2, -v6
	v_rndne_f32_e32 v18, v6
	s_delay_alu instid0(VALU_DEP_4) | instskip(NEXT) | instid1(VALU_DEP_3)
	v_dual_sub_f32 v4, v4, v14 :: v_dual_mul_f32 v5, 0x3fb8aa3b, v1
	v_fmac_f32_e32 v17, 0x32a5705f, v2
	s_delay_alu instid0(VALU_DEP_3) | instskip(SKIP_1) | instid1(VALU_DEP_4)
	v_dual_sub_f32 v6, v6, v18 :: v_dual_fmac_f32 v13, 0x32a5705f, v0
	v_fma_f32 v19, 0x3fb8aa3b, v3, -v7
	v_rndne_f32_e32 v16, v5
	v_fma_f32 v15, 0x3fb8aa3b, v1, -v5
	s_delay_alu instid0(VALU_DEP_4)
	v_add_f32_e32 v6, v6, v17
	v_add_f32_e32 v4, v4, v13
	v_cvt_i32_f32_e32 v13, v14
	v_sub_f32_e32 v5, v5, v16
	v_cvt_i32_f32_e32 v14, v16
	v_exp_f32_e32 v6, v6
	v_exp_f32_e32 v4, v4
	v_cvt_i32_f32_e32 v16, v20
	s_waitcnt_depctr 0xfff
	v_ldexp_f32 v4, v4, v13
	s_delay_alu instid0(VALU_DEP_1) | instskip(NEXT) | instid1(VALU_DEP_1)
	v_dual_fmac_f32 v15, 0x32a5705f, v1 :: v_dual_cndmask_b32 v4, 0, v4
	v_add_f32_e32 v5, v5, v15
	v_cvt_i32_f32_e32 v15, v18
	v_cmp_ngt_f32_e32 vcc_lo, 0xc2ce8ed0, v1
	s_delay_alu instid0(VALU_DEP_3) | instskip(NEXT) | instid1(VALU_DEP_2)
	v_exp_f32_e32 v5, v5
	v_ldexp_f32 v6, v6, v15
	s_waitcnt_depctr 0xfff
	v_ldexp_f32 v5, v5, v14
	s_delay_alu instid0(VALU_DEP_1)
	v_cndmask_b32_e32 v5, 0, v5, vcc_lo
	v_cmp_ngt_f32_e32 vcc_lo, 0xc2ce8ed0, v2
	v_dual_fmac_f32 v19, 0x32a5705f, v3 :: v_dual_cndmask_b32 v6, 0, v6
	v_cmp_nlt_f32_e32 vcc_lo, 0x42b17218, v0
	v_sub_f32_e32 v7, v7, v20
	v_cndmask_b32_e32 v0, 0x7f800000, v4, vcc_lo
	v_cmp_nlt_f32_e32 vcc_lo, 0x42b17218, v1
	v_cndmask_b32_e32 v1, 0x7f800000, v5, vcc_lo
	v_cmp_ngt_f32_e32 vcc_lo, 0xc2ce8ed0, v3
	s_delay_alu instid0(VALU_DEP_2) | instskip(SKIP_1) | instid1(VALU_DEP_1)
	v_add_f32_e32 v5, v0, v1
	v_add_f32_e32 v7, v7, v19
	v_exp_f32_e32 v7, v7
	s_waitcnt_depctr 0xfff
	v_ldexp_f32 v7, v7, v16
	s_delay_alu instid0(VALU_DEP_1) | instskip(SKIP_3) | instid1(VALU_DEP_2)
	v_cndmask_b32_e32 v4, 0, v7, vcc_lo
	v_cmp_nlt_f32_e32 vcc_lo, 0x42b17218, v2
	v_cndmask_b32_e32 v2, 0x7f800000, v6, vcc_lo
	v_cmp_nlt_f32_e32 vcc_lo, 0x42b17218, v3
	v_dual_cndmask_b32 v3, 0x7f800000, v4 :: v_dual_add_f32 v4, v5, v2
	s_delay_alu instid0(VALU_DEP_1)
	v_add_f32_e32 v4, v4, v3
	ds_bpermute_b32 v5, v10, v4
	s_waitcnt lgkmcnt(0)
	v_add_f32_e32 v4, v4, v5
	ds_bpermute_b32 v5, v11, v4
	s_waitcnt lgkmcnt(0)
	;; [unrolled: 3-line block ×3, first 2 shown]
	v_add_f32_e32 v4, v4, v5
	s_delay_alu instid0(VALU_DEP_1) | instskip(SKIP_1) | instid1(VALU_DEP_2)
	v_div_scale_f32 v5, null, v4, v4, 1.0
	v_div_scale_f32 v13, vcc_lo, 1.0, v4, 1.0
	v_rcp_f32_e32 v6, v5
	s_waitcnt_depctr 0xfff
	v_fma_f32 v7, -v5, v6, 1.0
	s_delay_alu instid0(VALU_DEP_1) | instskip(NEXT) | instid1(VALU_DEP_1)
	v_fmac_f32_e32 v6, v7, v6
	v_mul_f32_e32 v7, v13, v6
	s_delay_alu instid0(VALU_DEP_1) | instskip(NEXT) | instid1(VALU_DEP_1)
	v_fma_f32 v14, -v5, v7, v13
	v_fmac_f32_e32 v7, v14, v6
	s_delay_alu instid0(VALU_DEP_1) | instskip(SKIP_1) | instid1(VALU_DEP_2)
	v_fma_f32 v5, -v5, v7, v13
	v_lshlrev_b32_e32 v13, 2, v9
	v_div_fmas_f32 v5, v5, v6, v7
	s_delay_alu instid0(VALU_DEP_1) | instskip(NEXT) | instid1(VALU_DEP_1)
	v_div_fixup_f32 v4, v5, v4, 1.0
	v_mul_f32_e32 v0, v4, v0
	v_mul_f32_e32 v2, v4, v2
	;; [unrolled: 1-line block ×4, first 2 shown]
	s_delay_alu instid0(VALU_DEP_4) | instskip(SKIP_1) | instid1(VALU_DEP_4)
	v_cmp_class_f32_e64 vcc_lo, v0, 0x1f8
	v_cndmask_b32_e32 v0, 0, v0, vcc_lo
	v_cmp_class_f32_e64 vcc_lo, v1, 0x1f8
	v_cndmask_b32_e32 v1, 0, v1, vcc_lo
	;; [unrolled: 2-line block ×4, first 2 shown]
	s_cbranch_scc1 .LBB56_27
; %bb.4:
	v_lshlrev_b32_e32 v4, 2, v13
	global_load_b128 v[4:7], v4, s[2:3]
	s_waitcnt vmcnt(0)
	v_dual_add_f32 v7, v7, v3 :: v_dual_add_f32 v4, v4, v0
	v_dual_add_f32 v5, v5, v1 :: v_dual_add_f32 v6, v6, v2
	s_cbranch_execnz .LBB56_6
.LBB56_5:
	v_dual_mov_b32 v7, v3 :: v_dual_mov_b32 v6, v2
	v_dual_mov_b32 v5, v1 :: v_dual_mov_b32 v4, v0
.LBB56_6:
	s_load_b128 s[4:7], s[0:1], 0x30
	v_cmp_eq_u32_e64 s2, 0, v9
	s_waitcnt lgkmcnt(0)
	s_bitcmp1_b32 s7, 0
	s_mov_b32 s7, 0
	s_cselect_b32 vcc_lo, -1, 0
	s_cmp_gt_i32 s4, 0
	s_cselect_b32 s3, -1, 0
	s_cmp_lt_i32 s4, 1
	s_cbranch_scc1 .LBB56_28
; %bb.7:
	s_load_b128 s[8:11], s[0:1], 0x20
	v_mul_lo_u32 v15, v8, s4
	v_mov_b32_e32 v14, 0
	v_mov_b32_e32 v16, v8
	s_branch .LBB56_10
.LBB56_8:                               ;   in Loop: Header=BB56_10 Depth=1
	s_or_b32 exec_lo, exec_lo, s1
.LBB56_9:                               ;   in Loop: Header=BB56_10 Depth=1
	v_add_nc_u32_e32 v16, s14, v16
	s_cmp_eq_u32 s4, s7
	s_cbranch_scc1 .LBB56_29
.LBB56_10:                              ; =>This Inner Loop Header: Depth=1
	v_cmp_gt_f32_e64 s0, v5, v4
	s_mov_b32 s17, exec_lo
	s_delay_alu instid0(VALU_DEP_1) | instskip(SKIP_2) | instid1(VALU_DEP_3)
	v_cndmask_b32_e64 v17, v4, v5, s0
	v_cndmask_b32_e64 v18, 0, 1, s0
	;; [unrolled: 1-line block ×3, first 2 shown]
	v_cmp_gt_f32_e64 s1, v6, v17
	s_delay_alu instid0(VALU_DEP_1) | instskip(NEXT) | instid1(VALU_DEP_4)
	v_cndmask_b32_e64 v17, v17, v6, s1
	v_cndmask_b32_e64 v18, v18, 2, s1
	s_waitcnt lgkmcnt(0)
	v_cndmask_b32_e64 v20, v19, v2, s1
	s_delay_alu instid0(VALU_DEP_3) | instskip(NEXT) | instid1(VALU_DEP_1)
	v_cmp_gt_f32_e64 s0, v7, v17
	v_cndmask_b32_e64 v19, v17, v7, s0
	v_cndmask_b32_e64 v17, v18, 3, s0
	s_delay_alu instid0(VALU_DEP_4)
	v_cndmask_b32_e64 v18, v20, v3, s0
	ds_bpermute_b32 v20, v10, v19
	v_or_b32_e32 v17, v13, v17
	ds_bpermute_b32 v22, v10, v18
	ds_bpermute_b32 v21, v10, v17
	s_waitcnt lgkmcnt(0)
	v_cmp_lt_f32_e64 s16, v19, v20
	v_cmpx_nlt_f32_e32 v19, v20
; %bb.11:                               ;   in Loop: Header=BB56_10 Depth=1
	v_cmp_eq_f32_e64 s0, v19, v20
	v_cmp_lt_i32_e64 s1, v21, v17
	s_delay_alu instid0(VALU_DEP_1) | instskip(SKIP_2) | instid1(SALU_CYCLE_1)
	s_and_b32 s0, s0, s1
	s_and_not1_b32 s1, s16, exec_lo
	s_and_b32 s0, s0, exec_lo
	s_or_b32 s16, s1, s0
; %bb.12:                               ;   in Loop: Header=BB56_10 Depth=1
	s_or_b32 exec_lo, exec_lo, s17
	s_and_saveexec_b32 s0, s16
; %bb.13:                               ;   in Loop: Header=BB56_10 Depth=1
	v_dual_mov_b32 v18, v22 :: v_dual_mov_b32 v19, v20
	v_mov_b32_e32 v17, v21
; %bb.14:                               ;   in Loop: Header=BB56_10 Depth=1
	s_or_b32 exec_lo, exec_lo, s0
	ds_bpermute_b32 v21, v11, v19
	ds_bpermute_b32 v22, v11, v18
	;; [unrolled: 1-line block ×3, first 2 shown]
	s_mov_b32 s17, exec_lo
	s_waitcnt lgkmcnt(2)
	v_cmp_lt_f32_e64 s16, v19, v21
	v_cmpx_nlt_f32_e32 v19, v21
	s_cbranch_execz .LBB56_16
; %bb.15:                               ;   in Loop: Header=BB56_10 Depth=1
	v_cmp_eq_f32_e64 s0, v19, v21
	s_waitcnt lgkmcnt(0)
	v_cmp_lt_i32_e64 s1, v20, v17
	s_delay_alu instid0(VALU_DEP_1) | instskip(SKIP_2) | instid1(SALU_CYCLE_1)
	s_and_b32 s0, s0, s1
	s_and_not1_b32 s1, s16, exec_lo
	s_and_b32 s0, s0, exec_lo
	s_or_b32 s16, s1, s0
.LBB56_16:                              ;   in Loop: Header=BB56_10 Depth=1
	s_or_b32 exec_lo, exec_lo, s17
	s_delay_alu instid0(VALU_DEP_2)
	s_and_saveexec_b32 s0, s16
	s_cbranch_execz .LBB56_18
; %bb.17:                               ;   in Loop: Header=BB56_10 Depth=1
	s_waitcnt lgkmcnt(1)
	v_dual_mov_b32 v18, v22 :: v_dual_mov_b32 v19, v21
	s_waitcnt lgkmcnt(0)
	v_mov_b32_e32 v17, v20
.LBB56_18:                              ;   in Loop: Header=BB56_10 Depth=1
	s_or_b32 exec_lo, exec_lo, s0
	s_waitcnt lgkmcnt(1)
	ds_bpermute_b32 v22, v12, v19
	ds_bpermute_b32 v21, v12, v18
	s_waitcnt lgkmcnt(2)
	ds_bpermute_b32 v20, v12, v17
	s_mov_b32 s17, exec_lo
	s_waitcnt lgkmcnt(2)
	v_cmp_lt_f32_e64 s16, v19, v22
	v_cmpx_nlt_f32_e32 v19, v22
	s_cbranch_execnz .LBB56_22
; %bb.19:                               ;   in Loop: Header=BB56_10 Depth=1
	s_or_b32 exec_lo, exec_lo, s17
	s_delay_alu instid0(VALU_DEP_2)
	s_and_saveexec_b32 s0, s16
	s_cbranch_execnz .LBB56_23
.LBB56_20:                              ;   in Loop: Header=BB56_10 Depth=1
	s_or_b32 exec_lo, exec_lo, s0
	s_and_saveexec_b32 s16, s2
	s_cbranch_execnz .LBB56_24
.LBB56_21:                              ;   in Loop: Header=BB56_10 Depth=1
	s_or_b32 exec_lo, exec_lo, s16
	s_add_i32 s7, s7, 1
	s_delay_alu instid0(SALU_CYCLE_1)
	s_cmp_ge_i32 s7, s4
	s_cbranch_scc1 .LBB56_9
	s_branch .LBB56_25
.LBB56_22:                              ;   in Loop: Header=BB56_10 Depth=1
	v_cmp_eq_f32_e64 s0, v19, v22
	s_waitcnt lgkmcnt(0)
	v_cmp_lt_i32_e64 s1, v20, v17
	s_delay_alu instid0(VALU_DEP_1) | instskip(SKIP_2) | instid1(SALU_CYCLE_1)
	s_and_b32 s0, s0, s1
	s_and_not1_b32 s1, s16, exec_lo
	s_and_b32 s0, s0, exec_lo
	s_or_b32 s16, s1, s0
	s_or_b32 exec_lo, exec_lo, s17
	s_and_saveexec_b32 s0, s16
	s_cbranch_execz .LBB56_20
.LBB56_23:                              ;   in Loop: Header=BB56_10 Depth=1
	s_waitcnt lgkmcnt(0)
	v_dual_mov_b32 v18, v21 :: v_dual_mov_b32 v17, v20
	s_or_b32 exec_lo, exec_lo, s0
	s_and_saveexec_b32 s16, s2
	s_cbranch_execz .LBB56_21
.LBB56_24:                              ;   in Loop: Header=BB56_10 Depth=1
	v_add_nc_u32_e32 v19, s7, v15
	v_subrev_nc_u32_e32 v23, s5, v17
	v_cmp_le_i32_e64 s0, s5, v17
	v_cmp_gt_i32_e64 s1, s6, v17
	v_add_f32_e32 v27, v14, v18
	s_waitcnt lgkmcnt(0)
	v_ashrrev_i32_e32 v20, 31, v19
	v_ashrrev_i32_e32 v24, 31, v23
	s_and_b32 s0, s0, s1
	v_cndmask_b32_e32 v14, v14, v27, vcc_lo
	s_delay_alu instid0(VALU_DEP_3) | instskip(SKIP_2) | instid1(SALU_CYCLE_1)
	v_lshlrev_b64 v[21:22], 2, v[19:20]
	v_lshlrev_b64 v[19:20], 3, v[19:20]
	s_and_b32 s0, s15, s0
	v_cndmask_b32_e64 v24, 0, v24, s0
	v_cndmask_b32_e64 v23, 32, v23, s0
	s_delay_alu instid0(VALU_DEP_4) | instskip(NEXT) | instid1(VALU_DEP_1)
	v_add_co_u32 v25, s0, s12, v21
	v_add_co_ci_u32_e64 v26, s0, s13, v22, s0
	v_add_co_u32 v19, s0, s8, v19
	s_delay_alu instid0(VALU_DEP_1) | instskip(SKIP_1) | instid1(VALU_DEP_1)
	v_add_co_ci_u32_e64 v20, s0, s9, v20, s0
	v_add_co_u32 v21, s0, s10, v21
	v_add_co_ci_u32_e64 v22, s0, s11, v22, s0
	global_store_b32 v[25:26], v18, off
	global_store_b64 v[19:20], v[23:24], off
	global_store_b32 v[21:22], v16, off
	s_or_b32 exec_lo, exec_lo, s16
	s_add_i32 s7, s7, 1
	s_delay_alu instid0(SALU_CYCLE_1)
	s_cmp_ge_i32 s7, s4
	s_cbranch_scc1 .LBB56_9
.LBB56_25:                              ;   in Loop: Header=BB56_10 Depth=1
	v_ashrrev_i32_e32 v19, 31, v17
	s_mov_b32 s1, exec_lo
	s_delay_alu instid0(VALU_DEP_1) | instskip(NEXT) | instid1(VALU_DEP_1)
	v_lshrrev_b32_e32 v18, 30, v19
	v_add_nc_u32_e32 v18, v17, v18
	s_delay_alu instid0(VALU_DEP_1) | instskip(SKIP_1) | instid1(VALU_DEP_1)
	v_ashrrev_i32_e32 v18, 2, v18
	s_waitcnt lgkmcnt(0)
	v_lshrrev_b32_e32 v20, 29, v18
	s_delay_alu instid0(VALU_DEP_1) | instskip(NEXT) | instid1(VALU_DEP_1)
	v_add_nc_u32_e32 v20, v18, v20
	v_and_b32_e32 v20, -8, v20
	s_delay_alu instid0(VALU_DEP_1) | instskip(NEXT) | instid1(VALU_DEP_1)
	v_sub_nc_u32_e32 v20, v18, v20
	v_cmpx_eq_u32_e64 v9, v20
	s_cbranch_execz .LBB56_8
; %bb.26:                               ;   in Loop: Header=BB56_10 Depth=1
	v_lshrrev_b32_e32 v19, 27, v19
	v_lshlrev_b32_e32 v18, 2, v18
	s_delay_alu instid0(VALU_DEP_2) | instskip(NEXT) | instid1(VALU_DEP_2)
	v_add_nc_u32_e32 v19, v17, v19
	v_sub_nc_u32_e32 v17, v17, v18
	s_delay_alu instid0(VALU_DEP_2) | instskip(NEXT) | instid1(VALU_DEP_1)
	v_ashrrev_i32_e32 v18, 5, v19
	v_lshl_add_u32 v17, v18, 2, v17
	s_delay_alu instid0(VALU_DEP_1) | instskip(NEXT) | instid1(VALU_DEP_1)
	v_cmp_ne_u32_e64 s0, 3, v17
	v_cndmask_b32_e64 v7, 0xc61c4000, v7, s0
	v_cmp_ne_u32_e64 s0, 2, v17
	s_delay_alu instid0(VALU_DEP_1) | instskip(SKIP_1) | instid1(VALU_DEP_1)
	v_cndmask_b32_e64 v6, 0xc61c4000, v6, s0
	v_cmp_ne_u32_e64 s0, 1, v17
	v_cndmask_b32_e64 v5, 0xc61c4000, v5, s0
	v_cmp_ne_u32_e64 s0, 0, v17
	s_delay_alu instid0(VALU_DEP_1)
	v_cndmask_b32_e64 v4, 0xc61c4000, v4, s0
	s_branch .LBB56_8
.LBB56_27:
                                        ; implicit-def: $vgpr4_vgpr5_vgpr6_vgpr7
	s_and_not1_b32 vcc_lo, exec_lo, s8
	s_cbranch_vccz .LBB56_5
	s_branch .LBB56_6
.LBB56_28:
	v_mov_b32_e32 v14, 0
.LBB56_29:
	v_cmp_eq_u32_e64 s0, 0, v9
	s_delay_alu instid0(VALU_DEP_1) | instskip(NEXT) | instid1(SALU_CYCLE_1)
	s_and_b32 s0, s0, vcc_lo
	s_and_b32 exec_lo, exec_lo, s0
	s_cbranch_execz .LBB56_33
; %bb.30:
	s_and_not1_b32 vcc_lo, exec_lo, s3
	s_cbranch_vccnz .LBB56_33
; %bb.31:
	v_mul_lo_u32 v0, v8, s4
	v_cmp_lt_f32_e32 vcc_lo, 0, v14
	v_cndmask_b32_e32 v2, 1.0, v14, vcc_lo
	s_delay_alu instid0(VALU_DEP_3) | instskip(NEXT) | instid1(VALU_DEP_1)
	v_ashrrev_i32_e32 v1, 31, v0
	v_lshlrev_b64 v[0:1], 2, v[0:1]
	s_delay_alu instid0(VALU_DEP_1) | instskip(NEXT) | instid1(VALU_DEP_2)
	v_add_co_u32 v0, vcc_lo, s12, v0
	v_add_co_ci_u32_e32 v1, vcc_lo, s13, v1, vcc_lo
	.p2align	6
.LBB56_32:                              ; =>This Inner Loop Header: Depth=1
	global_load_b32 v3, v[0:1], off
	s_add_i32 s4, s4, -1
	s_delay_alu instid0(SALU_CYCLE_1) | instskip(SKIP_3) | instid1(VALU_DEP_2)
	s_cmp_lg_u32 s4, 0
	s_waitcnt vmcnt(0)
	v_div_scale_f32 v4, null, v2, v2, v3
	v_div_scale_f32 v7, vcc_lo, v3, v2, v3
	v_rcp_f32_e32 v5, v4
	s_waitcnt_depctr 0xfff
	v_fma_f32 v6, -v4, v5, 1.0
	s_delay_alu instid0(VALU_DEP_1) | instskip(NEXT) | instid1(VALU_DEP_1)
	v_fmac_f32_e32 v5, v6, v5
	v_mul_f32_e32 v6, v7, v5
	s_delay_alu instid0(VALU_DEP_1) | instskip(NEXT) | instid1(VALU_DEP_1)
	v_fma_f32 v8, -v4, v6, v7
	v_fmac_f32_e32 v6, v8, v5
	s_delay_alu instid0(VALU_DEP_1) | instskip(NEXT) | instid1(VALU_DEP_1)
	v_fma_f32 v4, -v4, v6, v7
	v_div_fmas_f32 v4, v4, v5, v6
	s_delay_alu instid0(VALU_DEP_1)
	v_div_fixup_f32 v3, v4, v2, v3
	global_store_b32 v[0:1], v3, off
	v_add_co_u32 v0, vcc_lo, v0, 4
	v_add_co_ci_u32_e32 v1, vcc_lo, 0, v1, vcc_lo
	s_cbranch_scc1 .LBB56_32
.LBB56_33:
	s_nop 0
	s_sendmsg sendmsg(MSG_DEALLOC_VGPRS)
	s_endpgm
	.section	.rodata,"a",@progbits
	.p2align	6, 0x0
	.amdhsa_kernel _ZN4vllm3moe10topkGatingILi4ELi32ELi4ELi16ELi32ElfLNS0_11ScoringFuncE0EEEvPKT5_PKbPfiPT4_PiiiibPKf
		.amdhsa_group_segment_fixed_size 0
		.amdhsa_private_segment_fixed_size 0
		.amdhsa_kernarg_size 72
		.amdhsa_user_sgpr_count 15
		.amdhsa_user_sgpr_dispatch_ptr 0
		.amdhsa_user_sgpr_queue_ptr 0
		.amdhsa_user_sgpr_kernarg_segment_ptr 1
		.amdhsa_user_sgpr_dispatch_id 0
		.amdhsa_user_sgpr_private_segment_size 0
		.amdhsa_wavefront_size32 1
		.amdhsa_uses_dynamic_stack 0
		.amdhsa_enable_private_segment 0
		.amdhsa_system_sgpr_workgroup_id_x 1
		.amdhsa_system_sgpr_workgroup_id_y 0
		.amdhsa_system_sgpr_workgroup_id_z 0
		.amdhsa_system_sgpr_workgroup_info 0
		.amdhsa_system_vgpr_workitem_id 1
		.amdhsa_next_free_vgpr 28
		.amdhsa_next_free_sgpr 18
		.amdhsa_reserve_vcc 1
		.amdhsa_float_round_mode_32 0
		.amdhsa_float_round_mode_16_64 0
		.amdhsa_float_denorm_mode_32 3
		.amdhsa_float_denorm_mode_16_64 3
		.amdhsa_dx10_clamp 1
		.amdhsa_ieee_mode 1
		.amdhsa_fp16_overflow 0
		.amdhsa_workgroup_processor_mode 1
		.amdhsa_memory_ordered 1
		.amdhsa_forward_progress 0
		.amdhsa_shared_vgpr_count 0
		.amdhsa_exception_fp_ieee_invalid_op 0
		.amdhsa_exception_fp_denorm_src 0
		.amdhsa_exception_fp_ieee_div_zero 0
		.amdhsa_exception_fp_ieee_overflow 0
		.amdhsa_exception_fp_ieee_underflow 0
		.amdhsa_exception_fp_ieee_inexact 0
		.amdhsa_exception_int_div_zero 0
	.end_amdhsa_kernel
	.section	.text._ZN4vllm3moe10topkGatingILi4ELi32ELi4ELi16ELi32ElfLNS0_11ScoringFuncE0EEEvPKT5_PKbPfiPT4_PiiiibPKf,"axG",@progbits,_ZN4vllm3moe10topkGatingILi4ELi32ELi4ELi16ELi32ElfLNS0_11ScoringFuncE0EEEvPKT5_PKbPfiPT4_PiiiibPKf,comdat
.Lfunc_end56:
	.size	_ZN4vllm3moe10topkGatingILi4ELi32ELi4ELi16ELi32ElfLNS0_11ScoringFuncE0EEEvPKT5_PKbPfiPT4_PiiiibPKf, .Lfunc_end56-_ZN4vllm3moe10topkGatingILi4ELi32ELi4ELi16ELi32ElfLNS0_11ScoringFuncE0EEEvPKT5_PKbPfiPT4_PiiiibPKf
                                        ; -- End function
	.section	.AMDGPU.csdata,"",@progbits
; Kernel info:
; codeLenInByte = 2388
; NumSgprs: 20
; NumVgprs: 28
; ScratchSize: 0
; MemoryBound: 0
; FloatMode: 240
; IeeeMode: 1
; LDSByteSize: 0 bytes/workgroup (compile time only)
; SGPRBlocks: 2
; VGPRBlocks: 3
; NumSGPRsForWavesPerEU: 20
; NumVGPRsForWavesPerEU: 28
; Occupancy: 16
; WaveLimiterHint : 0
; COMPUTE_PGM_RSRC2:SCRATCH_EN: 0
; COMPUTE_PGM_RSRC2:USER_SGPR: 15
; COMPUTE_PGM_RSRC2:TRAP_HANDLER: 0
; COMPUTE_PGM_RSRC2:TGID_X_EN: 1
; COMPUTE_PGM_RSRC2:TGID_Y_EN: 0
; COMPUTE_PGM_RSRC2:TGID_Z_EN: 0
; COMPUTE_PGM_RSRC2:TIDIG_COMP_CNT: 1
	.section	.text._ZN4vllm3moe10topkGatingILi4ELi64ELi4ELi16ELi64ElfLNS0_11ScoringFuncE0EEEvPKT5_PKbPfiPT4_PiiiibPKf,"axG",@progbits,_ZN4vllm3moe10topkGatingILi4ELi64ELi4ELi16ELi64ElfLNS0_11ScoringFuncE0EEEvPKT5_PKbPfiPT4_PiiiibPKf,comdat
	.protected	_ZN4vllm3moe10topkGatingILi4ELi64ELi4ELi16ELi64ElfLNS0_11ScoringFuncE0EEEvPKT5_PKbPfiPT4_PiiiibPKf ; -- Begin function _ZN4vllm3moe10topkGatingILi4ELi64ELi4ELi16ELi64ElfLNS0_11ScoringFuncE0EEEvPKT5_PKbPfiPT4_PiiiibPKf
	.globl	_ZN4vllm3moe10topkGatingILi4ELi64ELi4ELi16ELi64ElfLNS0_11ScoringFuncE0EEEvPKT5_PKbPfiPT4_PiiiibPKf
	.p2align	8
	.type	_ZN4vllm3moe10topkGatingILi4ELi64ELi4ELi16ELi64ElfLNS0_11ScoringFuncE0EEEvPKT5_PKbPfiPT4_PiiiibPKf,@function
_ZN4vllm3moe10topkGatingILi4ELi64ELi4ELi16ELi64ElfLNS0_11ScoringFuncE0EEEvPKT5_PKbPfiPT4_PiiiibPKf: ; @_ZN4vllm3moe10topkGatingILi4ELi64ELi4ELi16ELi64ElfLNS0_11ScoringFuncE0EEEvPKT5_PKbPfiPT4_PiiiibPKf
; %bb.0:
	s_load_b32 s14, s[0:1], 0x18
	v_bfe_u32 v1, v0, 10, 10
	v_and_b32_e32 v0, 0x3ff, v0
	s_lshl_b32 s2, s15, 4
	s_delay_alu instid0(VALU_DEP_2) | instskip(NEXT) | instid1(VALU_DEP_2)
	v_lshlrev_b32_e32 v1, 2, v1
	v_lshrrev_b32_e32 v2, 4, v0
	s_delay_alu instid0(VALU_DEP_1) | instskip(SKIP_2) | instid1(VALU_DEP_1)
	v_add3_u32 v8, s2, v1, v2
	s_mov_b32 s2, exec_lo
	s_waitcnt lgkmcnt(0)
	v_cmpx_gt_i32_e64 s14, v8
	s_cbranch_execz .LBB57_37
; %bb.1:
	s_clause 0x1
	s_load_b128 s[4:7], s[0:1], 0x0
	s_load_b64 s[12:13], s[0:1], 0x10
	s_mov_b32 s8, -1
	s_mov_b32 s15, -1
	s_waitcnt lgkmcnt(0)
	s_cmp_eq_u64 s[6:7], 0
	s_cbranch_scc1 .LBB57_3
; %bb.2:
	v_ashrrev_i32_e32 v2, 31, v8
	v_add_co_u32 v1, vcc_lo, s6, v8
	s_delay_alu instid0(VALU_DEP_2) | instskip(SKIP_3) | instid1(VALU_DEP_1)
	v_add_co_ci_u32_e32 v2, vcc_lo, s7, v2, vcc_lo
	global_load_u8 v1, v[1:2], off
	s_waitcnt vmcnt(0)
	v_and_b32_e32 v1, 1, v1
	v_cmp_eq_u32_e32 vcc_lo, 1, v1
	s_xor_b32 s2, vcc_lo, -1
	s_delay_alu instid0(SALU_CYCLE_1)
	s_or_not1_b32 s15, s2, exec_lo
.LBB57_3:
	v_mbcnt_lo_u32_b32 v4, -1, 0
	v_and_b32_e32 v9, 15, v0
	s_load_b64 s[2:3], s[0:1], 0x40
	s_delay_alu instid0(VALU_DEP_2)
	v_xor_b32_e32 v6, 8, v4
	v_lshlrev_b32_e32 v1, 6, v8
	v_and_b32_e32 v5, 16, v4
	v_xor_b32_e32 v11, 4, v4
	v_xor_b32_e32 v12, 2, v4
	;; [unrolled: 1-line block ×3, first 2 shown]
	v_ashrrev_i32_e32 v2, 31, v1
	s_delay_alu instid0(VALU_DEP_1) | instskip(SKIP_3) | instid1(VALU_DEP_2)
	v_lshlrev_b64 v[0:1], 2, v[1:2]
	v_lshlrev_b32_e32 v2, 4, v9
	s_waitcnt lgkmcnt(0)
	s_cmp_eq_u64 s[2:3], 0
	v_add_co_u32 v0, vcc_lo, s4, v0
	s_delay_alu instid0(VALU_DEP_3) | instskip(NEXT) | instid1(VALU_DEP_2)
	v_add_co_ci_u32_e32 v1, vcc_lo, s5, v1, vcc_lo
	v_add_co_u32 v0, vcc_lo, v0, v2
	s_delay_alu instid0(VALU_DEP_2) | instskip(SKIP_3) | instid1(VALU_DEP_1)
	v_add_co_ci_u32_e32 v1, vcc_lo, 0, v1, vcc_lo
	global_load_b128 v[0:3], v[0:1], off
	s_waitcnt vmcnt(0)
	v_dual_max_f32 v10, v0, v0 :: v_dual_add_nc_u32 v5, 16, v5
	v_cmp_lt_i32_e32 vcc_lo, v6, v5
	v_dual_cndmask_b32 v6, v4, v6 :: v_dual_max_f32 v7, v1, v1
	v_cmp_lt_i32_e32 vcc_lo, v11, v5
	s_delay_alu instid0(VALU_DEP_2) | instskip(SKIP_2) | instid1(VALU_DEP_3)
	v_dual_max_f32 v7, v10, v7 :: v_dual_lshlrev_b32 v10, 2, v6
	v_cndmask_b32_e32 v11, v4, v11, vcc_lo
	v_cmp_lt_i32_e32 vcc_lo, v12, v5
	v_max3_f32 v6, v7, v2, v3
	v_cndmask_b32_e32 v12, v4, v12, vcc_lo
	v_cmp_lt_i32_e32 vcc_lo, v13, v5
	ds_bpermute_b32 v7, v10, v6
	v_lshlrev_b32_e32 v12, 2, v12
	v_dual_cndmask_b32 v4, v4, v13 :: v_dual_lshlrev_b32 v11, 2, v11
	s_delay_alu instid0(VALU_DEP_1) | instskip(SKIP_2) | instid1(VALU_DEP_1)
	v_lshlrev_b32_e32 v13, 2, v4
	s_waitcnt lgkmcnt(0)
	v_max_f32_e32 v7, v7, v7
	v_max_f32_e32 v6, v6, v7
	ds_bpermute_b32 v7, v11, v6
	s_waitcnt lgkmcnt(0)
	v_max_f32_e32 v7, v7, v7
	s_delay_alu instid0(VALU_DEP_1) | instskip(SKIP_3) | instid1(VALU_DEP_1)
	v_max_f32_e32 v6, v6, v7
	ds_bpermute_b32 v7, v12, v6
	s_waitcnt lgkmcnt(0)
	v_max_f32_e32 v5, v7, v7
	v_max_f32_e32 v4, v6, v5
	ds_bpermute_b32 v5, v13, v4
	s_waitcnt lgkmcnt(0)
	v_max_f32_e32 v5, v5, v5
	s_delay_alu instid0(VALU_DEP_1) | instskip(NEXT) | instid1(VALU_DEP_1)
	v_max_f32_e32 v4, v4, v5
	v_sub_f32_e32 v2, v2, v4
	v_sub_f32_e32 v0, v0, v4
	;; [unrolled: 1-line block ×3, first 2 shown]
	s_delay_alu instid0(VALU_DEP_3) | instskip(NEXT) | instid1(VALU_DEP_2)
	v_dual_sub_f32 v3, v3, v4 :: v_dual_mul_f32 v6, 0x3fb8aa3b, v2
	v_dual_mul_f32 v4, 0x3fb8aa3b, v0 :: v_dual_mul_f32 v5, 0x3fb8aa3b, v1
	v_cmp_ngt_f32_e32 vcc_lo, 0xc2ce8ed0, v0
	s_delay_alu instid0(VALU_DEP_3) | instskip(NEXT) | instid1(VALU_DEP_3)
	v_fma_f32 v18, 0x3fb8aa3b, v2, -v6
	v_fma_f32 v14, 0x3fb8aa3b, v0, -v4
	v_rndne_f32_e32 v15, v4
	v_rndne_f32_e32 v17, v5
	v_fma_f32 v16, 0x3fb8aa3b, v1, -v5
	v_rndne_f32_e32 v19, v6
	v_fmac_f32_e32 v14, 0x32a5705f, v0
	s_delay_alu instid0(VALU_DEP_4) | instskip(NEXT) | instid1(VALU_DEP_1)
	v_dual_sub_f32 v4, v4, v15 :: v_dual_sub_f32 v5, v5, v17
	v_dual_mul_f32 v7, 0x3fb8aa3b, v3 :: v_dual_add_f32 v4, v4, v14
	v_cvt_i32_f32_e32 v14, v15
	s_delay_alu instid0(VALU_DEP_2) | instskip(SKIP_4) | instid1(VALU_DEP_3)
	v_fma_f32 v20, 0x3fb8aa3b, v3, -v7
	v_rndne_f32_e32 v21, v7
	v_fmac_f32_e32 v18, 0x32a5705f, v2
	v_exp_f32_e32 v4, v4
	v_cvt_i32_f32_e32 v15, v17
	v_sub_f32_e32 v7, v7, v21
	v_cvt_i32_f32_e32 v17, v21
	s_waitcnt_depctr 0xfff
	v_ldexp_f32 v4, v4, v14
	s_delay_alu instid0(VALU_DEP_1) | instskip(SKIP_2) | instid1(VALU_DEP_1)
	v_cndmask_b32_e32 v4, 0, v4, vcc_lo
	v_cmp_ngt_f32_e32 vcc_lo, 0xc2ce8ed0, v1
	v_fmac_f32_e32 v20, 0x32a5705f, v3
	v_dual_fmac_f32 v16, 0x32a5705f, v1 :: v_dual_add_f32 v7, v7, v20
	s_delay_alu instid0(VALU_DEP_1) | instskip(SKIP_1) | instid1(VALU_DEP_3)
	v_dual_sub_f32 v6, v6, v19 :: v_dual_add_f32 v5, v5, v16
	v_cvt_i32_f32_e32 v16, v19
	v_exp_f32_e32 v7, v7
	s_delay_alu instid0(VALU_DEP_2) | instskip(SKIP_3) | instid1(VALU_DEP_1)
	v_exp_f32_e32 v5, v5
	s_waitcnt_depctr 0xfff
	v_ldexp_f32 v7, v7, v17
	v_ldexp_f32 v5, v5, v15
	v_dual_cndmask_b32 v5, 0, v5 :: v_dual_add_f32 v6, v6, v18
	v_cmp_ngt_f32_e32 vcc_lo, 0xc2ce8ed0, v2
	s_delay_alu instid0(VALU_DEP_2) | instskip(SKIP_2) | instid1(VALU_DEP_1)
	v_exp_f32_e32 v6, v6
	s_waitcnt_depctr 0xfff
	v_ldexp_f32 v6, v6, v16
	v_cndmask_b32_e32 v6, 0, v6, vcc_lo
	v_cmp_nlt_f32_e32 vcc_lo, 0x42b17218, v0
	v_cndmask_b32_e32 v0, 0x7f800000, v4, vcc_lo
	v_cmp_nlt_f32_e32 vcc_lo, 0x42b17218, v1
	v_cndmask_b32_e32 v1, 0x7f800000, v5, vcc_lo
	v_cmp_ngt_f32_e32 vcc_lo, 0xc2ce8ed0, v3
	s_delay_alu instid0(VALU_DEP_2) | instskip(SKIP_3) | instid1(VALU_DEP_2)
	v_dual_add_f32 v5, v0, v1 :: v_dual_cndmask_b32 v4, 0, v7
	v_cmp_nlt_f32_e32 vcc_lo, 0x42b17218, v2
	v_cndmask_b32_e32 v2, 0x7f800000, v6, vcc_lo
	v_cmp_nlt_f32_e32 vcc_lo, 0x42b17218, v3
	v_dual_cndmask_b32 v3, 0x7f800000, v4 :: v_dual_add_f32 v4, v5, v2
	s_delay_alu instid0(VALU_DEP_1)
	v_add_f32_e32 v4, v4, v3
	ds_bpermute_b32 v5, v10, v4
	s_waitcnt lgkmcnt(0)
	v_add_f32_e32 v4, v4, v5
	ds_bpermute_b32 v5, v11, v4
	s_waitcnt lgkmcnt(0)
	;; [unrolled: 3-line block ×4, first 2 shown]
	v_add_f32_e32 v4, v4, v5
	s_delay_alu instid0(VALU_DEP_1) | instskip(SKIP_1) | instid1(VALU_DEP_2)
	v_div_scale_f32 v5, null, v4, v4, 1.0
	v_div_scale_f32 v14, vcc_lo, 1.0, v4, 1.0
	v_rcp_f32_e32 v6, v5
	s_waitcnt_depctr 0xfff
	v_fma_f32 v7, -v5, v6, 1.0
	s_delay_alu instid0(VALU_DEP_1) | instskip(NEXT) | instid1(VALU_DEP_1)
	v_fmac_f32_e32 v6, v7, v6
	v_mul_f32_e32 v7, v14, v6
	s_delay_alu instid0(VALU_DEP_1) | instskip(NEXT) | instid1(VALU_DEP_1)
	v_fma_f32 v15, -v5, v7, v14
	v_fmac_f32_e32 v7, v15, v6
	s_delay_alu instid0(VALU_DEP_1) | instskip(SKIP_1) | instid1(VALU_DEP_2)
	v_fma_f32 v5, -v5, v7, v14
	v_lshlrev_b32_e32 v14, 2, v9
	v_div_fmas_f32 v5, v5, v6, v7
	s_delay_alu instid0(VALU_DEP_1) | instskip(NEXT) | instid1(VALU_DEP_1)
	v_div_fixup_f32 v4, v5, v4, 1.0
	v_mul_f32_e32 v0, v4, v0
	v_mul_f32_e32 v1, v4, v1
	v_mul_f32_e32 v3, v4, v3
	v_mul_f32_e32 v2, v4, v2
	s_delay_alu instid0(VALU_DEP_4)
	v_cmp_class_f32_e64 vcc_lo, v0, 0x1f8
	v_cndmask_b32_e32 v0, 0, v0, vcc_lo
	v_cmp_class_f32_e64 vcc_lo, v1, 0x1f8
	v_cndmask_b32_e32 v1, 0, v1, vcc_lo
	;; [unrolled: 2-line block ×4, first 2 shown]
	s_cbranch_scc1 .LBB57_31
; %bb.4:
	v_lshlrev_b32_e32 v4, 2, v14
	global_load_b128 v[4:7], v4, s[2:3]
	s_waitcnt vmcnt(0)
	v_dual_add_f32 v5, v5, v1 :: v_dual_add_f32 v4, v4, v0
	v_dual_add_f32 v7, v7, v3 :: v_dual_add_f32 v6, v6, v2
	s_cbranch_execnz .LBB57_6
.LBB57_5:
	v_dual_mov_b32 v7, v3 :: v_dual_mov_b32 v6, v2
	v_dual_mov_b32 v5, v1 :: v_dual_mov_b32 v4, v0
.LBB57_6:
	s_load_b128 s[4:7], s[0:1], 0x30
	v_cmp_eq_u32_e64 s2, 0, v9
	s_waitcnt lgkmcnt(0)
	s_bitcmp1_b32 s7, 0
	s_mov_b32 s7, 0
	s_cselect_b32 vcc_lo, -1, 0
	s_cmp_gt_i32 s4, 0
	s_cselect_b32 s3, -1, 0
	s_cmp_lt_i32 s4, 1
	s_cbranch_scc1 .LBB57_32
; %bb.7:
	s_load_b128 s[8:11], s[0:1], 0x20
	v_mul_lo_u32 v16, v8, s4
	v_mov_b32_e32 v15, 0
	v_mov_b32_e32 v17, v8
	s_branch .LBB57_10
.LBB57_8:                               ;   in Loop: Header=BB57_10 Depth=1
	s_or_b32 exec_lo, exec_lo, s1
.LBB57_9:                               ;   in Loop: Header=BB57_10 Depth=1
	v_add_nc_u32_e32 v17, s14, v17
	s_cmp_eq_u32 s4, s7
	s_cbranch_scc1 .LBB57_33
.LBB57_10:                              ; =>This Inner Loop Header: Depth=1
	v_cmp_gt_f32_e64 s0, v5, v4
	s_mov_b32 s17, exec_lo
	s_delay_alu instid0(VALU_DEP_1) | instskip(SKIP_2) | instid1(VALU_DEP_3)
	v_cndmask_b32_e64 v18, v4, v5, s0
	v_cndmask_b32_e64 v19, 0, 1, s0
	;; [unrolled: 1-line block ×3, first 2 shown]
	v_cmp_gt_f32_e64 s1, v6, v18
	s_delay_alu instid0(VALU_DEP_1) | instskip(NEXT) | instid1(VALU_DEP_4)
	v_cndmask_b32_e64 v18, v18, v6, s1
	v_cndmask_b32_e64 v19, v19, 2, s1
	s_waitcnt lgkmcnt(0)
	v_cndmask_b32_e64 v21, v20, v2, s1
	s_delay_alu instid0(VALU_DEP_3) | instskip(NEXT) | instid1(VALU_DEP_1)
	v_cmp_gt_f32_e64 s0, v7, v18
	v_cndmask_b32_e64 v20, v18, v7, s0
	v_cndmask_b32_e64 v18, v19, 3, s0
	s_delay_alu instid0(VALU_DEP_4)
	v_cndmask_b32_e64 v19, v21, v3, s0
	ds_bpermute_b32 v21, v10, v20
	v_or_b32_e32 v18, v14, v18
	ds_bpermute_b32 v23, v10, v19
	ds_bpermute_b32 v22, v10, v18
	s_waitcnt lgkmcnt(0)
	v_cmp_lt_f32_e64 s16, v20, v21
	v_cmpx_nlt_f32_e32 v20, v21
; %bb.11:                               ;   in Loop: Header=BB57_10 Depth=1
	v_cmp_eq_f32_e64 s0, v20, v21
	v_cmp_lt_i32_e64 s1, v22, v18
	s_delay_alu instid0(VALU_DEP_1) | instskip(SKIP_2) | instid1(SALU_CYCLE_1)
	s_and_b32 s0, s0, s1
	s_and_not1_b32 s1, s16, exec_lo
	s_and_b32 s0, s0, exec_lo
	s_or_b32 s16, s1, s0
; %bb.12:                               ;   in Loop: Header=BB57_10 Depth=1
	s_or_b32 exec_lo, exec_lo, s17
	s_and_saveexec_b32 s0, s16
; %bb.13:                               ;   in Loop: Header=BB57_10 Depth=1
	v_dual_mov_b32 v19, v23 :: v_dual_mov_b32 v20, v21
	v_mov_b32_e32 v18, v22
; %bb.14:                               ;   in Loop: Header=BB57_10 Depth=1
	s_or_b32 exec_lo, exec_lo, s0
	ds_bpermute_b32 v22, v11, v20
	ds_bpermute_b32 v23, v11, v19
	;; [unrolled: 1-line block ×3, first 2 shown]
	s_mov_b32 s17, exec_lo
	s_waitcnt lgkmcnt(2)
	v_cmp_lt_f32_e64 s16, v20, v22
	v_cmpx_nlt_f32_e32 v20, v22
	s_cbranch_execz .LBB57_16
; %bb.15:                               ;   in Loop: Header=BB57_10 Depth=1
	v_cmp_eq_f32_e64 s0, v20, v22
	s_waitcnt lgkmcnt(0)
	v_cmp_lt_i32_e64 s1, v21, v18
	s_delay_alu instid0(VALU_DEP_1) | instskip(SKIP_2) | instid1(SALU_CYCLE_1)
	s_and_b32 s0, s0, s1
	s_and_not1_b32 s1, s16, exec_lo
	s_and_b32 s0, s0, exec_lo
	s_or_b32 s16, s1, s0
.LBB57_16:                              ;   in Loop: Header=BB57_10 Depth=1
	s_or_b32 exec_lo, exec_lo, s17
	s_delay_alu instid0(VALU_DEP_2)
	s_and_saveexec_b32 s0, s16
	s_cbranch_execz .LBB57_18
; %bb.17:                               ;   in Loop: Header=BB57_10 Depth=1
	s_waitcnt lgkmcnt(1)
	v_dual_mov_b32 v19, v23 :: v_dual_mov_b32 v20, v22
	s_waitcnt lgkmcnt(0)
	v_mov_b32_e32 v18, v21
.LBB57_18:                              ;   in Loop: Header=BB57_10 Depth=1
	s_or_b32 exec_lo, exec_lo, s0
	ds_bpermute_b32 v22, v12, v20
	s_waitcnt lgkmcnt(2)
	ds_bpermute_b32 v23, v12, v19
	s_waitcnt lgkmcnt(2)
	ds_bpermute_b32 v21, v12, v18
	s_mov_b32 s17, exec_lo
	s_waitcnt lgkmcnt(2)
	v_cmp_lt_f32_e64 s16, v20, v22
	v_cmpx_nlt_f32_e32 v20, v22
	s_cbranch_execz .LBB57_20
; %bb.19:                               ;   in Loop: Header=BB57_10 Depth=1
	v_cmp_eq_f32_e64 s0, v20, v22
	s_waitcnt lgkmcnt(0)
	v_cmp_lt_i32_e64 s1, v21, v18
	s_delay_alu instid0(VALU_DEP_1) | instskip(SKIP_2) | instid1(SALU_CYCLE_1)
	s_and_b32 s0, s0, s1
	s_and_not1_b32 s1, s16, exec_lo
	s_and_b32 s0, s0, exec_lo
	s_or_b32 s16, s1, s0
.LBB57_20:                              ;   in Loop: Header=BB57_10 Depth=1
	s_or_b32 exec_lo, exec_lo, s17
	s_delay_alu instid0(VALU_DEP_2)
	s_and_saveexec_b32 s0, s16
	s_cbranch_execz .LBB57_22
; %bb.21:                               ;   in Loop: Header=BB57_10 Depth=1
	s_waitcnt lgkmcnt(1)
	v_dual_mov_b32 v19, v23 :: v_dual_mov_b32 v20, v22
	s_waitcnt lgkmcnt(0)
	v_mov_b32_e32 v18, v21
.LBB57_22:                              ;   in Loop: Header=BB57_10 Depth=1
	s_or_b32 exec_lo, exec_lo, s0
	s_waitcnt lgkmcnt(1)
	ds_bpermute_b32 v23, v13, v20
	ds_bpermute_b32 v22, v13, v19
	s_waitcnt lgkmcnt(2)
	ds_bpermute_b32 v21, v13, v18
	s_mov_b32 s17, exec_lo
	s_waitcnt lgkmcnt(2)
	v_cmp_lt_f32_e64 s16, v20, v23
	v_cmpx_nlt_f32_e32 v20, v23
	s_cbranch_execnz .LBB57_26
; %bb.23:                               ;   in Loop: Header=BB57_10 Depth=1
	s_or_b32 exec_lo, exec_lo, s17
	s_delay_alu instid0(VALU_DEP_2)
	s_and_saveexec_b32 s0, s16
	s_cbranch_execnz .LBB57_27
.LBB57_24:                              ;   in Loop: Header=BB57_10 Depth=1
	s_or_b32 exec_lo, exec_lo, s0
	s_and_saveexec_b32 s16, s2
	s_cbranch_execnz .LBB57_28
.LBB57_25:                              ;   in Loop: Header=BB57_10 Depth=1
	s_or_b32 exec_lo, exec_lo, s16
	s_add_i32 s7, s7, 1
	s_delay_alu instid0(SALU_CYCLE_1)
	s_cmp_ge_i32 s7, s4
	s_cbranch_scc1 .LBB57_9
	s_branch .LBB57_29
.LBB57_26:                              ;   in Loop: Header=BB57_10 Depth=1
	v_cmp_eq_f32_e64 s0, v20, v23
	s_waitcnt lgkmcnt(0)
	v_cmp_lt_i32_e64 s1, v21, v18
	s_delay_alu instid0(VALU_DEP_1) | instskip(SKIP_2) | instid1(SALU_CYCLE_1)
	s_and_b32 s0, s0, s1
	s_and_not1_b32 s1, s16, exec_lo
	s_and_b32 s0, s0, exec_lo
	s_or_b32 s16, s1, s0
	s_or_b32 exec_lo, exec_lo, s17
	s_and_saveexec_b32 s0, s16
	s_cbranch_execz .LBB57_24
.LBB57_27:                              ;   in Loop: Header=BB57_10 Depth=1
	s_waitcnt lgkmcnt(0)
	v_dual_mov_b32 v19, v22 :: v_dual_mov_b32 v18, v21
	s_or_b32 exec_lo, exec_lo, s0
	s_and_saveexec_b32 s16, s2
	s_cbranch_execz .LBB57_25
.LBB57_28:                              ;   in Loop: Header=BB57_10 Depth=1
	v_add_nc_u32_e32 v20, s7, v16
	v_subrev_nc_u32_e32 v24, s5, v18
	v_cmp_le_i32_e64 s0, s5, v18
	v_cmp_gt_i32_e64 s1, s6, v18
	v_add_f32_e32 v28, v15, v19
	s_waitcnt lgkmcnt(0)
	v_ashrrev_i32_e32 v21, 31, v20
	v_ashrrev_i32_e32 v25, 31, v24
	s_and_b32 s0, s0, s1
	v_cndmask_b32_e32 v15, v15, v28, vcc_lo
	s_delay_alu instid0(VALU_DEP_3) | instskip(SKIP_2) | instid1(SALU_CYCLE_1)
	v_lshlrev_b64 v[22:23], 2, v[20:21]
	v_lshlrev_b64 v[20:21], 3, v[20:21]
	s_and_b32 s0, s15, s0
	v_cndmask_b32_e64 v25, 0, v25, s0
	v_cndmask_b32_e64 v24, 64, v24, s0
	s_delay_alu instid0(VALU_DEP_4) | instskip(NEXT) | instid1(VALU_DEP_1)
	v_add_co_u32 v26, s0, s12, v22
	v_add_co_ci_u32_e64 v27, s0, s13, v23, s0
	v_add_co_u32 v20, s0, s8, v20
	s_delay_alu instid0(VALU_DEP_1) | instskip(SKIP_1) | instid1(VALU_DEP_1)
	v_add_co_ci_u32_e64 v21, s0, s9, v21, s0
	v_add_co_u32 v22, s0, s10, v22
	v_add_co_ci_u32_e64 v23, s0, s11, v23, s0
	global_store_b32 v[26:27], v19, off
	global_store_b64 v[20:21], v[24:25], off
	global_store_b32 v[22:23], v17, off
	s_or_b32 exec_lo, exec_lo, s16
	s_add_i32 s7, s7, 1
	s_delay_alu instid0(SALU_CYCLE_1)
	s_cmp_ge_i32 s7, s4
	s_cbranch_scc1 .LBB57_9
.LBB57_29:                              ;   in Loop: Header=BB57_10 Depth=1
	v_ashrrev_i32_e32 v19, 31, v18
	s_mov_b32 s1, exec_lo
	s_delay_alu instid0(VALU_DEP_1) | instskip(NEXT) | instid1(VALU_DEP_1)
	v_lshrrev_b32_e32 v20, 30, v19
	v_add_nc_u32_e32 v20, v18, v20
	s_waitcnt lgkmcnt(0)
	s_delay_alu instid0(VALU_DEP_1) | instskip(SKIP_1) | instid1(VALU_DEP_2)
	v_ashrrev_i32_e32 v21, 31, v20
	v_ashrrev_i32_e32 v20, 2, v20
	v_lshrrev_b32_e32 v21, 28, v21
	s_delay_alu instid0(VALU_DEP_1) | instskip(NEXT) | instid1(VALU_DEP_1)
	v_add_nc_u32_e32 v21, v20, v21
	v_and_b32_e32 v21, -16, v21
	s_delay_alu instid0(VALU_DEP_1) | instskip(NEXT) | instid1(VALU_DEP_1)
	v_sub_nc_u32_e32 v21, v20, v21
	v_cmpx_eq_u32_e64 v9, v21
	s_cbranch_execz .LBB57_8
; %bb.30:                               ;   in Loop: Header=BB57_10 Depth=1
	v_lshrrev_b32_e32 v19, 26, v19
	v_lshlrev_b32_e32 v20, 2, v20
	s_delay_alu instid0(VALU_DEP_2) | instskip(NEXT) | instid1(VALU_DEP_2)
	v_add_nc_u32_e32 v19, v18, v19
	v_sub_nc_u32_e32 v18, v18, v20
	s_delay_alu instid0(VALU_DEP_2) | instskip(NEXT) | instid1(VALU_DEP_1)
	v_ashrrev_i32_e32 v19, 6, v19
	v_lshl_add_u32 v18, v19, 2, v18
	s_delay_alu instid0(VALU_DEP_1) | instskip(NEXT) | instid1(VALU_DEP_1)
	v_cmp_ne_u32_e64 s0, 3, v18
	v_cndmask_b32_e64 v7, 0xc61c4000, v7, s0
	v_cmp_ne_u32_e64 s0, 2, v18
	s_delay_alu instid0(VALU_DEP_1) | instskip(SKIP_1) | instid1(VALU_DEP_1)
	v_cndmask_b32_e64 v6, 0xc61c4000, v6, s0
	v_cmp_ne_u32_e64 s0, 1, v18
	v_cndmask_b32_e64 v5, 0xc61c4000, v5, s0
	v_cmp_ne_u32_e64 s0, 0, v18
	s_delay_alu instid0(VALU_DEP_1)
	v_cndmask_b32_e64 v4, 0xc61c4000, v4, s0
	s_branch .LBB57_8
.LBB57_31:
                                        ; implicit-def: $vgpr4_vgpr5_vgpr6_vgpr7
	s_and_not1_b32 vcc_lo, exec_lo, s8
	s_cbranch_vccz .LBB57_5
	s_branch .LBB57_6
.LBB57_32:
	v_mov_b32_e32 v15, 0
.LBB57_33:
	v_cmp_eq_u32_e64 s0, 0, v9
	s_delay_alu instid0(VALU_DEP_1) | instskip(NEXT) | instid1(SALU_CYCLE_1)
	s_and_b32 s0, s0, vcc_lo
	s_and_b32 exec_lo, exec_lo, s0
	s_cbranch_execz .LBB57_37
; %bb.34:
	s_and_not1_b32 vcc_lo, exec_lo, s3
	s_cbranch_vccnz .LBB57_37
; %bb.35:
	v_mul_lo_u32 v0, v8, s4
	v_cmp_lt_f32_e32 vcc_lo, 0, v15
	v_cndmask_b32_e32 v2, 1.0, v15, vcc_lo
	s_delay_alu instid0(VALU_DEP_3) | instskip(NEXT) | instid1(VALU_DEP_1)
	v_ashrrev_i32_e32 v1, 31, v0
	v_lshlrev_b64 v[0:1], 2, v[0:1]
	s_delay_alu instid0(VALU_DEP_1) | instskip(NEXT) | instid1(VALU_DEP_2)
	v_add_co_u32 v0, vcc_lo, s12, v0
	v_add_co_ci_u32_e32 v1, vcc_lo, s13, v1, vcc_lo
	.p2align	6
.LBB57_36:                              ; =>This Inner Loop Header: Depth=1
	global_load_b32 v3, v[0:1], off
	s_add_i32 s4, s4, -1
	s_delay_alu instid0(SALU_CYCLE_1) | instskip(SKIP_3) | instid1(VALU_DEP_2)
	s_cmp_lg_u32 s4, 0
	s_waitcnt vmcnt(0)
	v_div_scale_f32 v4, null, v2, v2, v3
	v_div_scale_f32 v7, vcc_lo, v3, v2, v3
	v_rcp_f32_e32 v5, v4
	s_waitcnt_depctr 0xfff
	v_fma_f32 v6, -v4, v5, 1.0
	s_delay_alu instid0(VALU_DEP_1) | instskip(NEXT) | instid1(VALU_DEP_1)
	v_fmac_f32_e32 v5, v6, v5
	v_mul_f32_e32 v6, v7, v5
	s_delay_alu instid0(VALU_DEP_1) | instskip(NEXT) | instid1(VALU_DEP_1)
	v_fma_f32 v8, -v4, v6, v7
	v_fmac_f32_e32 v6, v8, v5
	s_delay_alu instid0(VALU_DEP_1) | instskip(NEXT) | instid1(VALU_DEP_1)
	v_fma_f32 v4, -v4, v6, v7
	v_div_fmas_f32 v4, v4, v5, v6
	s_delay_alu instid0(VALU_DEP_1)
	v_div_fixup_f32 v3, v4, v2, v3
	global_store_b32 v[0:1], v3, off
	v_add_co_u32 v0, vcc_lo, v0, 4
	v_add_co_ci_u32_e32 v1, vcc_lo, 0, v1, vcc_lo
	s_cbranch_scc1 .LBB57_36
.LBB57_37:
	s_nop 0
	s_sendmsg sendmsg(MSG_DEALLOC_VGPRS)
	s_endpgm
	.section	.rodata,"a",@progbits
	.p2align	6, 0x0
	.amdhsa_kernel _ZN4vllm3moe10topkGatingILi4ELi64ELi4ELi16ELi64ElfLNS0_11ScoringFuncE0EEEvPKT5_PKbPfiPT4_PiiiibPKf
		.amdhsa_group_segment_fixed_size 0
		.amdhsa_private_segment_fixed_size 0
		.amdhsa_kernarg_size 72
		.amdhsa_user_sgpr_count 15
		.amdhsa_user_sgpr_dispatch_ptr 0
		.amdhsa_user_sgpr_queue_ptr 0
		.amdhsa_user_sgpr_kernarg_segment_ptr 1
		.amdhsa_user_sgpr_dispatch_id 0
		.amdhsa_user_sgpr_private_segment_size 0
		.amdhsa_wavefront_size32 1
		.amdhsa_uses_dynamic_stack 0
		.amdhsa_enable_private_segment 0
		.amdhsa_system_sgpr_workgroup_id_x 1
		.amdhsa_system_sgpr_workgroup_id_y 0
		.amdhsa_system_sgpr_workgroup_id_z 0
		.amdhsa_system_sgpr_workgroup_info 0
		.amdhsa_system_vgpr_workitem_id 1
		.amdhsa_next_free_vgpr 29
		.amdhsa_next_free_sgpr 18
		.amdhsa_reserve_vcc 1
		.amdhsa_float_round_mode_32 0
		.amdhsa_float_round_mode_16_64 0
		.amdhsa_float_denorm_mode_32 3
		.amdhsa_float_denorm_mode_16_64 3
		.amdhsa_dx10_clamp 1
		.amdhsa_ieee_mode 1
		.amdhsa_fp16_overflow 0
		.amdhsa_workgroup_processor_mode 1
		.amdhsa_memory_ordered 1
		.amdhsa_forward_progress 0
		.amdhsa_shared_vgpr_count 0
		.amdhsa_exception_fp_ieee_invalid_op 0
		.amdhsa_exception_fp_denorm_src 0
		.amdhsa_exception_fp_ieee_div_zero 0
		.amdhsa_exception_fp_ieee_overflow 0
		.amdhsa_exception_fp_ieee_underflow 0
		.amdhsa_exception_fp_ieee_inexact 0
		.amdhsa_exception_int_div_zero 0
	.end_amdhsa_kernel
	.section	.text._ZN4vllm3moe10topkGatingILi4ELi64ELi4ELi16ELi64ElfLNS0_11ScoringFuncE0EEEvPKT5_PKbPfiPT4_PiiiibPKf,"axG",@progbits,_ZN4vllm3moe10topkGatingILi4ELi64ELi4ELi16ELi64ElfLNS0_11ScoringFuncE0EEEvPKT5_PKbPfiPT4_PiiiibPKf,comdat
.Lfunc_end57:
	.size	_ZN4vllm3moe10topkGatingILi4ELi64ELi4ELi16ELi64ElfLNS0_11ScoringFuncE0EEEvPKT5_PKbPfiPT4_PiiiibPKf, .Lfunc_end57-_ZN4vllm3moe10topkGatingILi4ELi64ELi4ELi16ELi64ElfLNS0_11ScoringFuncE0EEEvPKT5_PKbPfiPT4_PiiiibPKf
                                        ; -- End function
	.section	.AMDGPU.csdata,"",@progbits
; Kernel info:
; codeLenInByte = 2572
; NumSgprs: 20
; NumVgprs: 29
; ScratchSize: 0
; MemoryBound: 0
; FloatMode: 240
; IeeeMode: 1
; LDSByteSize: 0 bytes/workgroup (compile time only)
; SGPRBlocks: 2
; VGPRBlocks: 3
; NumSGPRsForWavesPerEU: 20
; NumVGPRsForWavesPerEU: 29
; Occupancy: 16
; WaveLimiterHint : 0
; COMPUTE_PGM_RSRC2:SCRATCH_EN: 0
; COMPUTE_PGM_RSRC2:USER_SGPR: 15
; COMPUTE_PGM_RSRC2:TRAP_HANDLER: 0
; COMPUTE_PGM_RSRC2:TGID_X_EN: 1
; COMPUTE_PGM_RSRC2:TGID_Y_EN: 0
; COMPUTE_PGM_RSRC2:TGID_Z_EN: 0
; COMPUTE_PGM_RSRC2:TIDIG_COMP_CNT: 1
	.section	.text._ZN4vllm3moe10topkGatingILi4ELi64ELi4ELi16ELi32ElfLNS0_11ScoringFuncE0EEEvPKT5_PKbPfiPT4_PiiiibPKf,"axG",@progbits,_ZN4vllm3moe10topkGatingILi4ELi64ELi4ELi16ELi32ElfLNS0_11ScoringFuncE0EEEvPKT5_PKbPfiPT4_PiiiibPKf,comdat
	.protected	_ZN4vllm3moe10topkGatingILi4ELi64ELi4ELi16ELi32ElfLNS0_11ScoringFuncE0EEEvPKT5_PKbPfiPT4_PiiiibPKf ; -- Begin function _ZN4vllm3moe10topkGatingILi4ELi64ELi4ELi16ELi32ElfLNS0_11ScoringFuncE0EEEvPKT5_PKbPfiPT4_PiiiibPKf
	.globl	_ZN4vllm3moe10topkGatingILi4ELi64ELi4ELi16ELi32ElfLNS0_11ScoringFuncE0EEEvPKT5_PKbPfiPT4_PiiiibPKf
	.p2align	8
	.type	_ZN4vllm3moe10topkGatingILi4ELi64ELi4ELi16ELi32ElfLNS0_11ScoringFuncE0EEEvPKT5_PKbPfiPT4_PiiiibPKf,@function
_ZN4vllm3moe10topkGatingILi4ELi64ELi4ELi16ELi32ElfLNS0_11ScoringFuncE0EEEvPKT5_PKbPfiPT4_PiiiibPKf: ; @_ZN4vllm3moe10topkGatingILi4ELi64ELi4ELi16ELi32ElfLNS0_11ScoringFuncE0EEEvPKT5_PKbPfiPT4_PiiiibPKf
; %bb.0:
	s_load_b32 s14, s[0:1], 0x18
	v_bfe_u32 v1, v0, 10, 10
	v_and_b32_e32 v0, 0x3ff, v0
	s_lshl_b32 s2, s15, 3
	s_delay_alu instid0(VALU_DEP_2) | instskip(NEXT) | instid1(VALU_DEP_2)
	v_lshlrev_b32_e32 v1, 1, v1
	v_lshrrev_b32_e32 v2, 4, v0
	s_delay_alu instid0(VALU_DEP_1) | instskip(SKIP_2) | instid1(VALU_DEP_1)
	v_add3_u32 v8, s2, v1, v2
	s_mov_b32 s2, exec_lo
	s_waitcnt lgkmcnt(0)
	v_cmpx_gt_i32_e64 s14, v8
	s_cbranch_execz .LBB58_37
; %bb.1:
	s_clause 0x1
	s_load_b128 s[4:7], s[0:1], 0x0
	s_load_b64 s[12:13], s[0:1], 0x10
	s_mov_b32 s8, -1
	s_mov_b32 s15, -1
	s_waitcnt lgkmcnt(0)
	s_cmp_eq_u64 s[6:7], 0
	s_cbranch_scc1 .LBB58_3
; %bb.2:
	v_ashrrev_i32_e32 v2, 31, v8
	v_add_co_u32 v1, vcc_lo, s6, v8
	s_delay_alu instid0(VALU_DEP_2) | instskip(SKIP_3) | instid1(VALU_DEP_1)
	v_add_co_ci_u32_e32 v2, vcc_lo, s7, v2, vcc_lo
	global_load_u8 v1, v[1:2], off
	s_waitcnt vmcnt(0)
	v_and_b32_e32 v1, 1, v1
	v_cmp_eq_u32_e32 vcc_lo, 1, v1
	s_xor_b32 s2, vcc_lo, -1
	s_delay_alu instid0(SALU_CYCLE_1)
	s_or_not1_b32 s15, s2, exec_lo
.LBB58_3:
	v_mbcnt_lo_u32_b32 v4, -1, 0
	v_and_b32_e32 v9, 15, v0
	s_load_b64 s[2:3], s[0:1], 0x40
	s_delay_alu instid0(VALU_DEP_2)
	v_xor_b32_e32 v6, 8, v4
	v_lshlrev_b32_e32 v1, 6, v8
	v_and_b32_e32 v5, 16, v4
	v_xor_b32_e32 v11, 4, v4
	v_xor_b32_e32 v12, 2, v4
	;; [unrolled: 1-line block ×3, first 2 shown]
	v_ashrrev_i32_e32 v2, 31, v1
	s_delay_alu instid0(VALU_DEP_1) | instskip(SKIP_3) | instid1(VALU_DEP_2)
	v_lshlrev_b64 v[0:1], 2, v[1:2]
	v_lshlrev_b32_e32 v2, 4, v9
	s_waitcnt lgkmcnt(0)
	s_cmp_eq_u64 s[2:3], 0
	v_add_co_u32 v0, vcc_lo, s4, v0
	s_delay_alu instid0(VALU_DEP_3) | instskip(NEXT) | instid1(VALU_DEP_2)
	v_add_co_ci_u32_e32 v1, vcc_lo, s5, v1, vcc_lo
	v_add_co_u32 v0, vcc_lo, v0, v2
	s_delay_alu instid0(VALU_DEP_2) | instskip(SKIP_3) | instid1(VALU_DEP_1)
	v_add_co_ci_u32_e32 v1, vcc_lo, 0, v1, vcc_lo
	global_load_b128 v[0:3], v[0:1], off
	s_waitcnt vmcnt(0)
	v_dual_max_f32 v10, v0, v0 :: v_dual_add_nc_u32 v5, 16, v5
	v_cmp_lt_i32_e32 vcc_lo, v6, v5
	v_dual_cndmask_b32 v6, v4, v6 :: v_dual_max_f32 v7, v1, v1
	v_cmp_lt_i32_e32 vcc_lo, v11, v5
	s_delay_alu instid0(VALU_DEP_2) | instskip(SKIP_2) | instid1(VALU_DEP_3)
	v_dual_max_f32 v7, v10, v7 :: v_dual_lshlrev_b32 v10, 2, v6
	v_cndmask_b32_e32 v11, v4, v11, vcc_lo
	v_cmp_lt_i32_e32 vcc_lo, v12, v5
	v_max3_f32 v6, v7, v2, v3
	v_cndmask_b32_e32 v12, v4, v12, vcc_lo
	v_cmp_lt_i32_e32 vcc_lo, v13, v5
	ds_bpermute_b32 v7, v10, v6
	v_lshlrev_b32_e32 v12, 2, v12
	v_dual_cndmask_b32 v4, v4, v13 :: v_dual_lshlrev_b32 v11, 2, v11
	s_delay_alu instid0(VALU_DEP_1) | instskip(SKIP_2) | instid1(VALU_DEP_1)
	v_lshlrev_b32_e32 v13, 2, v4
	s_waitcnt lgkmcnt(0)
	v_max_f32_e32 v7, v7, v7
	v_max_f32_e32 v6, v6, v7
	ds_bpermute_b32 v7, v11, v6
	s_waitcnt lgkmcnt(0)
	v_max_f32_e32 v7, v7, v7
	s_delay_alu instid0(VALU_DEP_1) | instskip(SKIP_3) | instid1(VALU_DEP_1)
	v_max_f32_e32 v6, v6, v7
	ds_bpermute_b32 v7, v12, v6
	s_waitcnt lgkmcnt(0)
	v_max_f32_e32 v5, v7, v7
	v_max_f32_e32 v4, v6, v5
	ds_bpermute_b32 v5, v13, v4
	s_waitcnt lgkmcnt(0)
	v_max_f32_e32 v5, v5, v5
	s_delay_alu instid0(VALU_DEP_1) | instskip(NEXT) | instid1(VALU_DEP_1)
	v_max_f32_e32 v4, v4, v5
	v_sub_f32_e32 v2, v2, v4
	v_sub_f32_e32 v0, v0, v4
	;; [unrolled: 1-line block ×3, first 2 shown]
	s_delay_alu instid0(VALU_DEP_3) | instskip(NEXT) | instid1(VALU_DEP_2)
	v_dual_sub_f32 v3, v3, v4 :: v_dual_mul_f32 v6, 0x3fb8aa3b, v2
	v_dual_mul_f32 v4, 0x3fb8aa3b, v0 :: v_dual_mul_f32 v5, 0x3fb8aa3b, v1
	v_cmp_ngt_f32_e32 vcc_lo, 0xc2ce8ed0, v0
	s_delay_alu instid0(VALU_DEP_3) | instskip(NEXT) | instid1(VALU_DEP_3)
	v_fma_f32 v18, 0x3fb8aa3b, v2, -v6
	v_fma_f32 v14, 0x3fb8aa3b, v0, -v4
	v_rndne_f32_e32 v15, v4
	v_rndne_f32_e32 v17, v5
	v_fma_f32 v16, 0x3fb8aa3b, v1, -v5
	v_rndne_f32_e32 v19, v6
	v_fmac_f32_e32 v14, 0x32a5705f, v0
	s_delay_alu instid0(VALU_DEP_4) | instskip(NEXT) | instid1(VALU_DEP_1)
	v_dual_sub_f32 v4, v4, v15 :: v_dual_sub_f32 v5, v5, v17
	v_dual_mul_f32 v7, 0x3fb8aa3b, v3 :: v_dual_add_f32 v4, v4, v14
	v_cvt_i32_f32_e32 v14, v15
	s_delay_alu instid0(VALU_DEP_2) | instskip(SKIP_4) | instid1(VALU_DEP_3)
	v_fma_f32 v20, 0x3fb8aa3b, v3, -v7
	v_rndne_f32_e32 v21, v7
	v_fmac_f32_e32 v18, 0x32a5705f, v2
	v_exp_f32_e32 v4, v4
	v_cvt_i32_f32_e32 v15, v17
	v_sub_f32_e32 v7, v7, v21
	v_cvt_i32_f32_e32 v17, v21
	s_waitcnt_depctr 0xfff
	v_ldexp_f32 v4, v4, v14
	s_delay_alu instid0(VALU_DEP_1) | instskip(SKIP_2) | instid1(VALU_DEP_1)
	v_cndmask_b32_e32 v4, 0, v4, vcc_lo
	v_cmp_ngt_f32_e32 vcc_lo, 0xc2ce8ed0, v1
	v_fmac_f32_e32 v20, 0x32a5705f, v3
	v_dual_fmac_f32 v16, 0x32a5705f, v1 :: v_dual_add_f32 v7, v7, v20
	s_delay_alu instid0(VALU_DEP_1) | instskip(SKIP_1) | instid1(VALU_DEP_3)
	v_dual_sub_f32 v6, v6, v19 :: v_dual_add_f32 v5, v5, v16
	v_cvt_i32_f32_e32 v16, v19
	v_exp_f32_e32 v7, v7
	s_delay_alu instid0(VALU_DEP_2) | instskip(SKIP_3) | instid1(VALU_DEP_1)
	v_exp_f32_e32 v5, v5
	s_waitcnt_depctr 0xfff
	v_ldexp_f32 v7, v7, v17
	v_ldexp_f32 v5, v5, v15
	v_dual_cndmask_b32 v5, 0, v5 :: v_dual_add_f32 v6, v6, v18
	v_cmp_ngt_f32_e32 vcc_lo, 0xc2ce8ed0, v2
	s_delay_alu instid0(VALU_DEP_2) | instskip(SKIP_2) | instid1(VALU_DEP_1)
	v_exp_f32_e32 v6, v6
	s_waitcnt_depctr 0xfff
	v_ldexp_f32 v6, v6, v16
	v_cndmask_b32_e32 v6, 0, v6, vcc_lo
	v_cmp_nlt_f32_e32 vcc_lo, 0x42b17218, v0
	v_cndmask_b32_e32 v0, 0x7f800000, v4, vcc_lo
	v_cmp_nlt_f32_e32 vcc_lo, 0x42b17218, v1
	v_cndmask_b32_e32 v1, 0x7f800000, v5, vcc_lo
	v_cmp_ngt_f32_e32 vcc_lo, 0xc2ce8ed0, v3
	s_delay_alu instid0(VALU_DEP_2) | instskip(SKIP_3) | instid1(VALU_DEP_2)
	v_dual_add_f32 v5, v0, v1 :: v_dual_cndmask_b32 v4, 0, v7
	v_cmp_nlt_f32_e32 vcc_lo, 0x42b17218, v2
	v_cndmask_b32_e32 v2, 0x7f800000, v6, vcc_lo
	v_cmp_nlt_f32_e32 vcc_lo, 0x42b17218, v3
	v_dual_cndmask_b32 v3, 0x7f800000, v4 :: v_dual_add_f32 v4, v5, v2
	s_delay_alu instid0(VALU_DEP_1)
	v_add_f32_e32 v4, v4, v3
	ds_bpermute_b32 v5, v10, v4
	s_waitcnt lgkmcnt(0)
	v_add_f32_e32 v4, v4, v5
	ds_bpermute_b32 v5, v11, v4
	s_waitcnt lgkmcnt(0)
	;; [unrolled: 3-line block ×4, first 2 shown]
	v_add_f32_e32 v4, v4, v5
	s_delay_alu instid0(VALU_DEP_1) | instskip(SKIP_1) | instid1(VALU_DEP_2)
	v_div_scale_f32 v5, null, v4, v4, 1.0
	v_div_scale_f32 v14, vcc_lo, 1.0, v4, 1.0
	v_rcp_f32_e32 v6, v5
	s_waitcnt_depctr 0xfff
	v_fma_f32 v7, -v5, v6, 1.0
	s_delay_alu instid0(VALU_DEP_1) | instskip(NEXT) | instid1(VALU_DEP_1)
	v_fmac_f32_e32 v6, v7, v6
	v_mul_f32_e32 v7, v14, v6
	s_delay_alu instid0(VALU_DEP_1) | instskip(NEXT) | instid1(VALU_DEP_1)
	v_fma_f32 v15, -v5, v7, v14
	v_fmac_f32_e32 v7, v15, v6
	s_delay_alu instid0(VALU_DEP_1) | instskip(SKIP_1) | instid1(VALU_DEP_2)
	v_fma_f32 v5, -v5, v7, v14
	v_lshlrev_b32_e32 v14, 2, v9
	v_div_fmas_f32 v5, v5, v6, v7
	s_delay_alu instid0(VALU_DEP_1) | instskip(NEXT) | instid1(VALU_DEP_1)
	v_div_fixup_f32 v4, v5, v4, 1.0
	v_mul_f32_e32 v0, v4, v0
	v_mul_f32_e32 v1, v4, v1
	;; [unrolled: 1-line block ×4, first 2 shown]
	s_delay_alu instid0(VALU_DEP_4)
	v_cmp_class_f32_e64 vcc_lo, v0, 0x1f8
	v_cndmask_b32_e32 v0, 0, v0, vcc_lo
	v_cmp_class_f32_e64 vcc_lo, v1, 0x1f8
	v_cndmask_b32_e32 v1, 0, v1, vcc_lo
	;; [unrolled: 2-line block ×4, first 2 shown]
	s_cbranch_scc1 .LBB58_31
; %bb.4:
	v_lshlrev_b32_e32 v4, 2, v14
	global_load_b128 v[4:7], v4, s[2:3]
	s_waitcnt vmcnt(0)
	v_dual_add_f32 v5, v5, v1 :: v_dual_add_f32 v4, v4, v0
	v_dual_add_f32 v7, v7, v3 :: v_dual_add_f32 v6, v6, v2
	s_cbranch_execnz .LBB58_6
.LBB58_5:
	v_dual_mov_b32 v7, v3 :: v_dual_mov_b32 v6, v2
	v_dual_mov_b32 v5, v1 :: v_dual_mov_b32 v4, v0
.LBB58_6:
	s_load_b128 s[4:7], s[0:1], 0x30
	v_cmp_eq_u32_e64 s2, 0, v9
	s_waitcnt lgkmcnt(0)
	s_bitcmp1_b32 s7, 0
	s_mov_b32 s7, 0
	s_cselect_b32 vcc_lo, -1, 0
	s_cmp_gt_i32 s4, 0
	s_cselect_b32 s3, -1, 0
	s_cmp_lt_i32 s4, 1
	s_cbranch_scc1 .LBB58_32
; %bb.7:
	s_load_b128 s[8:11], s[0:1], 0x20
	v_mul_lo_u32 v16, v8, s4
	v_mov_b32_e32 v15, 0
	v_mov_b32_e32 v17, v8
	s_branch .LBB58_10
.LBB58_8:                               ;   in Loop: Header=BB58_10 Depth=1
	s_or_b32 exec_lo, exec_lo, s1
.LBB58_9:                               ;   in Loop: Header=BB58_10 Depth=1
	v_add_nc_u32_e32 v17, s14, v17
	s_cmp_eq_u32 s4, s7
	s_cbranch_scc1 .LBB58_33
.LBB58_10:                              ; =>This Inner Loop Header: Depth=1
	v_cmp_gt_f32_e64 s0, v5, v4
	s_mov_b32 s17, exec_lo
	s_delay_alu instid0(VALU_DEP_1) | instskip(SKIP_2) | instid1(VALU_DEP_3)
	v_cndmask_b32_e64 v18, v4, v5, s0
	v_cndmask_b32_e64 v19, 0, 1, s0
	;; [unrolled: 1-line block ×3, first 2 shown]
	v_cmp_gt_f32_e64 s1, v6, v18
	s_delay_alu instid0(VALU_DEP_1) | instskip(NEXT) | instid1(VALU_DEP_4)
	v_cndmask_b32_e64 v18, v18, v6, s1
	v_cndmask_b32_e64 v19, v19, 2, s1
	s_waitcnt lgkmcnt(0)
	v_cndmask_b32_e64 v21, v20, v2, s1
	s_delay_alu instid0(VALU_DEP_3) | instskip(NEXT) | instid1(VALU_DEP_1)
	v_cmp_gt_f32_e64 s0, v7, v18
	v_cndmask_b32_e64 v20, v18, v7, s0
	v_cndmask_b32_e64 v18, v19, 3, s0
	s_delay_alu instid0(VALU_DEP_4)
	v_cndmask_b32_e64 v19, v21, v3, s0
	ds_bpermute_b32 v21, v10, v20
	v_or_b32_e32 v18, v14, v18
	ds_bpermute_b32 v23, v10, v19
	ds_bpermute_b32 v22, v10, v18
	s_waitcnt lgkmcnt(0)
	v_cmp_lt_f32_e64 s16, v20, v21
	v_cmpx_nlt_f32_e32 v20, v21
; %bb.11:                               ;   in Loop: Header=BB58_10 Depth=1
	v_cmp_eq_f32_e64 s0, v20, v21
	v_cmp_lt_i32_e64 s1, v22, v18
	s_delay_alu instid0(VALU_DEP_1) | instskip(SKIP_2) | instid1(SALU_CYCLE_1)
	s_and_b32 s0, s0, s1
	s_and_not1_b32 s1, s16, exec_lo
	s_and_b32 s0, s0, exec_lo
	s_or_b32 s16, s1, s0
; %bb.12:                               ;   in Loop: Header=BB58_10 Depth=1
	s_or_b32 exec_lo, exec_lo, s17
	s_and_saveexec_b32 s0, s16
; %bb.13:                               ;   in Loop: Header=BB58_10 Depth=1
	v_dual_mov_b32 v19, v23 :: v_dual_mov_b32 v20, v21
	v_mov_b32_e32 v18, v22
; %bb.14:                               ;   in Loop: Header=BB58_10 Depth=1
	s_or_b32 exec_lo, exec_lo, s0
	ds_bpermute_b32 v22, v11, v20
	ds_bpermute_b32 v23, v11, v19
	;; [unrolled: 1-line block ×3, first 2 shown]
	s_mov_b32 s17, exec_lo
	s_waitcnt lgkmcnt(2)
	v_cmp_lt_f32_e64 s16, v20, v22
	v_cmpx_nlt_f32_e32 v20, v22
	s_cbranch_execz .LBB58_16
; %bb.15:                               ;   in Loop: Header=BB58_10 Depth=1
	v_cmp_eq_f32_e64 s0, v20, v22
	s_waitcnt lgkmcnt(0)
	v_cmp_lt_i32_e64 s1, v21, v18
	s_delay_alu instid0(VALU_DEP_1) | instskip(SKIP_2) | instid1(SALU_CYCLE_1)
	s_and_b32 s0, s0, s1
	s_and_not1_b32 s1, s16, exec_lo
	s_and_b32 s0, s0, exec_lo
	s_or_b32 s16, s1, s0
.LBB58_16:                              ;   in Loop: Header=BB58_10 Depth=1
	s_or_b32 exec_lo, exec_lo, s17
	s_delay_alu instid0(VALU_DEP_2)
	s_and_saveexec_b32 s0, s16
	s_cbranch_execz .LBB58_18
; %bb.17:                               ;   in Loop: Header=BB58_10 Depth=1
	s_waitcnt lgkmcnt(1)
	v_dual_mov_b32 v19, v23 :: v_dual_mov_b32 v20, v22
	s_waitcnt lgkmcnt(0)
	v_mov_b32_e32 v18, v21
.LBB58_18:                              ;   in Loop: Header=BB58_10 Depth=1
	s_or_b32 exec_lo, exec_lo, s0
	ds_bpermute_b32 v22, v12, v20
	s_waitcnt lgkmcnt(2)
	ds_bpermute_b32 v23, v12, v19
	s_waitcnt lgkmcnt(2)
	ds_bpermute_b32 v21, v12, v18
	s_mov_b32 s17, exec_lo
	s_waitcnt lgkmcnt(2)
	v_cmp_lt_f32_e64 s16, v20, v22
	v_cmpx_nlt_f32_e32 v20, v22
	s_cbranch_execz .LBB58_20
; %bb.19:                               ;   in Loop: Header=BB58_10 Depth=1
	v_cmp_eq_f32_e64 s0, v20, v22
	s_waitcnt lgkmcnt(0)
	v_cmp_lt_i32_e64 s1, v21, v18
	s_delay_alu instid0(VALU_DEP_1) | instskip(SKIP_2) | instid1(SALU_CYCLE_1)
	s_and_b32 s0, s0, s1
	s_and_not1_b32 s1, s16, exec_lo
	s_and_b32 s0, s0, exec_lo
	s_or_b32 s16, s1, s0
.LBB58_20:                              ;   in Loop: Header=BB58_10 Depth=1
	s_or_b32 exec_lo, exec_lo, s17
	s_delay_alu instid0(VALU_DEP_2)
	s_and_saveexec_b32 s0, s16
	s_cbranch_execz .LBB58_22
; %bb.21:                               ;   in Loop: Header=BB58_10 Depth=1
	s_waitcnt lgkmcnt(1)
	v_dual_mov_b32 v19, v23 :: v_dual_mov_b32 v20, v22
	s_waitcnt lgkmcnt(0)
	v_mov_b32_e32 v18, v21
.LBB58_22:                              ;   in Loop: Header=BB58_10 Depth=1
	s_or_b32 exec_lo, exec_lo, s0
	s_waitcnt lgkmcnt(1)
	ds_bpermute_b32 v23, v13, v20
	ds_bpermute_b32 v22, v13, v19
	s_waitcnt lgkmcnt(2)
	ds_bpermute_b32 v21, v13, v18
	s_mov_b32 s17, exec_lo
	s_waitcnt lgkmcnt(2)
	v_cmp_lt_f32_e64 s16, v20, v23
	v_cmpx_nlt_f32_e32 v20, v23
	s_cbranch_execnz .LBB58_26
; %bb.23:                               ;   in Loop: Header=BB58_10 Depth=1
	s_or_b32 exec_lo, exec_lo, s17
	s_delay_alu instid0(VALU_DEP_2)
	s_and_saveexec_b32 s0, s16
	s_cbranch_execnz .LBB58_27
.LBB58_24:                              ;   in Loop: Header=BB58_10 Depth=1
	s_or_b32 exec_lo, exec_lo, s0
	s_and_saveexec_b32 s16, s2
	s_cbranch_execnz .LBB58_28
.LBB58_25:                              ;   in Loop: Header=BB58_10 Depth=1
	s_or_b32 exec_lo, exec_lo, s16
	s_add_i32 s7, s7, 1
	s_delay_alu instid0(SALU_CYCLE_1)
	s_cmp_ge_i32 s7, s4
	s_cbranch_scc1 .LBB58_9
	s_branch .LBB58_29
.LBB58_26:                              ;   in Loop: Header=BB58_10 Depth=1
	v_cmp_eq_f32_e64 s0, v20, v23
	s_waitcnt lgkmcnt(0)
	v_cmp_lt_i32_e64 s1, v21, v18
	s_delay_alu instid0(VALU_DEP_1) | instskip(SKIP_2) | instid1(SALU_CYCLE_1)
	s_and_b32 s0, s0, s1
	s_and_not1_b32 s1, s16, exec_lo
	s_and_b32 s0, s0, exec_lo
	s_or_b32 s16, s1, s0
	s_or_b32 exec_lo, exec_lo, s17
	s_and_saveexec_b32 s0, s16
	s_cbranch_execz .LBB58_24
.LBB58_27:                              ;   in Loop: Header=BB58_10 Depth=1
	s_waitcnt lgkmcnt(0)
	v_dual_mov_b32 v19, v22 :: v_dual_mov_b32 v18, v21
	s_or_b32 exec_lo, exec_lo, s0
	s_and_saveexec_b32 s16, s2
	s_cbranch_execz .LBB58_25
.LBB58_28:                              ;   in Loop: Header=BB58_10 Depth=1
	v_add_nc_u32_e32 v20, s7, v16
	v_subrev_nc_u32_e32 v24, s5, v18
	v_cmp_le_i32_e64 s0, s5, v18
	v_cmp_gt_i32_e64 s1, s6, v18
	v_add_f32_e32 v28, v15, v19
	s_waitcnt lgkmcnt(0)
	v_ashrrev_i32_e32 v21, 31, v20
	v_ashrrev_i32_e32 v25, 31, v24
	s_and_b32 s0, s0, s1
	v_cndmask_b32_e32 v15, v15, v28, vcc_lo
	s_delay_alu instid0(VALU_DEP_3) | instskip(SKIP_2) | instid1(SALU_CYCLE_1)
	v_lshlrev_b64 v[22:23], 2, v[20:21]
	v_lshlrev_b64 v[20:21], 3, v[20:21]
	s_and_b32 s0, s15, s0
	v_cndmask_b32_e64 v25, 0, v25, s0
	v_cndmask_b32_e64 v24, 64, v24, s0
	s_delay_alu instid0(VALU_DEP_4) | instskip(NEXT) | instid1(VALU_DEP_1)
	v_add_co_u32 v26, s0, s12, v22
	v_add_co_ci_u32_e64 v27, s0, s13, v23, s0
	v_add_co_u32 v20, s0, s8, v20
	s_delay_alu instid0(VALU_DEP_1) | instskip(SKIP_1) | instid1(VALU_DEP_1)
	v_add_co_ci_u32_e64 v21, s0, s9, v21, s0
	v_add_co_u32 v22, s0, s10, v22
	v_add_co_ci_u32_e64 v23, s0, s11, v23, s0
	global_store_b32 v[26:27], v19, off
	global_store_b64 v[20:21], v[24:25], off
	global_store_b32 v[22:23], v17, off
	s_or_b32 exec_lo, exec_lo, s16
	s_add_i32 s7, s7, 1
	s_delay_alu instid0(SALU_CYCLE_1)
	s_cmp_ge_i32 s7, s4
	s_cbranch_scc1 .LBB58_9
.LBB58_29:                              ;   in Loop: Header=BB58_10 Depth=1
	v_ashrrev_i32_e32 v19, 31, v18
	s_mov_b32 s1, exec_lo
	s_delay_alu instid0(VALU_DEP_1) | instskip(NEXT) | instid1(VALU_DEP_1)
	v_lshrrev_b32_e32 v20, 30, v19
	v_add_nc_u32_e32 v20, v18, v20
	s_waitcnt lgkmcnt(0)
	s_delay_alu instid0(VALU_DEP_1) | instskip(SKIP_1) | instid1(VALU_DEP_2)
	v_ashrrev_i32_e32 v21, 31, v20
	v_ashrrev_i32_e32 v20, 2, v20
	v_lshrrev_b32_e32 v21, 28, v21
	s_delay_alu instid0(VALU_DEP_1) | instskip(NEXT) | instid1(VALU_DEP_1)
	v_add_nc_u32_e32 v21, v20, v21
	v_and_b32_e32 v21, -16, v21
	s_delay_alu instid0(VALU_DEP_1) | instskip(NEXT) | instid1(VALU_DEP_1)
	v_sub_nc_u32_e32 v21, v20, v21
	v_cmpx_eq_u32_e64 v9, v21
	s_cbranch_execz .LBB58_8
; %bb.30:                               ;   in Loop: Header=BB58_10 Depth=1
	v_lshrrev_b32_e32 v19, 26, v19
	v_lshlrev_b32_e32 v20, 2, v20
	s_delay_alu instid0(VALU_DEP_2) | instskip(NEXT) | instid1(VALU_DEP_2)
	v_add_nc_u32_e32 v19, v18, v19
	v_sub_nc_u32_e32 v18, v18, v20
	s_delay_alu instid0(VALU_DEP_2) | instskip(NEXT) | instid1(VALU_DEP_1)
	v_ashrrev_i32_e32 v19, 6, v19
	v_lshl_add_u32 v18, v19, 2, v18
	s_delay_alu instid0(VALU_DEP_1) | instskip(NEXT) | instid1(VALU_DEP_1)
	v_cmp_ne_u32_e64 s0, 3, v18
	v_cndmask_b32_e64 v7, 0xc61c4000, v7, s0
	v_cmp_ne_u32_e64 s0, 2, v18
	s_delay_alu instid0(VALU_DEP_1) | instskip(SKIP_1) | instid1(VALU_DEP_1)
	v_cndmask_b32_e64 v6, 0xc61c4000, v6, s0
	v_cmp_ne_u32_e64 s0, 1, v18
	v_cndmask_b32_e64 v5, 0xc61c4000, v5, s0
	v_cmp_ne_u32_e64 s0, 0, v18
	s_delay_alu instid0(VALU_DEP_1)
	v_cndmask_b32_e64 v4, 0xc61c4000, v4, s0
	s_branch .LBB58_8
.LBB58_31:
                                        ; implicit-def: $vgpr4_vgpr5_vgpr6_vgpr7
	s_and_not1_b32 vcc_lo, exec_lo, s8
	s_cbranch_vccz .LBB58_5
	s_branch .LBB58_6
.LBB58_32:
	v_mov_b32_e32 v15, 0
.LBB58_33:
	v_cmp_eq_u32_e64 s0, 0, v9
	s_delay_alu instid0(VALU_DEP_1) | instskip(NEXT) | instid1(SALU_CYCLE_1)
	s_and_b32 s0, s0, vcc_lo
	s_and_b32 exec_lo, exec_lo, s0
	s_cbranch_execz .LBB58_37
; %bb.34:
	s_and_not1_b32 vcc_lo, exec_lo, s3
	s_cbranch_vccnz .LBB58_37
; %bb.35:
	v_mul_lo_u32 v0, v8, s4
	v_cmp_lt_f32_e32 vcc_lo, 0, v15
	v_cndmask_b32_e32 v2, 1.0, v15, vcc_lo
	s_delay_alu instid0(VALU_DEP_3) | instskip(NEXT) | instid1(VALU_DEP_1)
	v_ashrrev_i32_e32 v1, 31, v0
	v_lshlrev_b64 v[0:1], 2, v[0:1]
	s_delay_alu instid0(VALU_DEP_1) | instskip(NEXT) | instid1(VALU_DEP_2)
	v_add_co_u32 v0, vcc_lo, s12, v0
	v_add_co_ci_u32_e32 v1, vcc_lo, s13, v1, vcc_lo
	.p2align	6
.LBB58_36:                              ; =>This Inner Loop Header: Depth=1
	global_load_b32 v3, v[0:1], off
	s_add_i32 s4, s4, -1
	s_delay_alu instid0(SALU_CYCLE_1) | instskip(SKIP_3) | instid1(VALU_DEP_2)
	s_cmp_lg_u32 s4, 0
	s_waitcnt vmcnt(0)
	v_div_scale_f32 v4, null, v2, v2, v3
	v_div_scale_f32 v7, vcc_lo, v3, v2, v3
	v_rcp_f32_e32 v5, v4
	s_waitcnt_depctr 0xfff
	v_fma_f32 v6, -v4, v5, 1.0
	s_delay_alu instid0(VALU_DEP_1) | instskip(NEXT) | instid1(VALU_DEP_1)
	v_fmac_f32_e32 v5, v6, v5
	v_mul_f32_e32 v6, v7, v5
	s_delay_alu instid0(VALU_DEP_1) | instskip(NEXT) | instid1(VALU_DEP_1)
	v_fma_f32 v8, -v4, v6, v7
	v_fmac_f32_e32 v6, v8, v5
	s_delay_alu instid0(VALU_DEP_1) | instskip(NEXT) | instid1(VALU_DEP_1)
	v_fma_f32 v4, -v4, v6, v7
	v_div_fmas_f32 v4, v4, v5, v6
	s_delay_alu instid0(VALU_DEP_1)
	v_div_fixup_f32 v3, v4, v2, v3
	global_store_b32 v[0:1], v3, off
	v_add_co_u32 v0, vcc_lo, v0, 4
	v_add_co_ci_u32_e32 v1, vcc_lo, 0, v1, vcc_lo
	s_cbranch_scc1 .LBB58_36
.LBB58_37:
	s_nop 0
	s_sendmsg sendmsg(MSG_DEALLOC_VGPRS)
	s_endpgm
	.section	.rodata,"a",@progbits
	.p2align	6, 0x0
	.amdhsa_kernel _ZN4vllm3moe10topkGatingILi4ELi64ELi4ELi16ELi32ElfLNS0_11ScoringFuncE0EEEvPKT5_PKbPfiPT4_PiiiibPKf
		.amdhsa_group_segment_fixed_size 0
		.amdhsa_private_segment_fixed_size 0
		.amdhsa_kernarg_size 72
		.amdhsa_user_sgpr_count 15
		.amdhsa_user_sgpr_dispatch_ptr 0
		.amdhsa_user_sgpr_queue_ptr 0
		.amdhsa_user_sgpr_kernarg_segment_ptr 1
		.amdhsa_user_sgpr_dispatch_id 0
		.amdhsa_user_sgpr_private_segment_size 0
		.amdhsa_wavefront_size32 1
		.amdhsa_uses_dynamic_stack 0
		.amdhsa_enable_private_segment 0
		.amdhsa_system_sgpr_workgroup_id_x 1
		.amdhsa_system_sgpr_workgroup_id_y 0
		.amdhsa_system_sgpr_workgroup_id_z 0
		.amdhsa_system_sgpr_workgroup_info 0
		.amdhsa_system_vgpr_workitem_id 1
		.amdhsa_next_free_vgpr 29
		.amdhsa_next_free_sgpr 18
		.amdhsa_reserve_vcc 1
		.amdhsa_float_round_mode_32 0
		.amdhsa_float_round_mode_16_64 0
		.amdhsa_float_denorm_mode_32 3
		.amdhsa_float_denorm_mode_16_64 3
		.amdhsa_dx10_clamp 1
		.amdhsa_ieee_mode 1
		.amdhsa_fp16_overflow 0
		.amdhsa_workgroup_processor_mode 1
		.amdhsa_memory_ordered 1
		.amdhsa_forward_progress 0
		.amdhsa_shared_vgpr_count 0
		.amdhsa_exception_fp_ieee_invalid_op 0
		.amdhsa_exception_fp_denorm_src 0
		.amdhsa_exception_fp_ieee_div_zero 0
		.amdhsa_exception_fp_ieee_overflow 0
		.amdhsa_exception_fp_ieee_underflow 0
		.amdhsa_exception_fp_ieee_inexact 0
		.amdhsa_exception_int_div_zero 0
	.end_amdhsa_kernel
	.section	.text._ZN4vllm3moe10topkGatingILi4ELi64ELi4ELi16ELi32ElfLNS0_11ScoringFuncE0EEEvPKT5_PKbPfiPT4_PiiiibPKf,"axG",@progbits,_ZN4vllm3moe10topkGatingILi4ELi64ELi4ELi16ELi32ElfLNS0_11ScoringFuncE0EEEvPKT5_PKbPfiPT4_PiiiibPKf,comdat
.Lfunc_end58:
	.size	_ZN4vllm3moe10topkGatingILi4ELi64ELi4ELi16ELi32ElfLNS0_11ScoringFuncE0EEEvPKT5_PKbPfiPT4_PiiiibPKf, .Lfunc_end58-_ZN4vllm3moe10topkGatingILi4ELi64ELi4ELi16ELi32ElfLNS0_11ScoringFuncE0EEEvPKT5_PKbPfiPT4_PiiiibPKf
                                        ; -- End function
	.section	.AMDGPU.csdata,"",@progbits
; Kernel info:
; codeLenInByte = 2572
; NumSgprs: 20
; NumVgprs: 29
; ScratchSize: 0
; MemoryBound: 0
; FloatMode: 240
; IeeeMode: 1
; LDSByteSize: 0 bytes/workgroup (compile time only)
; SGPRBlocks: 2
; VGPRBlocks: 3
; NumSGPRsForWavesPerEU: 20
; NumVGPRsForWavesPerEU: 29
; Occupancy: 16
; WaveLimiterHint : 0
; COMPUTE_PGM_RSRC2:SCRATCH_EN: 0
; COMPUTE_PGM_RSRC2:USER_SGPR: 15
; COMPUTE_PGM_RSRC2:TRAP_HANDLER: 0
; COMPUTE_PGM_RSRC2:TGID_X_EN: 1
; COMPUTE_PGM_RSRC2:TGID_Y_EN: 0
; COMPUTE_PGM_RSRC2:TGID_Z_EN: 0
; COMPUTE_PGM_RSRC2:TIDIG_COMP_CNT: 1
	.section	.text._ZN4vllm3moe10topkGatingILi4ELi128ELi4ELi16ELi64ElfLNS0_11ScoringFuncE0EEEvPKT5_PKbPfiPT4_PiiiibPKf,"axG",@progbits,_ZN4vllm3moe10topkGatingILi4ELi128ELi4ELi16ELi64ElfLNS0_11ScoringFuncE0EEEvPKT5_PKbPfiPT4_PiiiibPKf,comdat
	.protected	_ZN4vllm3moe10topkGatingILi4ELi128ELi4ELi16ELi64ElfLNS0_11ScoringFuncE0EEEvPKT5_PKbPfiPT4_PiiiibPKf ; -- Begin function _ZN4vllm3moe10topkGatingILi4ELi128ELi4ELi16ELi64ElfLNS0_11ScoringFuncE0EEEvPKT5_PKbPfiPT4_PiiiibPKf
	.globl	_ZN4vllm3moe10topkGatingILi4ELi128ELi4ELi16ELi64ElfLNS0_11ScoringFuncE0EEEvPKT5_PKbPfiPT4_PiiiibPKf
	.p2align	8
	.type	_ZN4vllm3moe10topkGatingILi4ELi128ELi4ELi16ELi64ElfLNS0_11ScoringFuncE0EEEvPKT5_PKbPfiPT4_PiiiibPKf,@function
_ZN4vllm3moe10topkGatingILi4ELi128ELi4ELi16ELi64ElfLNS0_11ScoringFuncE0EEEvPKT5_PKbPfiPT4_PiiiibPKf: ; @_ZN4vllm3moe10topkGatingILi4ELi128ELi4ELi16ELi64ElfLNS0_11ScoringFuncE0EEEvPKT5_PKbPfiPT4_PiiiibPKf
; %bb.0:
	s_load_b32 s14, s[0:1], 0x18
	v_bfe_u32 v1, v0, 10, 10
	v_and_b32_e32 v0, 0x3ff, v0
	s_lshl_b32 s2, s15, 3
	s_delay_alu instid0(VALU_DEP_2) | instskip(NEXT) | instid1(VALU_DEP_2)
	v_lshlrev_b32_e32 v1, 1, v1
	v_lshrrev_b32_e32 v2, 5, v0
	s_delay_alu instid0(VALU_DEP_1) | instskip(SKIP_2) | instid1(VALU_DEP_1)
	v_add3_u32 v8, s2, v1, v2
	s_mov_b32 s2, exec_lo
	s_waitcnt lgkmcnt(0)
	v_cmpx_gt_i32_e64 s14, v8
	s_cbranch_execz .LBB59_41
; %bb.1:
	s_clause 0x1
	s_load_b128 s[4:7], s[0:1], 0x0
	s_load_b64 s[12:13], s[0:1], 0x10
	s_mov_b32 s8, -1
	s_mov_b32 s15, -1
	s_waitcnt lgkmcnt(0)
	s_cmp_eq_u64 s[6:7], 0
	s_cbranch_scc1 .LBB59_3
; %bb.2:
	v_ashrrev_i32_e32 v2, 31, v8
	v_add_co_u32 v1, vcc_lo, s6, v8
	s_delay_alu instid0(VALU_DEP_2) | instskip(SKIP_3) | instid1(VALU_DEP_1)
	v_add_co_ci_u32_e32 v2, vcc_lo, s7, v2, vcc_lo
	global_load_u8 v1, v[1:2], off
	s_waitcnt vmcnt(0)
	v_and_b32_e32 v1, 1, v1
	v_cmp_eq_u32_e32 vcc_lo, 1, v1
	s_xor_b32 s2, vcc_lo, -1
	s_delay_alu instid0(SALU_CYCLE_1)
	s_or_not1_b32 s15, s2, exec_lo
.LBB59_3:
	v_lshlrev_b32_e32 v1, 7, v8
	v_and_b32_e32 v9, 31, v0
	v_mbcnt_lo_u32_b32 v4, -1, 0
	s_load_b64 s[2:3], s[0:1], 0x40
	s_delay_alu instid0(VALU_DEP_3) | instskip(NEXT) | instid1(VALU_DEP_2)
	v_ashrrev_i32_e32 v2, 31, v1
	v_xor_b32_e32 v5, 16, v4
	s_delay_alu instid0(VALU_DEP_2) | instskip(SKIP_1) | instid1(VALU_DEP_2)
	v_lshlrev_b64 v[0:1], 2, v[1:2]
	v_lshlrev_b32_e32 v2, 4, v9
	v_add_co_u32 v0, vcc_lo, s4, v0
	s_delay_alu instid0(VALU_DEP_3) | instskip(NEXT) | instid1(VALU_DEP_2)
	v_add_co_ci_u32_e32 v1, vcc_lo, s5, v1, vcc_lo
	v_add_co_u32 v0, vcc_lo, v0, v2
	s_delay_alu instid0(VALU_DEP_2)
	v_add_co_ci_u32_e32 v1, vcc_lo, 0, v1, vcc_lo
	v_cmp_gt_i32_e32 vcc_lo, 32, v5
	s_waitcnt lgkmcnt(0)
	s_cmp_eq_u64 s[2:3], 0
	global_load_b128 v[0:3], v[0:1], off
	v_cndmask_b32_e32 v5, v4, v5, vcc_lo
	s_waitcnt vmcnt(0)
	v_dual_max_f32 v6, v1, v1 :: v_dual_max_f32 v7, v0, v0
	s_delay_alu instid0(VALU_DEP_1) | instskip(SKIP_1) | instid1(VALU_DEP_1)
	v_max_f32_e32 v6, v7, v6
	v_xor_b32_e32 v7, 8, v4
	v_cmp_gt_i32_e32 vcc_lo, 32, v7
	v_lshlrev_b32_e32 v10, 2, v5
	s_delay_alu instid0(VALU_DEP_4) | instskip(SKIP_4) | instid1(VALU_DEP_1)
	v_max3_f32 v5, v6, v2, v3
	v_cndmask_b32_e32 v7, v4, v7, vcc_lo
	ds_bpermute_b32 v6, v10, v5
	v_lshlrev_b32_e32 v11, 2, v7
	v_xor_b32_e32 v7, 4, v4
	v_cmp_gt_i32_e32 vcc_lo, 32, v7
	v_cndmask_b32_e32 v7, v4, v7, vcc_lo
	s_delay_alu instid0(VALU_DEP_1) | instskip(SKIP_3) | instid1(VALU_DEP_2)
	v_lshlrev_b32_e32 v12, 2, v7
	s_waitcnt lgkmcnt(0)
	v_max_f32_e32 v6, v6, v6
	v_xor_b32_e32 v7, 2, v4
	v_max_f32_e32 v5, v5, v6
	s_delay_alu instid0(VALU_DEP_2) | instskip(SKIP_2) | instid1(VALU_DEP_1)
	v_cmp_gt_i32_e32 vcc_lo, 32, v7
	ds_bpermute_b32 v6, v11, v5
	v_cndmask_b32_e32 v7, v4, v7, vcc_lo
	v_lshlrev_b32_e32 v13, 2, v7
	v_xor_b32_e32 v7, 1, v4
	s_delay_alu instid0(VALU_DEP_1) | instskip(SKIP_3) | instid1(VALU_DEP_1)
	v_cmp_gt_i32_e32 vcc_lo, 32, v7
	v_cndmask_b32_e32 v4, v4, v7, vcc_lo
	s_waitcnt lgkmcnt(0)
	v_max_f32_e32 v6, v6, v6
	v_dual_max_f32 v5, v5, v6 :: v_dual_lshlrev_b32 v14, 2, v4
	ds_bpermute_b32 v6, v12, v5
	s_waitcnt lgkmcnt(0)
	v_max_f32_e32 v6, v6, v6
	s_delay_alu instid0(VALU_DEP_1) | instskip(SKIP_3) | instid1(VALU_DEP_1)
	v_max_f32_e32 v5, v5, v6
	ds_bpermute_b32 v6, v13, v5
	s_waitcnt lgkmcnt(0)
	v_max_f32_e32 v6, v6, v6
	v_max_f32_e32 v4, v5, v6
	ds_bpermute_b32 v5, v14, v4
	s_waitcnt lgkmcnt(0)
	v_max_f32_e32 v5, v5, v5
	s_delay_alu instid0(VALU_DEP_1) | instskip(NEXT) | instid1(VALU_DEP_1)
	v_max_f32_e32 v4, v4, v5
	v_sub_f32_e32 v3, v3, v4
	s_delay_alu instid0(VALU_DEP_1) | instskip(SKIP_2) | instid1(VALU_DEP_3)
	v_dual_mul_f32 v7, 0x3fb8aa3b, v3 :: v_dual_sub_f32 v2, v2, v4
	v_sub_f32_e32 v1, v1, v4
	v_sub_f32_e32 v0, v0, v4
	v_rndne_f32_e32 v22, v7
	s_delay_alu instid0(VALU_DEP_3) | instskip(NEXT) | instid1(VALU_DEP_3)
	v_dual_mul_f32 v6, 0x3fb8aa3b, v2 :: v_dual_mul_f32 v5, 0x3fb8aa3b, v1
	v_cmp_ngt_f32_e32 vcc_lo, 0xc2ce8ed0, v0
	s_delay_alu instid0(VALU_DEP_2) | instskip(NEXT) | instid1(VALU_DEP_3)
	v_fma_f32 v19, 0x3fb8aa3b, v2, -v6
	v_rndne_f32_e32 v18, v5
	v_mul_f32_e32 v4, 0x3fb8aa3b, v0
	v_fma_f32 v17, 0x3fb8aa3b, v1, -v5
	v_rndne_f32_e32 v20, v6
	v_fmac_f32_e32 v19, 0x32a5705f, v2
	v_sub_f32_e32 v5, v5, v18
	v_fma_f32 v15, 0x3fb8aa3b, v0, -v4
	v_rndne_f32_e32 v16, v4
	v_dual_sub_f32 v6, v6, v20 :: v_dual_fmac_f32 v17, 0x32a5705f, v1
	s_delay_alu instid0(VALU_DEP_3) | instskip(NEXT) | instid1(VALU_DEP_3)
	v_fmac_f32_e32 v15, 0x32a5705f, v0
	v_sub_f32_e32 v4, v4, v16
	s_delay_alu instid0(VALU_DEP_3) | instskip(SKIP_1) | instid1(VALU_DEP_3)
	v_dual_add_f32 v6, v6, v19 :: v_dual_add_f32 v5, v5, v17
	v_cvt_i32_f32_e32 v17, v20
	v_add_f32_e32 v4, v4, v15
	v_cvt_i32_f32_e32 v15, v16
	s_delay_alu instid0(VALU_DEP_4)
	v_exp_f32_e32 v5, v5
	v_fma_f32 v21, 0x3fb8aa3b, v3, -v7
	v_exp_f32_e32 v6, v6
	v_exp_f32_e32 v4, v4
	v_cvt_i32_f32_e32 v16, v18
	v_cvt_i32_f32_e32 v18, v22
	s_delay_alu instid0(TRANS32_DEP_3) | instid1(VALU_DEP_2)
	v_ldexp_f32 v5, v5, v16
	s_waitcnt_depctr 0xfff
	v_ldexp_f32 v6, v6, v17
	v_ldexp_f32 v4, v4, v15
	s_delay_alu instid0(VALU_DEP_1)
	v_dual_fmac_f32 v21, 0x32a5705f, v3 :: v_dual_cndmask_b32 v4, 0, v4
	v_cmp_ngt_f32_e32 vcc_lo, 0xc2ce8ed0, v1
	v_cndmask_b32_e32 v5, 0, v5, vcc_lo
	v_cmp_ngt_f32_e32 vcc_lo, 0xc2ce8ed0, v2
	v_cndmask_b32_e32 v6, 0, v6, vcc_lo
	v_cmp_nlt_f32_e32 vcc_lo, 0x42b17218, v0
	v_dual_sub_f32 v7, v7, v22 :: v_dual_cndmask_b32 v0, 0x7f800000, v4
	s_delay_alu instid0(VALU_DEP_1) | instskip(SKIP_1) | instid1(VALU_DEP_2)
	v_add_f32_e32 v7, v7, v21
	v_cmp_nlt_f32_e32 vcc_lo, 0x42b17218, v1
	v_exp_f32_e32 v7, v7
	v_cndmask_b32_e32 v1, 0x7f800000, v5, vcc_lo
	v_cmp_ngt_f32_e32 vcc_lo, 0xc2ce8ed0, v3
	s_delay_alu instid0(VALU_DEP_2) | instskip(SKIP_2) | instid1(VALU_DEP_1)
	v_add_f32_e32 v5, v0, v1
	s_waitcnt_depctr 0xfff
	v_ldexp_f32 v7, v7, v18
	v_cndmask_b32_e32 v4, 0, v7, vcc_lo
	v_cmp_nlt_f32_e32 vcc_lo, 0x42b17218, v2
	v_cndmask_b32_e32 v2, 0x7f800000, v6, vcc_lo
	v_cmp_nlt_f32_e32 vcc_lo, 0x42b17218, v3
	s_delay_alu instid0(VALU_DEP_2) | instskip(NEXT) | instid1(VALU_DEP_1)
	v_dual_cndmask_b32 v3, 0x7f800000, v4 :: v_dual_add_f32 v4, v5, v2
	v_add_f32_e32 v4, v4, v3
	ds_bpermute_b32 v5, v10, v4
	s_waitcnt lgkmcnt(0)
	v_add_f32_e32 v4, v4, v5
	ds_bpermute_b32 v5, v11, v4
	s_waitcnt lgkmcnt(0)
	;; [unrolled: 3-line block ×5, first 2 shown]
	v_add_f32_e32 v4, v4, v5
	s_delay_alu instid0(VALU_DEP_1) | instskip(SKIP_1) | instid1(VALU_DEP_2)
	v_div_scale_f32 v5, null, v4, v4, 1.0
	v_div_scale_f32 v15, vcc_lo, 1.0, v4, 1.0
	v_rcp_f32_e32 v6, v5
	s_waitcnt_depctr 0xfff
	v_fma_f32 v7, -v5, v6, 1.0
	s_delay_alu instid0(VALU_DEP_1) | instskip(NEXT) | instid1(VALU_DEP_1)
	v_fmac_f32_e32 v6, v7, v6
	v_mul_f32_e32 v7, v15, v6
	s_delay_alu instid0(VALU_DEP_1) | instskip(NEXT) | instid1(VALU_DEP_1)
	v_fma_f32 v16, -v5, v7, v15
	v_fmac_f32_e32 v7, v16, v6
	s_delay_alu instid0(VALU_DEP_1) | instskip(SKIP_1) | instid1(VALU_DEP_2)
	v_fma_f32 v5, -v5, v7, v15
	v_lshlrev_b32_e32 v15, 2, v9
	v_div_fmas_f32 v5, v5, v6, v7
	s_delay_alu instid0(VALU_DEP_1) | instskip(NEXT) | instid1(VALU_DEP_1)
	v_div_fixup_f32 v4, v5, v4, 1.0
	v_mul_f32_e32 v0, v4, v0
	v_mul_f32_e32 v2, v4, v2
	;; [unrolled: 1-line block ×4, first 2 shown]
	s_delay_alu instid0(VALU_DEP_4) | instskip(SKIP_1) | instid1(VALU_DEP_4)
	v_cmp_class_f32_e64 vcc_lo, v0, 0x1f8
	v_cndmask_b32_e32 v0, 0, v0, vcc_lo
	v_cmp_class_f32_e64 vcc_lo, v1, 0x1f8
	v_cndmask_b32_e32 v1, 0, v1, vcc_lo
	;; [unrolled: 2-line block ×4, first 2 shown]
	s_cbranch_scc1 .LBB59_35
; %bb.4:
	v_lshlrev_b32_e32 v4, 2, v15
	global_load_b128 v[4:7], v4, s[2:3]
	s_waitcnt vmcnt(0)
	v_dual_add_f32 v5, v5, v1 :: v_dual_add_f32 v4, v4, v0
	v_dual_add_f32 v7, v7, v3 :: v_dual_add_f32 v6, v6, v2
	s_cbranch_execnz .LBB59_6
.LBB59_5:
	v_dual_mov_b32 v7, v3 :: v_dual_mov_b32 v6, v2
	v_dual_mov_b32 v5, v1 :: v_dual_mov_b32 v4, v0
.LBB59_6:
	s_load_b128 s[4:7], s[0:1], 0x30
	v_cmp_eq_u32_e64 s2, 0, v9
	s_waitcnt lgkmcnt(0)
	s_bitcmp1_b32 s7, 0
	s_mov_b32 s7, 0
	s_cselect_b32 vcc_lo, -1, 0
	s_cmp_gt_i32 s4, 0
	s_cselect_b32 s3, -1, 0
	s_cmp_lt_i32 s4, 1
	s_cbranch_scc1 .LBB59_36
; %bb.7:
	s_load_b128 s[8:11], s[0:1], 0x20
	v_mul_lo_u32 v17, v8, s4
	v_mov_b32_e32 v16, 0
	v_mov_b32_e32 v18, v8
	s_branch .LBB59_10
.LBB59_8:                               ;   in Loop: Header=BB59_10 Depth=1
	s_or_b32 exec_lo, exec_lo, s1
.LBB59_9:                               ;   in Loop: Header=BB59_10 Depth=1
	v_add_nc_u32_e32 v18, s14, v18
	s_cmp_eq_u32 s4, s7
	s_cbranch_scc1 .LBB59_37
.LBB59_10:                              ; =>This Inner Loop Header: Depth=1
	v_cmp_gt_f32_e64 s0, v5, v4
	s_mov_b32 s17, exec_lo
	s_delay_alu instid0(VALU_DEP_1) | instskip(SKIP_2) | instid1(VALU_DEP_3)
	v_cndmask_b32_e64 v19, v4, v5, s0
	v_cndmask_b32_e64 v20, 0, 1, s0
	;; [unrolled: 1-line block ×3, first 2 shown]
	v_cmp_gt_f32_e64 s1, v6, v19
	s_delay_alu instid0(VALU_DEP_1) | instskip(NEXT) | instid1(VALU_DEP_4)
	v_cndmask_b32_e64 v19, v19, v6, s1
	v_cndmask_b32_e64 v20, v20, 2, s1
	s_waitcnt lgkmcnt(0)
	v_cndmask_b32_e64 v22, v21, v2, s1
	s_delay_alu instid0(VALU_DEP_3) | instskip(NEXT) | instid1(VALU_DEP_1)
	v_cmp_gt_f32_e64 s0, v7, v19
	v_cndmask_b32_e64 v21, v19, v7, s0
	v_cndmask_b32_e64 v19, v20, 3, s0
	s_delay_alu instid0(VALU_DEP_4)
	v_cndmask_b32_e64 v20, v22, v3, s0
	ds_bpermute_b32 v22, v10, v21
	v_or_b32_e32 v19, v15, v19
	ds_bpermute_b32 v24, v10, v20
	ds_bpermute_b32 v23, v10, v19
	s_waitcnt lgkmcnt(0)
	v_cmp_lt_f32_e64 s16, v21, v22
	v_cmpx_nlt_f32_e32 v21, v22
; %bb.11:                               ;   in Loop: Header=BB59_10 Depth=1
	v_cmp_eq_f32_e64 s0, v21, v22
	v_cmp_lt_i32_e64 s1, v23, v19
	s_delay_alu instid0(VALU_DEP_1) | instskip(SKIP_2) | instid1(SALU_CYCLE_1)
	s_and_b32 s0, s0, s1
	s_and_not1_b32 s1, s16, exec_lo
	s_and_b32 s0, s0, exec_lo
	s_or_b32 s16, s1, s0
; %bb.12:                               ;   in Loop: Header=BB59_10 Depth=1
	s_or_b32 exec_lo, exec_lo, s17
	s_and_saveexec_b32 s0, s16
; %bb.13:                               ;   in Loop: Header=BB59_10 Depth=1
	v_dual_mov_b32 v20, v24 :: v_dual_mov_b32 v21, v22
	v_mov_b32_e32 v19, v23
; %bb.14:                               ;   in Loop: Header=BB59_10 Depth=1
	s_or_b32 exec_lo, exec_lo, s0
	ds_bpermute_b32 v23, v11, v21
	ds_bpermute_b32 v24, v11, v20
	;; [unrolled: 1-line block ×3, first 2 shown]
	s_mov_b32 s17, exec_lo
	s_waitcnt lgkmcnt(2)
	v_cmp_lt_f32_e64 s16, v21, v23
	v_cmpx_nlt_f32_e32 v21, v23
	s_cbranch_execz .LBB59_16
; %bb.15:                               ;   in Loop: Header=BB59_10 Depth=1
	v_cmp_eq_f32_e64 s0, v21, v23
	s_waitcnt lgkmcnt(0)
	v_cmp_lt_i32_e64 s1, v22, v19
	s_delay_alu instid0(VALU_DEP_1) | instskip(SKIP_2) | instid1(SALU_CYCLE_1)
	s_and_b32 s0, s0, s1
	s_and_not1_b32 s1, s16, exec_lo
	s_and_b32 s0, s0, exec_lo
	s_or_b32 s16, s1, s0
.LBB59_16:                              ;   in Loop: Header=BB59_10 Depth=1
	s_or_b32 exec_lo, exec_lo, s17
	s_delay_alu instid0(VALU_DEP_2)
	s_and_saveexec_b32 s0, s16
	s_cbranch_execz .LBB59_18
; %bb.17:                               ;   in Loop: Header=BB59_10 Depth=1
	s_waitcnt lgkmcnt(1)
	v_dual_mov_b32 v20, v24 :: v_dual_mov_b32 v21, v23
	s_waitcnt lgkmcnt(0)
	v_mov_b32_e32 v19, v22
.LBB59_18:                              ;   in Loop: Header=BB59_10 Depth=1
	s_or_b32 exec_lo, exec_lo, s0
	ds_bpermute_b32 v23, v12, v21
	s_waitcnt lgkmcnt(2)
	ds_bpermute_b32 v24, v12, v20
	s_waitcnt lgkmcnt(2)
	ds_bpermute_b32 v22, v12, v19
	s_mov_b32 s17, exec_lo
	s_waitcnt lgkmcnt(2)
	v_cmp_lt_f32_e64 s16, v21, v23
	v_cmpx_nlt_f32_e32 v21, v23
	s_cbranch_execz .LBB59_20
; %bb.19:                               ;   in Loop: Header=BB59_10 Depth=1
	v_cmp_eq_f32_e64 s0, v21, v23
	s_waitcnt lgkmcnt(0)
	v_cmp_lt_i32_e64 s1, v22, v19
	s_delay_alu instid0(VALU_DEP_1) | instskip(SKIP_2) | instid1(SALU_CYCLE_1)
	s_and_b32 s0, s0, s1
	s_and_not1_b32 s1, s16, exec_lo
	s_and_b32 s0, s0, exec_lo
	s_or_b32 s16, s1, s0
.LBB59_20:                              ;   in Loop: Header=BB59_10 Depth=1
	s_or_b32 exec_lo, exec_lo, s17
	s_delay_alu instid0(VALU_DEP_2)
	s_and_saveexec_b32 s0, s16
	s_cbranch_execz .LBB59_22
; %bb.21:                               ;   in Loop: Header=BB59_10 Depth=1
	s_waitcnt lgkmcnt(1)
	v_dual_mov_b32 v20, v24 :: v_dual_mov_b32 v21, v23
	s_waitcnt lgkmcnt(0)
	v_mov_b32_e32 v19, v22
.LBB59_22:                              ;   in Loop: Header=BB59_10 Depth=1
	s_or_b32 exec_lo, exec_lo, s0
	ds_bpermute_b32 v23, v13, v21
	s_waitcnt lgkmcnt(2)
	ds_bpermute_b32 v24, v13, v20
	s_waitcnt lgkmcnt(2)
	ds_bpermute_b32 v22, v13, v19
	s_mov_b32 s17, exec_lo
	s_waitcnt lgkmcnt(2)
	v_cmp_lt_f32_e64 s16, v21, v23
	v_cmpx_nlt_f32_e32 v21, v23
	s_cbranch_execz .LBB59_24
; %bb.23:                               ;   in Loop: Header=BB59_10 Depth=1
	v_cmp_eq_f32_e64 s0, v21, v23
	s_waitcnt lgkmcnt(0)
	v_cmp_lt_i32_e64 s1, v22, v19
	s_delay_alu instid0(VALU_DEP_1) | instskip(SKIP_2) | instid1(SALU_CYCLE_1)
	s_and_b32 s0, s0, s1
	s_and_not1_b32 s1, s16, exec_lo
	s_and_b32 s0, s0, exec_lo
	s_or_b32 s16, s1, s0
.LBB59_24:                              ;   in Loop: Header=BB59_10 Depth=1
	s_or_b32 exec_lo, exec_lo, s17
	s_delay_alu instid0(VALU_DEP_2)
	s_and_saveexec_b32 s0, s16
	s_cbranch_execz .LBB59_26
; %bb.25:                               ;   in Loop: Header=BB59_10 Depth=1
	s_waitcnt lgkmcnt(1)
	v_dual_mov_b32 v20, v24 :: v_dual_mov_b32 v21, v23
	s_waitcnt lgkmcnt(0)
	v_mov_b32_e32 v19, v22
.LBB59_26:                              ;   in Loop: Header=BB59_10 Depth=1
	s_or_b32 exec_lo, exec_lo, s0
	s_waitcnt lgkmcnt(1)
	ds_bpermute_b32 v24, v14, v21
	ds_bpermute_b32 v23, v14, v20
	s_waitcnt lgkmcnt(2)
	ds_bpermute_b32 v22, v14, v19
	s_mov_b32 s17, exec_lo
	s_waitcnt lgkmcnt(2)
	v_cmp_lt_f32_e64 s16, v21, v24
	v_cmpx_nlt_f32_e32 v21, v24
	s_cbranch_execnz .LBB59_30
; %bb.27:                               ;   in Loop: Header=BB59_10 Depth=1
	s_or_b32 exec_lo, exec_lo, s17
	s_delay_alu instid0(VALU_DEP_2)
	s_and_saveexec_b32 s0, s16
	s_cbranch_execnz .LBB59_31
.LBB59_28:                              ;   in Loop: Header=BB59_10 Depth=1
	s_or_b32 exec_lo, exec_lo, s0
	s_and_saveexec_b32 s16, s2
	s_cbranch_execnz .LBB59_32
.LBB59_29:                              ;   in Loop: Header=BB59_10 Depth=1
	s_or_b32 exec_lo, exec_lo, s16
	s_add_i32 s7, s7, 1
	s_delay_alu instid0(SALU_CYCLE_1)
	s_cmp_ge_i32 s7, s4
	s_cbranch_scc1 .LBB59_9
	s_branch .LBB59_33
.LBB59_30:                              ;   in Loop: Header=BB59_10 Depth=1
	v_cmp_eq_f32_e64 s0, v21, v24
	s_waitcnt lgkmcnt(0)
	v_cmp_lt_i32_e64 s1, v22, v19
	s_delay_alu instid0(VALU_DEP_1) | instskip(SKIP_2) | instid1(SALU_CYCLE_1)
	s_and_b32 s0, s0, s1
	s_and_not1_b32 s1, s16, exec_lo
	s_and_b32 s0, s0, exec_lo
	s_or_b32 s16, s1, s0
	s_or_b32 exec_lo, exec_lo, s17
	s_and_saveexec_b32 s0, s16
	s_cbranch_execz .LBB59_28
.LBB59_31:                              ;   in Loop: Header=BB59_10 Depth=1
	s_waitcnt lgkmcnt(0)
	v_dual_mov_b32 v20, v23 :: v_dual_mov_b32 v19, v22
	s_or_b32 exec_lo, exec_lo, s0
	s_and_saveexec_b32 s16, s2
	s_cbranch_execz .LBB59_29
.LBB59_32:                              ;   in Loop: Header=BB59_10 Depth=1
	v_add_nc_u32_e32 v21, s7, v17
	v_subrev_nc_u32_e32 v25, s5, v19
	v_cmp_le_i32_e64 s0, s5, v19
	v_cmp_gt_i32_e64 s1, s6, v19
	v_add_f32_e32 v29, v16, v20
	s_waitcnt lgkmcnt(0)
	v_ashrrev_i32_e32 v22, 31, v21
	v_ashrrev_i32_e32 v26, 31, v25
	s_and_b32 s0, s0, s1
	v_cndmask_b32_e32 v16, v16, v29, vcc_lo
	s_delay_alu instid0(VALU_DEP_3) | instskip(SKIP_2) | instid1(SALU_CYCLE_1)
	v_lshlrev_b64 v[23:24], 2, v[21:22]
	v_lshlrev_b64 v[21:22], 3, v[21:22]
	s_and_b32 s0, s15, s0
	v_cndmask_b32_e64 v26, 0, v26, s0
	v_cndmask_b32_e64 v25, 0x80, v25, s0
	s_delay_alu instid0(VALU_DEP_4) | instskip(NEXT) | instid1(VALU_DEP_1)
	v_add_co_u32 v27, s0, s12, v23
	v_add_co_ci_u32_e64 v28, s0, s13, v24, s0
	v_add_co_u32 v21, s0, s8, v21
	s_delay_alu instid0(VALU_DEP_1) | instskip(SKIP_1) | instid1(VALU_DEP_1)
	v_add_co_ci_u32_e64 v22, s0, s9, v22, s0
	v_add_co_u32 v23, s0, s10, v23
	v_add_co_ci_u32_e64 v24, s0, s11, v24, s0
	global_store_b32 v[27:28], v20, off
	global_store_b64 v[21:22], v[25:26], off
	global_store_b32 v[23:24], v18, off
	s_or_b32 exec_lo, exec_lo, s16
	s_add_i32 s7, s7, 1
	s_delay_alu instid0(SALU_CYCLE_1)
	s_cmp_ge_i32 s7, s4
	s_cbranch_scc1 .LBB59_9
.LBB59_33:                              ;   in Loop: Header=BB59_10 Depth=1
	v_ashrrev_i32_e32 v20, 31, v19
	s_mov_b32 s1, exec_lo
	s_delay_alu instid0(VALU_DEP_1) | instskip(NEXT) | instid1(VALU_DEP_1)
	v_lshrrev_b32_e32 v21, 30, v20
	v_add_nc_u32_e32 v21, v19, v21
	s_waitcnt lgkmcnt(0)
	s_delay_alu instid0(VALU_DEP_1) | instskip(SKIP_1) | instid1(VALU_DEP_2)
	v_ashrrev_i32_e32 v22, 31, v21
	v_ashrrev_i32_e32 v21, 2, v21
	v_lshrrev_b32_e32 v22, 27, v22
	s_delay_alu instid0(VALU_DEP_1) | instskip(NEXT) | instid1(VALU_DEP_1)
	v_add_nc_u32_e32 v22, v21, v22
	v_and_b32_e32 v22, 0xffffffe0, v22
	s_delay_alu instid0(VALU_DEP_1) | instskip(NEXT) | instid1(VALU_DEP_1)
	v_sub_nc_u32_e32 v22, v21, v22
	v_cmpx_eq_u32_e64 v9, v22
	s_cbranch_execz .LBB59_8
; %bb.34:                               ;   in Loop: Header=BB59_10 Depth=1
	v_lshrrev_b32_e32 v20, 25, v20
	v_lshlrev_b32_e32 v21, 2, v21
	s_delay_alu instid0(VALU_DEP_2) | instskip(NEXT) | instid1(VALU_DEP_2)
	v_add_nc_u32_e32 v20, v19, v20
	v_sub_nc_u32_e32 v19, v19, v21
	s_delay_alu instid0(VALU_DEP_2) | instskip(NEXT) | instid1(VALU_DEP_1)
	v_ashrrev_i32_e32 v20, 7, v20
	v_lshl_add_u32 v19, v20, 2, v19
	s_delay_alu instid0(VALU_DEP_1) | instskip(NEXT) | instid1(VALU_DEP_1)
	v_cmp_ne_u32_e64 s0, 3, v19
	v_cndmask_b32_e64 v7, 0xc61c4000, v7, s0
	v_cmp_ne_u32_e64 s0, 2, v19
	s_delay_alu instid0(VALU_DEP_1) | instskip(SKIP_1) | instid1(VALU_DEP_1)
	v_cndmask_b32_e64 v6, 0xc61c4000, v6, s0
	v_cmp_ne_u32_e64 s0, 1, v19
	v_cndmask_b32_e64 v5, 0xc61c4000, v5, s0
	v_cmp_ne_u32_e64 s0, 0, v19
	s_delay_alu instid0(VALU_DEP_1)
	v_cndmask_b32_e64 v4, 0xc61c4000, v4, s0
	s_branch .LBB59_8
.LBB59_35:
                                        ; implicit-def: $vgpr4_vgpr5_vgpr6_vgpr7
	s_and_not1_b32 vcc_lo, exec_lo, s8
	s_cbranch_vccz .LBB59_5
	s_branch .LBB59_6
.LBB59_36:
	v_mov_b32_e32 v16, 0
.LBB59_37:
	v_cmp_eq_u32_e64 s0, 0, v9
	s_delay_alu instid0(VALU_DEP_1) | instskip(NEXT) | instid1(SALU_CYCLE_1)
	s_and_b32 s0, s0, vcc_lo
	s_and_b32 exec_lo, exec_lo, s0
	s_cbranch_execz .LBB59_41
; %bb.38:
	s_and_not1_b32 vcc_lo, exec_lo, s3
	s_cbranch_vccnz .LBB59_41
; %bb.39:
	v_mul_lo_u32 v0, v8, s4
	v_cmp_lt_f32_e32 vcc_lo, 0, v16
	v_cndmask_b32_e32 v2, 1.0, v16, vcc_lo
	s_delay_alu instid0(VALU_DEP_3) | instskip(NEXT) | instid1(VALU_DEP_1)
	v_ashrrev_i32_e32 v1, 31, v0
	v_lshlrev_b64 v[0:1], 2, v[0:1]
	s_delay_alu instid0(VALU_DEP_1) | instskip(NEXT) | instid1(VALU_DEP_2)
	v_add_co_u32 v0, vcc_lo, s12, v0
	v_add_co_ci_u32_e32 v1, vcc_lo, s13, v1, vcc_lo
	.p2align	6
.LBB59_40:                              ; =>This Inner Loop Header: Depth=1
	global_load_b32 v3, v[0:1], off
	s_add_i32 s4, s4, -1
	s_delay_alu instid0(SALU_CYCLE_1) | instskip(SKIP_3) | instid1(VALU_DEP_2)
	s_cmp_lg_u32 s4, 0
	s_waitcnt vmcnt(0)
	v_div_scale_f32 v4, null, v2, v2, v3
	v_div_scale_f32 v7, vcc_lo, v3, v2, v3
	v_rcp_f32_e32 v5, v4
	s_waitcnt_depctr 0xfff
	v_fma_f32 v6, -v4, v5, 1.0
	s_delay_alu instid0(VALU_DEP_1) | instskip(NEXT) | instid1(VALU_DEP_1)
	v_fmac_f32_e32 v5, v6, v5
	v_mul_f32_e32 v6, v7, v5
	s_delay_alu instid0(VALU_DEP_1) | instskip(NEXT) | instid1(VALU_DEP_1)
	v_fma_f32 v8, -v4, v6, v7
	v_fmac_f32_e32 v6, v8, v5
	s_delay_alu instid0(VALU_DEP_1) | instskip(NEXT) | instid1(VALU_DEP_1)
	v_fma_f32 v4, -v4, v6, v7
	v_div_fmas_f32 v4, v4, v5, v6
	s_delay_alu instid0(VALU_DEP_1)
	v_div_fixup_f32 v3, v4, v2, v3
	global_store_b32 v[0:1], v3, off
	v_add_co_u32 v0, vcc_lo, v0, 4
	v_add_co_ci_u32_e32 v1, vcc_lo, 0, v1, vcc_lo
	s_cbranch_scc1 .LBB59_40
.LBB59_41:
	s_nop 0
	s_sendmsg sendmsg(MSG_DEALLOC_VGPRS)
	s_endpgm
	.section	.rodata,"a",@progbits
	.p2align	6, 0x0
	.amdhsa_kernel _ZN4vllm3moe10topkGatingILi4ELi128ELi4ELi16ELi64ElfLNS0_11ScoringFuncE0EEEvPKT5_PKbPfiPT4_PiiiibPKf
		.amdhsa_group_segment_fixed_size 0
		.amdhsa_private_segment_fixed_size 0
		.amdhsa_kernarg_size 72
		.amdhsa_user_sgpr_count 15
		.amdhsa_user_sgpr_dispatch_ptr 0
		.amdhsa_user_sgpr_queue_ptr 0
		.amdhsa_user_sgpr_kernarg_segment_ptr 1
		.amdhsa_user_sgpr_dispatch_id 0
		.amdhsa_user_sgpr_private_segment_size 0
		.amdhsa_wavefront_size32 1
		.amdhsa_uses_dynamic_stack 0
		.amdhsa_enable_private_segment 0
		.amdhsa_system_sgpr_workgroup_id_x 1
		.amdhsa_system_sgpr_workgroup_id_y 0
		.amdhsa_system_sgpr_workgroup_id_z 0
		.amdhsa_system_sgpr_workgroup_info 0
		.amdhsa_system_vgpr_workitem_id 1
		.amdhsa_next_free_vgpr 30
		.amdhsa_next_free_sgpr 18
		.amdhsa_reserve_vcc 1
		.amdhsa_float_round_mode_32 0
		.amdhsa_float_round_mode_16_64 0
		.amdhsa_float_denorm_mode_32 3
		.amdhsa_float_denorm_mode_16_64 3
		.amdhsa_dx10_clamp 1
		.amdhsa_ieee_mode 1
		.amdhsa_fp16_overflow 0
		.amdhsa_workgroup_processor_mode 1
		.amdhsa_memory_ordered 1
		.amdhsa_forward_progress 0
		.amdhsa_shared_vgpr_count 0
		.amdhsa_exception_fp_ieee_invalid_op 0
		.amdhsa_exception_fp_denorm_src 0
		.amdhsa_exception_fp_ieee_div_zero 0
		.amdhsa_exception_fp_ieee_overflow 0
		.amdhsa_exception_fp_ieee_underflow 0
		.amdhsa_exception_fp_ieee_inexact 0
		.amdhsa_exception_int_div_zero 0
	.end_amdhsa_kernel
	.section	.text._ZN4vllm3moe10topkGatingILi4ELi128ELi4ELi16ELi64ElfLNS0_11ScoringFuncE0EEEvPKT5_PKbPfiPT4_PiiiibPKf,"axG",@progbits,_ZN4vllm3moe10topkGatingILi4ELi128ELi4ELi16ELi64ElfLNS0_11ScoringFuncE0EEEvPKT5_PKbPfiPT4_PiiiibPKf,comdat
.Lfunc_end59:
	.size	_ZN4vllm3moe10topkGatingILi4ELi128ELi4ELi16ELi64ElfLNS0_11ScoringFuncE0EEEvPKT5_PKbPfiPT4_PiiiibPKf, .Lfunc_end59-_ZN4vllm3moe10topkGatingILi4ELi128ELi4ELi16ELi64ElfLNS0_11ScoringFuncE0EEEvPKT5_PKbPfiPT4_PiiiibPKf
                                        ; -- End function
	.section	.AMDGPU.csdata,"",@progbits
; Kernel info:
; codeLenInByte = 2772
; NumSgprs: 20
; NumVgprs: 30
; ScratchSize: 0
; MemoryBound: 0
; FloatMode: 240
; IeeeMode: 1
; LDSByteSize: 0 bytes/workgroup (compile time only)
; SGPRBlocks: 2
; VGPRBlocks: 3
; NumSGPRsForWavesPerEU: 20
; NumVGPRsForWavesPerEU: 30
; Occupancy: 16
; WaveLimiterHint : 0
; COMPUTE_PGM_RSRC2:SCRATCH_EN: 0
; COMPUTE_PGM_RSRC2:USER_SGPR: 15
; COMPUTE_PGM_RSRC2:TRAP_HANDLER: 0
; COMPUTE_PGM_RSRC2:TGID_X_EN: 1
; COMPUTE_PGM_RSRC2:TGID_Y_EN: 0
; COMPUTE_PGM_RSRC2:TGID_Z_EN: 0
; COMPUTE_PGM_RSRC2:TIDIG_COMP_CNT: 1
	.section	.text._ZN4vllm3moe10topkGatingILi4ELi128ELi4ELi16ELi32ElfLNS0_11ScoringFuncE0EEEvPKT5_PKbPfiPT4_PiiiibPKf,"axG",@progbits,_ZN4vllm3moe10topkGatingILi4ELi128ELi4ELi16ELi32ElfLNS0_11ScoringFuncE0EEEvPKT5_PKbPfiPT4_PiiiibPKf,comdat
	.protected	_ZN4vllm3moe10topkGatingILi4ELi128ELi4ELi16ELi32ElfLNS0_11ScoringFuncE0EEEvPKT5_PKbPfiPT4_PiiiibPKf ; -- Begin function _ZN4vllm3moe10topkGatingILi4ELi128ELi4ELi16ELi32ElfLNS0_11ScoringFuncE0EEEvPKT5_PKbPfiPT4_PiiiibPKf
	.globl	_ZN4vllm3moe10topkGatingILi4ELi128ELi4ELi16ELi32ElfLNS0_11ScoringFuncE0EEEvPKT5_PKbPfiPT4_PiiiibPKf
	.p2align	8
	.type	_ZN4vllm3moe10topkGatingILi4ELi128ELi4ELi16ELi32ElfLNS0_11ScoringFuncE0EEEvPKT5_PKbPfiPT4_PiiiibPKf,@function
_ZN4vllm3moe10topkGatingILi4ELi128ELi4ELi16ELi32ElfLNS0_11ScoringFuncE0EEEvPKT5_PKbPfiPT4_PiiiibPKf: ; @_ZN4vllm3moe10topkGatingILi4ELi128ELi4ELi16ELi32ElfLNS0_11ScoringFuncE0EEEvPKT5_PKbPfiPT4_PiiiibPKf
; %bb.0:
	s_load_b32 s14, s[0:1], 0x18
	v_and_b32_e32 v1, 0x3ff, v0
	v_bfe_u32 v0, v0, 10, 10
	s_lshl_b32 s2, s15, 2
	s_delay_alu instid0(VALU_DEP_2) | instskip(NEXT) | instid1(VALU_DEP_1)
	v_lshrrev_b32_e32 v2, 5, v1
	v_add3_u32 v8, s2, v0, v2
	s_mov_b32 s2, exec_lo
	s_waitcnt lgkmcnt(0)
	s_delay_alu instid0(VALU_DEP_1)
	v_cmpx_gt_i32_e64 s14, v8
	s_cbranch_execz .LBB60_41
; %bb.1:
	s_clause 0x1
	s_load_b128 s[4:7], s[0:1], 0x0
	s_load_b64 s[12:13], s[0:1], 0x10
	s_mov_b32 s8, -1
	s_mov_b32 s15, -1
	s_waitcnt lgkmcnt(0)
	s_cmp_eq_u64 s[6:7], 0
	s_cbranch_scc1 .LBB60_3
; %bb.2:
	v_ashrrev_i32_e32 v0, 31, v8
	v_add_co_u32 v2, vcc_lo, s6, v8
	s_delay_alu instid0(VALU_DEP_2) | instskip(SKIP_3) | instid1(VALU_DEP_1)
	v_add_co_ci_u32_e32 v3, vcc_lo, s7, v0, vcc_lo
	global_load_u8 v0, v[2:3], off
	s_waitcnt vmcnt(0)
	v_and_b32_e32 v0, 1, v0
	v_cmp_eq_u32_e32 vcc_lo, 1, v0
	s_xor_b32 s2, vcc_lo, -1
	s_delay_alu instid0(SALU_CYCLE_1)
	s_or_not1_b32 s15, s2, exec_lo
.LBB60_3:
	v_mbcnt_lo_u32_b32 v4, -1, 0
	v_and_b32_e32 v9, 31, v1
	s_load_b64 s[2:3], s[0:1], 0x40
	s_delay_alu instid0(VALU_DEP_2) | instskip(SKIP_1) | instid1(VALU_DEP_1)
	v_xor_b32_e32 v5, 16, v4
	v_lshlrev_b32_e32 v2, 7, v8
	v_ashrrev_i32_e32 v3, 31, v2
	s_delay_alu instid0(VALU_DEP_1) | instskip(SKIP_3) | instid1(VALU_DEP_2)
	v_lshlrev_b64 v[0:1], 2, v[2:3]
	v_lshlrev_b32_e32 v2, 4, v9
	s_waitcnt lgkmcnt(0)
	s_cmp_eq_u64 s[2:3], 0
	v_add_co_u32 v0, vcc_lo, s4, v0
	s_delay_alu instid0(VALU_DEP_3) | instskip(NEXT) | instid1(VALU_DEP_2)
	v_add_co_ci_u32_e32 v1, vcc_lo, s5, v1, vcc_lo
	v_add_co_u32 v0, vcc_lo, v0, v2
	s_delay_alu instid0(VALU_DEP_2) | instskip(SKIP_3) | instid1(VALU_DEP_1)
	v_add_co_ci_u32_e32 v1, vcc_lo, 0, v1, vcc_lo
	v_cmp_gt_i32_e32 vcc_lo, 32, v5
	global_load_b128 v[0:3], v[0:1], off
	v_cndmask_b32_e32 v5, v4, v5, vcc_lo
	v_lshlrev_b32_e32 v10, 2, v5
	s_waitcnt vmcnt(0)
	v_dual_max_f32 v6, v1, v1 :: v_dual_max_f32 v7, v0, v0
	s_delay_alu instid0(VALU_DEP_1) | instskip(SKIP_1) | instid1(VALU_DEP_2)
	v_max_f32_e32 v6, v7, v6
	v_xor_b32_e32 v7, 8, v4
	v_max3_f32 v5, v6, v2, v3
	s_delay_alu instid0(VALU_DEP_2) | instskip(SKIP_2) | instid1(VALU_DEP_1)
	v_cmp_gt_i32_e32 vcc_lo, 32, v7
	ds_bpermute_b32 v6, v10, v5
	v_cndmask_b32_e32 v7, v4, v7, vcc_lo
	v_lshlrev_b32_e32 v11, 2, v7
	v_xor_b32_e32 v7, 4, v4
	s_delay_alu instid0(VALU_DEP_1) | instskip(SKIP_2) | instid1(VALU_DEP_1)
	v_cmp_gt_i32_e32 vcc_lo, 32, v7
	s_waitcnt lgkmcnt(0)
	v_max_f32_e32 v6, v6, v6
	v_max_f32_e32 v5, v5, v6
	ds_bpermute_b32 v6, v11, v5
	s_waitcnt lgkmcnt(0)
	v_dual_cndmask_b32 v7, v4, v7 :: v_dual_max_f32 v6, v6, v6
	s_delay_alu instid0(VALU_DEP_1) | instskip(SKIP_1) | instid1(VALU_DEP_3)
	v_lshlrev_b32_e32 v12, 2, v7
	v_xor_b32_e32 v7, 2, v4
	v_max_f32_e32 v5, v5, v6
	s_delay_alu instid0(VALU_DEP_2) | instskip(SKIP_3) | instid1(VALU_DEP_1)
	v_cmp_gt_i32_e32 vcc_lo, 32, v7
	ds_bpermute_b32 v6, v12, v5
	s_waitcnt lgkmcnt(0)
	v_dual_cndmask_b32 v7, v4, v7 :: v_dual_max_f32 v6, v6, v6
	v_lshlrev_b32_e32 v13, 2, v7
	v_xor_b32_e32 v7, 1, v4
	s_delay_alu instid0(VALU_DEP_1) | instskip(NEXT) | instid1(VALU_DEP_4)
	v_cmp_gt_i32_e32 vcc_lo, 32, v7
	v_dual_max_f32 v5, v5, v6 :: v_dual_cndmask_b32 v4, v4, v7
	ds_bpermute_b32 v6, v13, v5
	v_lshlrev_b32_e32 v14, 2, v4
	s_waitcnt lgkmcnt(0)
	v_max_f32_e32 v6, v6, v6
	s_delay_alu instid0(VALU_DEP_1) | instskip(SKIP_3) | instid1(VALU_DEP_1)
	v_max_f32_e32 v4, v5, v6
	ds_bpermute_b32 v5, v14, v4
	s_waitcnt lgkmcnt(0)
	v_max_f32_e32 v5, v5, v5
	v_max_f32_e32 v4, v4, v5
	s_delay_alu instid0(VALU_DEP_1) | instskip(NEXT) | instid1(VALU_DEP_1)
	v_sub_f32_e32 v3, v3, v4
	v_dual_mul_f32 v7, 0x3fb8aa3b, v3 :: v_dual_sub_f32 v2, v2, v4
	v_sub_f32_e32 v1, v1, v4
	s_delay_alu instid0(VALU_DEP_2) | instskip(NEXT) | instid1(VALU_DEP_2)
	v_rndne_f32_e32 v22, v7
	v_dual_mul_f32 v6, 0x3fb8aa3b, v2 :: v_dual_mul_f32 v5, 0x3fb8aa3b, v1
	s_delay_alu instid0(VALU_DEP_1) | instskip(NEXT) | instid1(VALU_DEP_2)
	v_rndne_f32_e32 v20, v6
	v_fma_f32 v17, 0x3fb8aa3b, v1, -v5
	v_sub_f32_e32 v0, v0, v4
	v_rndne_f32_e32 v18, v5
	s_delay_alu instid0(VALU_DEP_3) | instskip(NEXT) | instid1(VALU_DEP_2)
	v_fmac_f32_e32 v17, 0x32a5705f, v1
	v_dual_mul_f32 v4, 0x3fb8aa3b, v0 :: v_dual_sub_f32 v5, v5, v18
	v_fma_f32 v19, 0x3fb8aa3b, v2, -v6
	v_sub_f32_e32 v6, v6, v20
	v_cmp_ngt_f32_e32 vcc_lo, 0xc2ce8ed0, v0
	s_delay_alu instid0(VALU_DEP_4) | instskip(SKIP_2) | instid1(VALU_DEP_3)
	v_fma_f32 v15, 0x3fb8aa3b, v0, -v4
	v_rndne_f32_e32 v16, v4
	v_fmac_f32_e32 v19, 0x32a5705f, v2
	v_fmac_f32_e32 v15, 0x32a5705f, v0
	s_delay_alu instid0(VALU_DEP_3) | instskip(NEXT) | instid1(VALU_DEP_3)
	v_sub_f32_e32 v4, v4, v16
	v_add_f32_e32 v6, v6, v19
	s_delay_alu instid0(VALU_DEP_2) | instskip(SKIP_2) | instid1(VALU_DEP_4)
	v_add_f32_e32 v4, v4, v15
	v_cvt_i32_f32_e32 v15, v16
	v_fma_f32 v21, 0x3fb8aa3b, v3, -v7
	v_exp_f32_e32 v6, v6
	v_cvt_i32_f32_e32 v16, v18
	v_exp_f32_e32 v4, v4
	v_sub_f32_e32 v7, v7, v22
	v_fmac_f32_e32 v21, 0x32a5705f, v3
	v_cvt_i32_f32_e32 v18, v22
	s_waitcnt_depctr 0xfff
	v_ldexp_f32 v4, v4, v15
	v_add_f32_e32 v5, v5, v17
	v_cvt_i32_f32_e32 v17, v20
	s_delay_alu instid0(VALU_DEP_3) | instskip(NEXT) | instid1(VALU_DEP_3)
	v_cndmask_b32_e32 v4, 0, v4, vcc_lo
	v_exp_f32_e32 v5, v5
	v_cmp_ngt_f32_e32 vcc_lo, 0xc2ce8ed0, v1
	s_delay_alu instid0(VALU_DEP_3) | instskip(SKIP_2) | instid1(VALU_DEP_1)
	v_ldexp_f32 v6, v6, v17
	s_waitcnt_depctr 0xfff
	v_ldexp_f32 v5, v5, v16
	v_cndmask_b32_e32 v5, 0, v5, vcc_lo
	v_cmp_ngt_f32_e32 vcc_lo, 0xc2ce8ed0, v2
	v_dual_add_f32 v7, v7, v21 :: v_dual_cndmask_b32 v6, 0, v6
	s_delay_alu instid0(VALU_DEP_1)
	v_exp_f32_e32 v7, v7
	v_cmp_nlt_f32_e32 vcc_lo, 0x42b17218, v0
	v_cndmask_b32_e32 v0, 0x7f800000, v4, vcc_lo
	v_cmp_nlt_f32_e32 vcc_lo, 0x42b17218, v1
	s_waitcnt_depctr 0xfff
	v_ldexp_f32 v7, v7, v18
	v_cndmask_b32_e32 v1, 0x7f800000, v5, vcc_lo
	v_cmp_ngt_f32_e32 vcc_lo, 0xc2ce8ed0, v3
	s_delay_alu instid0(VALU_DEP_2) | instskip(SKIP_3) | instid1(VALU_DEP_2)
	v_dual_add_f32 v5, v0, v1 :: v_dual_cndmask_b32 v4, 0, v7
	v_cmp_nlt_f32_e32 vcc_lo, 0x42b17218, v2
	v_cndmask_b32_e32 v2, 0x7f800000, v6, vcc_lo
	v_cmp_nlt_f32_e32 vcc_lo, 0x42b17218, v3
	v_dual_cndmask_b32 v3, 0x7f800000, v4 :: v_dual_add_f32 v4, v5, v2
	s_delay_alu instid0(VALU_DEP_1)
	v_add_f32_e32 v4, v4, v3
	ds_bpermute_b32 v5, v10, v4
	s_waitcnt lgkmcnt(0)
	v_add_f32_e32 v4, v4, v5
	ds_bpermute_b32 v5, v11, v4
	s_waitcnt lgkmcnt(0)
	;; [unrolled: 3-line block ×5, first 2 shown]
	v_add_f32_e32 v4, v4, v5
	s_delay_alu instid0(VALU_DEP_1) | instskip(SKIP_1) | instid1(VALU_DEP_2)
	v_div_scale_f32 v5, null, v4, v4, 1.0
	v_div_scale_f32 v15, vcc_lo, 1.0, v4, 1.0
	v_rcp_f32_e32 v6, v5
	s_waitcnt_depctr 0xfff
	v_fma_f32 v7, -v5, v6, 1.0
	s_delay_alu instid0(VALU_DEP_1) | instskip(NEXT) | instid1(VALU_DEP_1)
	v_fmac_f32_e32 v6, v7, v6
	v_mul_f32_e32 v7, v15, v6
	s_delay_alu instid0(VALU_DEP_1) | instskip(NEXT) | instid1(VALU_DEP_1)
	v_fma_f32 v16, -v5, v7, v15
	v_fmac_f32_e32 v7, v16, v6
	s_delay_alu instid0(VALU_DEP_1) | instskip(SKIP_1) | instid1(VALU_DEP_2)
	v_fma_f32 v5, -v5, v7, v15
	v_lshlrev_b32_e32 v15, 2, v9
	v_div_fmas_f32 v5, v5, v6, v7
	s_delay_alu instid0(VALU_DEP_1) | instskip(NEXT) | instid1(VALU_DEP_1)
	v_div_fixup_f32 v4, v5, v4, 1.0
	v_mul_f32_e32 v1, v4, v1
	v_mul_f32_e32 v0, v4, v0
	;; [unrolled: 1-line block ×3, first 2 shown]
	s_delay_alu instid0(VALU_DEP_2)
	v_cmp_class_f32_e64 vcc_lo, v0, 0x1f8
	v_cndmask_b32_e32 v0, 0, v0, vcc_lo
	v_cmp_class_f32_e64 vcc_lo, v1, 0x1f8
	v_cndmask_b32_e32 v1, 0, v1, vcc_lo
	v_cmp_class_f32_e64 vcc_lo, v2, 0x1f8
	v_dual_mul_f32 v3, v4, v3 :: v_dual_cndmask_b32 v2, 0, v2
	s_delay_alu instid0(VALU_DEP_1)
	v_cmp_class_f32_e64 vcc_lo, v3, 0x1f8
	v_cndmask_b32_e32 v3, 0, v3, vcc_lo
	s_cbranch_scc1 .LBB60_35
; %bb.4:
	v_lshlrev_b32_e32 v4, 2, v15
	global_load_b128 v[4:7], v4, s[2:3]
	s_waitcnt vmcnt(0)
	v_dual_add_f32 v5, v5, v1 :: v_dual_add_f32 v4, v4, v0
	v_dual_add_f32 v7, v7, v3 :: v_dual_add_f32 v6, v6, v2
	s_cbranch_execnz .LBB60_6
.LBB60_5:
	v_dual_mov_b32 v7, v3 :: v_dual_mov_b32 v6, v2
	v_dual_mov_b32 v5, v1 :: v_dual_mov_b32 v4, v0
.LBB60_6:
	s_load_b128 s[4:7], s[0:1], 0x30
	v_cmp_eq_u32_e64 s2, 0, v9
	s_waitcnt lgkmcnt(0)
	s_bitcmp1_b32 s7, 0
	s_mov_b32 s7, 0
	s_cselect_b32 vcc_lo, -1, 0
	s_cmp_gt_i32 s4, 0
	s_cselect_b32 s3, -1, 0
	s_cmp_lt_i32 s4, 1
	s_cbranch_scc1 .LBB60_36
; %bb.7:
	s_load_b128 s[8:11], s[0:1], 0x20
	v_mul_lo_u32 v17, v8, s4
	v_mov_b32_e32 v16, 0
	v_mov_b32_e32 v18, v8
	s_branch .LBB60_10
.LBB60_8:                               ;   in Loop: Header=BB60_10 Depth=1
	s_or_b32 exec_lo, exec_lo, s1
.LBB60_9:                               ;   in Loop: Header=BB60_10 Depth=1
	v_add_nc_u32_e32 v18, s14, v18
	s_cmp_eq_u32 s4, s7
	s_cbranch_scc1 .LBB60_37
.LBB60_10:                              ; =>This Inner Loop Header: Depth=1
	v_cmp_gt_f32_e64 s0, v5, v4
	s_mov_b32 s17, exec_lo
	s_delay_alu instid0(VALU_DEP_1) | instskip(SKIP_2) | instid1(VALU_DEP_3)
	v_cndmask_b32_e64 v19, v4, v5, s0
	v_cndmask_b32_e64 v20, 0, 1, s0
	;; [unrolled: 1-line block ×3, first 2 shown]
	v_cmp_gt_f32_e64 s1, v6, v19
	s_delay_alu instid0(VALU_DEP_1) | instskip(NEXT) | instid1(VALU_DEP_4)
	v_cndmask_b32_e64 v19, v19, v6, s1
	v_cndmask_b32_e64 v20, v20, 2, s1
	s_waitcnt lgkmcnt(0)
	v_cndmask_b32_e64 v22, v21, v2, s1
	s_delay_alu instid0(VALU_DEP_3) | instskip(NEXT) | instid1(VALU_DEP_1)
	v_cmp_gt_f32_e64 s0, v7, v19
	v_cndmask_b32_e64 v21, v19, v7, s0
	v_cndmask_b32_e64 v19, v20, 3, s0
	s_delay_alu instid0(VALU_DEP_4)
	v_cndmask_b32_e64 v20, v22, v3, s0
	ds_bpermute_b32 v22, v10, v21
	v_or_b32_e32 v19, v15, v19
	ds_bpermute_b32 v24, v10, v20
	ds_bpermute_b32 v23, v10, v19
	s_waitcnt lgkmcnt(0)
	v_cmp_lt_f32_e64 s16, v21, v22
	v_cmpx_nlt_f32_e32 v21, v22
; %bb.11:                               ;   in Loop: Header=BB60_10 Depth=1
	v_cmp_eq_f32_e64 s0, v21, v22
	v_cmp_lt_i32_e64 s1, v23, v19
	s_delay_alu instid0(VALU_DEP_1) | instskip(SKIP_2) | instid1(SALU_CYCLE_1)
	s_and_b32 s0, s0, s1
	s_and_not1_b32 s1, s16, exec_lo
	s_and_b32 s0, s0, exec_lo
	s_or_b32 s16, s1, s0
; %bb.12:                               ;   in Loop: Header=BB60_10 Depth=1
	s_or_b32 exec_lo, exec_lo, s17
	s_and_saveexec_b32 s0, s16
; %bb.13:                               ;   in Loop: Header=BB60_10 Depth=1
	v_dual_mov_b32 v20, v24 :: v_dual_mov_b32 v21, v22
	v_mov_b32_e32 v19, v23
; %bb.14:                               ;   in Loop: Header=BB60_10 Depth=1
	s_or_b32 exec_lo, exec_lo, s0
	ds_bpermute_b32 v23, v11, v21
	ds_bpermute_b32 v24, v11, v20
	;; [unrolled: 1-line block ×3, first 2 shown]
	s_mov_b32 s17, exec_lo
	s_waitcnt lgkmcnt(2)
	v_cmp_lt_f32_e64 s16, v21, v23
	v_cmpx_nlt_f32_e32 v21, v23
	s_cbranch_execz .LBB60_16
; %bb.15:                               ;   in Loop: Header=BB60_10 Depth=1
	v_cmp_eq_f32_e64 s0, v21, v23
	s_waitcnt lgkmcnt(0)
	v_cmp_lt_i32_e64 s1, v22, v19
	s_delay_alu instid0(VALU_DEP_1) | instskip(SKIP_2) | instid1(SALU_CYCLE_1)
	s_and_b32 s0, s0, s1
	s_and_not1_b32 s1, s16, exec_lo
	s_and_b32 s0, s0, exec_lo
	s_or_b32 s16, s1, s0
.LBB60_16:                              ;   in Loop: Header=BB60_10 Depth=1
	s_or_b32 exec_lo, exec_lo, s17
	s_delay_alu instid0(VALU_DEP_2)
	s_and_saveexec_b32 s0, s16
	s_cbranch_execz .LBB60_18
; %bb.17:                               ;   in Loop: Header=BB60_10 Depth=1
	s_waitcnt lgkmcnt(1)
	v_dual_mov_b32 v20, v24 :: v_dual_mov_b32 v21, v23
	s_waitcnt lgkmcnt(0)
	v_mov_b32_e32 v19, v22
.LBB60_18:                              ;   in Loop: Header=BB60_10 Depth=1
	s_or_b32 exec_lo, exec_lo, s0
	ds_bpermute_b32 v23, v12, v21
	s_waitcnt lgkmcnt(2)
	ds_bpermute_b32 v24, v12, v20
	s_waitcnt lgkmcnt(2)
	ds_bpermute_b32 v22, v12, v19
	s_mov_b32 s17, exec_lo
	s_waitcnt lgkmcnt(2)
	v_cmp_lt_f32_e64 s16, v21, v23
	v_cmpx_nlt_f32_e32 v21, v23
	s_cbranch_execz .LBB60_20
; %bb.19:                               ;   in Loop: Header=BB60_10 Depth=1
	v_cmp_eq_f32_e64 s0, v21, v23
	s_waitcnt lgkmcnt(0)
	v_cmp_lt_i32_e64 s1, v22, v19
	s_delay_alu instid0(VALU_DEP_1) | instskip(SKIP_2) | instid1(SALU_CYCLE_1)
	s_and_b32 s0, s0, s1
	s_and_not1_b32 s1, s16, exec_lo
	s_and_b32 s0, s0, exec_lo
	s_or_b32 s16, s1, s0
.LBB60_20:                              ;   in Loop: Header=BB60_10 Depth=1
	s_or_b32 exec_lo, exec_lo, s17
	s_delay_alu instid0(VALU_DEP_2)
	s_and_saveexec_b32 s0, s16
	s_cbranch_execz .LBB60_22
; %bb.21:                               ;   in Loop: Header=BB60_10 Depth=1
	s_waitcnt lgkmcnt(1)
	v_dual_mov_b32 v20, v24 :: v_dual_mov_b32 v21, v23
	s_waitcnt lgkmcnt(0)
	v_mov_b32_e32 v19, v22
.LBB60_22:                              ;   in Loop: Header=BB60_10 Depth=1
	s_or_b32 exec_lo, exec_lo, s0
	ds_bpermute_b32 v23, v13, v21
	s_waitcnt lgkmcnt(2)
	ds_bpermute_b32 v24, v13, v20
	s_waitcnt lgkmcnt(2)
	ds_bpermute_b32 v22, v13, v19
	s_mov_b32 s17, exec_lo
	s_waitcnt lgkmcnt(2)
	v_cmp_lt_f32_e64 s16, v21, v23
	v_cmpx_nlt_f32_e32 v21, v23
	s_cbranch_execz .LBB60_24
; %bb.23:                               ;   in Loop: Header=BB60_10 Depth=1
	v_cmp_eq_f32_e64 s0, v21, v23
	s_waitcnt lgkmcnt(0)
	v_cmp_lt_i32_e64 s1, v22, v19
	s_delay_alu instid0(VALU_DEP_1) | instskip(SKIP_2) | instid1(SALU_CYCLE_1)
	s_and_b32 s0, s0, s1
	s_and_not1_b32 s1, s16, exec_lo
	s_and_b32 s0, s0, exec_lo
	s_or_b32 s16, s1, s0
.LBB60_24:                              ;   in Loop: Header=BB60_10 Depth=1
	s_or_b32 exec_lo, exec_lo, s17
	s_delay_alu instid0(VALU_DEP_2)
	s_and_saveexec_b32 s0, s16
	s_cbranch_execz .LBB60_26
; %bb.25:                               ;   in Loop: Header=BB60_10 Depth=1
	s_waitcnt lgkmcnt(1)
	v_dual_mov_b32 v20, v24 :: v_dual_mov_b32 v21, v23
	s_waitcnt lgkmcnt(0)
	v_mov_b32_e32 v19, v22
.LBB60_26:                              ;   in Loop: Header=BB60_10 Depth=1
	s_or_b32 exec_lo, exec_lo, s0
	s_waitcnt lgkmcnt(1)
	ds_bpermute_b32 v24, v14, v21
	ds_bpermute_b32 v23, v14, v20
	s_waitcnt lgkmcnt(2)
	ds_bpermute_b32 v22, v14, v19
	s_mov_b32 s17, exec_lo
	s_waitcnt lgkmcnt(2)
	v_cmp_lt_f32_e64 s16, v21, v24
	v_cmpx_nlt_f32_e32 v21, v24
	s_cbranch_execnz .LBB60_30
; %bb.27:                               ;   in Loop: Header=BB60_10 Depth=1
	s_or_b32 exec_lo, exec_lo, s17
	s_delay_alu instid0(VALU_DEP_2)
	s_and_saveexec_b32 s0, s16
	s_cbranch_execnz .LBB60_31
.LBB60_28:                              ;   in Loop: Header=BB60_10 Depth=1
	s_or_b32 exec_lo, exec_lo, s0
	s_and_saveexec_b32 s16, s2
	s_cbranch_execnz .LBB60_32
.LBB60_29:                              ;   in Loop: Header=BB60_10 Depth=1
	s_or_b32 exec_lo, exec_lo, s16
	s_add_i32 s7, s7, 1
	s_delay_alu instid0(SALU_CYCLE_1)
	s_cmp_ge_i32 s7, s4
	s_cbranch_scc1 .LBB60_9
	s_branch .LBB60_33
.LBB60_30:                              ;   in Loop: Header=BB60_10 Depth=1
	v_cmp_eq_f32_e64 s0, v21, v24
	s_waitcnt lgkmcnt(0)
	v_cmp_lt_i32_e64 s1, v22, v19
	s_delay_alu instid0(VALU_DEP_1) | instskip(SKIP_2) | instid1(SALU_CYCLE_1)
	s_and_b32 s0, s0, s1
	s_and_not1_b32 s1, s16, exec_lo
	s_and_b32 s0, s0, exec_lo
	s_or_b32 s16, s1, s0
	s_or_b32 exec_lo, exec_lo, s17
	s_and_saveexec_b32 s0, s16
	s_cbranch_execz .LBB60_28
.LBB60_31:                              ;   in Loop: Header=BB60_10 Depth=1
	s_waitcnt lgkmcnt(0)
	v_dual_mov_b32 v20, v23 :: v_dual_mov_b32 v19, v22
	s_or_b32 exec_lo, exec_lo, s0
	s_and_saveexec_b32 s16, s2
	s_cbranch_execz .LBB60_29
.LBB60_32:                              ;   in Loop: Header=BB60_10 Depth=1
	v_add_nc_u32_e32 v21, s7, v17
	v_subrev_nc_u32_e32 v25, s5, v19
	v_cmp_le_i32_e64 s0, s5, v19
	v_cmp_gt_i32_e64 s1, s6, v19
	v_add_f32_e32 v29, v16, v20
	s_waitcnt lgkmcnt(0)
	v_ashrrev_i32_e32 v22, 31, v21
	v_ashrrev_i32_e32 v26, 31, v25
	s_and_b32 s0, s0, s1
	v_cndmask_b32_e32 v16, v16, v29, vcc_lo
	s_delay_alu instid0(VALU_DEP_3) | instskip(SKIP_2) | instid1(SALU_CYCLE_1)
	v_lshlrev_b64 v[23:24], 2, v[21:22]
	v_lshlrev_b64 v[21:22], 3, v[21:22]
	s_and_b32 s0, s15, s0
	v_cndmask_b32_e64 v26, 0, v26, s0
	v_cndmask_b32_e64 v25, 0x80, v25, s0
	s_delay_alu instid0(VALU_DEP_4) | instskip(NEXT) | instid1(VALU_DEP_1)
	v_add_co_u32 v27, s0, s12, v23
	v_add_co_ci_u32_e64 v28, s0, s13, v24, s0
	v_add_co_u32 v21, s0, s8, v21
	s_delay_alu instid0(VALU_DEP_1) | instskip(SKIP_1) | instid1(VALU_DEP_1)
	v_add_co_ci_u32_e64 v22, s0, s9, v22, s0
	v_add_co_u32 v23, s0, s10, v23
	v_add_co_ci_u32_e64 v24, s0, s11, v24, s0
	global_store_b32 v[27:28], v20, off
	global_store_b64 v[21:22], v[25:26], off
	global_store_b32 v[23:24], v18, off
	s_or_b32 exec_lo, exec_lo, s16
	s_add_i32 s7, s7, 1
	s_delay_alu instid0(SALU_CYCLE_1)
	s_cmp_ge_i32 s7, s4
	s_cbranch_scc1 .LBB60_9
.LBB60_33:                              ;   in Loop: Header=BB60_10 Depth=1
	v_ashrrev_i32_e32 v20, 31, v19
	s_mov_b32 s1, exec_lo
	s_delay_alu instid0(VALU_DEP_1) | instskip(NEXT) | instid1(VALU_DEP_1)
	v_lshrrev_b32_e32 v21, 30, v20
	v_add_nc_u32_e32 v21, v19, v21
	s_waitcnt lgkmcnt(0)
	s_delay_alu instid0(VALU_DEP_1) | instskip(SKIP_1) | instid1(VALU_DEP_2)
	v_ashrrev_i32_e32 v22, 31, v21
	v_ashrrev_i32_e32 v21, 2, v21
	v_lshrrev_b32_e32 v22, 27, v22
	s_delay_alu instid0(VALU_DEP_1) | instskip(NEXT) | instid1(VALU_DEP_1)
	v_add_nc_u32_e32 v22, v21, v22
	v_and_b32_e32 v22, 0xffffffe0, v22
	s_delay_alu instid0(VALU_DEP_1) | instskip(NEXT) | instid1(VALU_DEP_1)
	v_sub_nc_u32_e32 v22, v21, v22
	v_cmpx_eq_u32_e64 v9, v22
	s_cbranch_execz .LBB60_8
; %bb.34:                               ;   in Loop: Header=BB60_10 Depth=1
	v_lshrrev_b32_e32 v20, 25, v20
	v_lshlrev_b32_e32 v21, 2, v21
	s_delay_alu instid0(VALU_DEP_2) | instskip(NEXT) | instid1(VALU_DEP_2)
	v_add_nc_u32_e32 v20, v19, v20
	v_sub_nc_u32_e32 v19, v19, v21
	s_delay_alu instid0(VALU_DEP_2) | instskip(NEXT) | instid1(VALU_DEP_1)
	v_ashrrev_i32_e32 v20, 7, v20
	v_lshl_add_u32 v19, v20, 2, v19
	s_delay_alu instid0(VALU_DEP_1) | instskip(NEXT) | instid1(VALU_DEP_1)
	v_cmp_ne_u32_e64 s0, 3, v19
	v_cndmask_b32_e64 v7, 0xc61c4000, v7, s0
	v_cmp_ne_u32_e64 s0, 2, v19
	s_delay_alu instid0(VALU_DEP_1) | instskip(SKIP_1) | instid1(VALU_DEP_1)
	v_cndmask_b32_e64 v6, 0xc61c4000, v6, s0
	v_cmp_ne_u32_e64 s0, 1, v19
	v_cndmask_b32_e64 v5, 0xc61c4000, v5, s0
	v_cmp_ne_u32_e64 s0, 0, v19
	s_delay_alu instid0(VALU_DEP_1)
	v_cndmask_b32_e64 v4, 0xc61c4000, v4, s0
	s_branch .LBB60_8
.LBB60_35:
                                        ; implicit-def: $vgpr4_vgpr5_vgpr6_vgpr7
	s_and_not1_b32 vcc_lo, exec_lo, s8
	s_cbranch_vccz .LBB60_5
	s_branch .LBB60_6
.LBB60_36:
	v_mov_b32_e32 v16, 0
.LBB60_37:
	v_cmp_eq_u32_e64 s0, 0, v9
	s_delay_alu instid0(VALU_DEP_1) | instskip(NEXT) | instid1(SALU_CYCLE_1)
	s_and_b32 s0, s0, vcc_lo
	s_and_b32 exec_lo, exec_lo, s0
	s_cbranch_execz .LBB60_41
; %bb.38:
	s_and_not1_b32 vcc_lo, exec_lo, s3
	s_cbranch_vccnz .LBB60_41
; %bb.39:
	v_mul_lo_u32 v0, v8, s4
	v_cmp_lt_f32_e32 vcc_lo, 0, v16
	v_cndmask_b32_e32 v2, 1.0, v16, vcc_lo
	s_delay_alu instid0(VALU_DEP_3) | instskip(NEXT) | instid1(VALU_DEP_1)
	v_ashrrev_i32_e32 v1, 31, v0
	v_lshlrev_b64 v[0:1], 2, v[0:1]
	s_delay_alu instid0(VALU_DEP_1) | instskip(NEXT) | instid1(VALU_DEP_2)
	v_add_co_u32 v0, vcc_lo, s12, v0
	v_add_co_ci_u32_e32 v1, vcc_lo, s13, v1, vcc_lo
	.p2align	6
.LBB60_40:                              ; =>This Inner Loop Header: Depth=1
	global_load_b32 v3, v[0:1], off
	s_add_i32 s4, s4, -1
	s_delay_alu instid0(SALU_CYCLE_1) | instskip(SKIP_3) | instid1(VALU_DEP_2)
	s_cmp_lg_u32 s4, 0
	s_waitcnt vmcnt(0)
	v_div_scale_f32 v4, null, v2, v2, v3
	v_div_scale_f32 v7, vcc_lo, v3, v2, v3
	v_rcp_f32_e32 v5, v4
	s_waitcnt_depctr 0xfff
	v_fma_f32 v6, -v4, v5, 1.0
	s_delay_alu instid0(VALU_DEP_1) | instskip(NEXT) | instid1(VALU_DEP_1)
	v_fmac_f32_e32 v5, v6, v5
	v_mul_f32_e32 v6, v7, v5
	s_delay_alu instid0(VALU_DEP_1) | instskip(NEXT) | instid1(VALU_DEP_1)
	v_fma_f32 v8, -v4, v6, v7
	v_fmac_f32_e32 v6, v8, v5
	s_delay_alu instid0(VALU_DEP_1) | instskip(NEXT) | instid1(VALU_DEP_1)
	v_fma_f32 v4, -v4, v6, v7
	v_div_fmas_f32 v4, v4, v5, v6
	s_delay_alu instid0(VALU_DEP_1)
	v_div_fixup_f32 v3, v4, v2, v3
	global_store_b32 v[0:1], v3, off
	v_add_co_u32 v0, vcc_lo, v0, 4
	v_add_co_ci_u32_e32 v1, vcc_lo, 0, v1, vcc_lo
	s_cbranch_scc1 .LBB60_40
.LBB60_41:
	s_nop 0
	s_sendmsg sendmsg(MSG_DEALLOC_VGPRS)
	s_endpgm
	.section	.rodata,"a",@progbits
	.p2align	6, 0x0
	.amdhsa_kernel _ZN4vllm3moe10topkGatingILi4ELi128ELi4ELi16ELi32ElfLNS0_11ScoringFuncE0EEEvPKT5_PKbPfiPT4_PiiiibPKf
		.amdhsa_group_segment_fixed_size 0
		.amdhsa_private_segment_fixed_size 0
		.amdhsa_kernarg_size 72
		.amdhsa_user_sgpr_count 15
		.amdhsa_user_sgpr_dispatch_ptr 0
		.amdhsa_user_sgpr_queue_ptr 0
		.amdhsa_user_sgpr_kernarg_segment_ptr 1
		.amdhsa_user_sgpr_dispatch_id 0
		.amdhsa_user_sgpr_private_segment_size 0
		.amdhsa_wavefront_size32 1
		.amdhsa_uses_dynamic_stack 0
		.amdhsa_enable_private_segment 0
		.amdhsa_system_sgpr_workgroup_id_x 1
		.amdhsa_system_sgpr_workgroup_id_y 0
		.amdhsa_system_sgpr_workgroup_id_z 0
		.amdhsa_system_sgpr_workgroup_info 0
		.amdhsa_system_vgpr_workitem_id 1
		.amdhsa_next_free_vgpr 30
		.amdhsa_next_free_sgpr 18
		.amdhsa_reserve_vcc 1
		.amdhsa_float_round_mode_32 0
		.amdhsa_float_round_mode_16_64 0
		.amdhsa_float_denorm_mode_32 3
		.amdhsa_float_denorm_mode_16_64 3
		.amdhsa_dx10_clamp 1
		.amdhsa_ieee_mode 1
		.amdhsa_fp16_overflow 0
		.amdhsa_workgroup_processor_mode 1
		.amdhsa_memory_ordered 1
		.amdhsa_forward_progress 0
		.amdhsa_shared_vgpr_count 0
		.amdhsa_exception_fp_ieee_invalid_op 0
		.amdhsa_exception_fp_denorm_src 0
		.amdhsa_exception_fp_ieee_div_zero 0
		.amdhsa_exception_fp_ieee_overflow 0
		.amdhsa_exception_fp_ieee_underflow 0
		.amdhsa_exception_fp_ieee_inexact 0
		.amdhsa_exception_int_div_zero 0
	.end_amdhsa_kernel
	.section	.text._ZN4vllm3moe10topkGatingILi4ELi128ELi4ELi16ELi32ElfLNS0_11ScoringFuncE0EEEvPKT5_PKbPfiPT4_PiiiibPKf,"axG",@progbits,_ZN4vllm3moe10topkGatingILi4ELi128ELi4ELi16ELi32ElfLNS0_11ScoringFuncE0EEEvPKT5_PKbPfiPT4_PiiiibPKf,comdat
.Lfunc_end60:
	.size	_ZN4vllm3moe10topkGatingILi4ELi128ELi4ELi16ELi32ElfLNS0_11ScoringFuncE0EEEvPKT5_PKbPfiPT4_PiiiibPKf, .Lfunc_end60-_ZN4vllm3moe10topkGatingILi4ELi128ELi4ELi16ELi32ElfLNS0_11ScoringFuncE0EEEvPKT5_PKbPfiPT4_PiiiibPKf
                                        ; -- End function
	.section	.AMDGPU.csdata,"",@progbits
; Kernel info:
; codeLenInByte = 2780
; NumSgprs: 20
; NumVgprs: 30
; ScratchSize: 0
; MemoryBound: 0
; FloatMode: 240
; IeeeMode: 1
; LDSByteSize: 0 bytes/workgroup (compile time only)
; SGPRBlocks: 2
; VGPRBlocks: 3
; NumSGPRsForWavesPerEU: 20
; NumVGPRsForWavesPerEU: 30
; Occupancy: 16
; WaveLimiterHint : 0
; COMPUTE_PGM_RSRC2:SCRATCH_EN: 0
; COMPUTE_PGM_RSRC2:USER_SGPR: 15
; COMPUTE_PGM_RSRC2:TRAP_HANDLER: 0
; COMPUTE_PGM_RSRC2:TGID_X_EN: 1
; COMPUTE_PGM_RSRC2:TGID_Y_EN: 0
; COMPUTE_PGM_RSRC2:TGID_Z_EN: 0
; COMPUTE_PGM_RSRC2:TIDIG_COMP_CNT: 1
	.section	.text._ZN4vllm3moe10topkGatingILi4ELi256ELi4ELi16ELi64ElfLNS0_11ScoringFuncE0EEEvPKT5_PKbPfiPT4_PiiiibPKf,"axG",@progbits,_ZN4vllm3moe10topkGatingILi4ELi256ELi4ELi16ELi64ElfLNS0_11ScoringFuncE0EEEvPKT5_PKbPfiPT4_PiiiibPKf,comdat
	.protected	_ZN4vllm3moe10topkGatingILi4ELi256ELi4ELi16ELi64ElfLNS0_11ScoringFuncE0EEEvPKT5_PKbPfiPT4_PiiiibPKf ; -- Begin function _ZN4vllm3moe10topkGatingILi4ELi256ELi4ELi16ELi64ElfLNS0_11ScoringFuncE0EEEvPKT5_PKbPfiPT4_PiiiibPKf
	.globl	_ZN4vllm3moe10topkGatingILi4ELi256ELi4ELi16ELi64ElfLNS0_11ScoringFuncE0EEEvPKT5_PKbPfiPT4_PiiiibPKf
	.p2align	8
	.type	_ZN4vllm3moe10topkGatingILi4ELi256ELi4ELi16ELi64ElfLNS0_11ScoringFuncE0EEEvPKT5_PKbPfiPT4_PiiiibPKf,@function
_ZN4vllm3moe10topkGatingILi4ELi256ELi4ELi16ELi64ElfLNS0_11ScoringFuncE0EEEvPKT5_PKbPfiPT4_PiiiibPKf: ; @_ZN4vllm3moe10topkGatingILi4ELi256ELi4ELi16ELi64ElfLNS0_11ScoringFuncE0EEEvPKT5_PKbPfiPT4_PiiiibPKf
; %bb.0:
	s_load_b32 s14, s[0:1], 0x18
	v_and_b32_e32 v1, 0x3ff, v0
	v_bfe_u32 v0, v0, 10, 10
	s_lshl_b32 s2, s15, 2
	s_delay_alu instid0(VALU_DEP_2) | instskip(NEXT) | instid1(VALU_DEP_1)
	v_lshrrev_b32_e32 v2, 6, v1
	v_add3_u32 v8, s2, v0, v2
	s_mov_b32 s2, exec_lo
	s_waitcnt lgkmcnt(0)
	s_delay_alu instid0(VALU_DEP_1)
	v_cmpx_gt_i32_e64 s14, v8
	s_cbranch_execz .LBB61_45
; %bb.1:
	s_clause 0x1
	s_load_b128 s[4:7], s[0:1], 0x0
	s_load_b64 s[12:13], s[0:1], 0x10
	s_mov_b32 s8, -1
	s_mov_b32 s15, -1
	s_waitcnt lgkmcnt(0)
	s_cmp_eq_u64 s[6:7], 0
	s_cbranch_scc1 .LBB61_3
; %bb.2:
	v_ashrrev_i32_e32 v0, 31, v8
	v_add_co_u32 v2, vcc_lo, s6, v8
	s_delay_alu instid0(VALU_DEP_2) | instskip(SKIP_3) | instid1(VALU_DEP_1)
	v_add_co_ci_u32_e32 v3, vcc_lo, s7, v0, vcc_lo
	global_load_u8 v0, v[2:3], off
	s_waitcnt vmcnt(0)
	v_and_b32_e32 v0, 1, v0
	v_cmp_eq_u32_e32 vcc_lo, 1, v0
	s_xor_b32 s2, vcc_lo, -1
	s_delay_alu instid0(SALU_CYCLE_1)
	s_or_not1_b32 s15, s2, exec_lo
.LBB61_3:
	v_mbcnt_lo_u32_b32 v4, -1, 0
	v_and_b32_e32 v9, 63, v1
	s_load_b64 s[2:3], s[0:1], 0x40
	s_delay_alu instid0(VALU_DEP_2) | instskip(SKIP_1) | instid1(VALU_DEP_1)
	v_or_b32_e32 v5, 32, v4
	v_lshlrev_b32_e32 v2, 8, v8
	v_ashrrev_i32_e32 v3, 31, v2
	s_delay_alu instid0(VALU_DEP_1) | instskip(SKIP_3) | instid1(VALU_DEP_2)
	v_lshlrev_b64 v[0:1], 2, v[2:3]
	v_lshlrev_b32_e32 v2, 4, v9
	s_waitcnt lgkmcnt(0)
	s_cmp_eq_u64 s[2:3], 0
	v_add_co_u32 v0, vcc_lo, s4, v0
	s_delay_alu instid0(VALU_DEP_3) | instskip(NEXT) | instid1(VALU_DEP_2)
	v_add_co_ci_u32_e32 v1, vcc_lo, s5, v1, vcc_lo
	v_add_co_u32 v0, vcc_lo, v0, v2
	s_delay_alu instid0(VALU_DEP_2) | instskip(SKIP_3) | instid1(VALU_DEP_1)
	v_add_co_ci_u32_e32 v1, vcc_lo, 0, v1, vcc_lo
	v_cmp_gt_i32_e32 vcc_lo, 64, v5
	global_load_b128 v[0:3], v[0:1], off
	v_cndmask_b32_e32 v5, v4, v5, vcc_lo
	v_lshlrev_b32_e32 v10, 2, v5
	s_waitcnt vmcnt(0)
	v_dual_max_f32 v6, v1, v1 :: v_dual_max_f32 v7, v0, v0
	s_delay_alu instid0(VALU_DEP_1) | instskip(SKIP_1) | instid1(VALU_DEP_2)
	v_max_f32_e32 v6, v7, v6
	v_xor_b32_e32 v7, 16, v4
	v_max3_f32 v5, v6, v2, v3
	s_delay_alu instid0(VALU_DEP_2) | instskip(SKIP_2) | instid1(VALU_DEP_1)
	v_cmp_gt_i32_e32 vcc_lo, 64, v7
	ds_bpermute_b32 v6, v10, v5
	v_cndmask_b32_e32 v7, v4, v7, vcc_lo
	v_lshlrev_b32_e32 v11, 2, v7
	v_xor_b32_e32 v7, 8, v4
	s_delay_alu instid0(VALU_DEP_1) | instskip(SKIP_2) | instid1(VALU_DEP_1)
	v_cmp_gt_i32_e32 vcc_lo, 64, v7
	s_waitcnt lgkmcnt(0)
	v_max_f32_e32 v6, v6, v6
	v_max_f32_e32 v5, v5, v6
	ds_bpermute_b32 v6, v11, v5
	s_waitcnt lgkmcnt(0)
	v_dual_cndmask_b32 v7, v4, v7 :: v_dual_max_f32 v6, v6, v6
	s_delay_alu instid0(VALU_DEP_1) | instskip(SKIP_1) | instid1(VALU_DEP_3)
	v_lshlrev_b32_e32 v12, 2, v7
	v_xor_b32_e32 v7, 4, v4
	v_max_f32_e32 v5, v5, v6
	s_delay_alu instid0(VALU_DEP_2) | instskip(SKIP_3) | instid1(VALU_DEP_1)
	v_cmp_gt_i32_e32 vcc_lo, 64, v7
	ds_bpermute_b32 v6, v12, v5
	s_waitcnt lgkmcnt(0)
	v_dual_cndmask_b32 v7, v4, v7 :: v_dual_max_f32 v6, v6, v6
	v_lshlrev_b32_e32 v13, 2, v7
	v_xor_b32_e32 v7, 2, v4
	s_delay_alu instid0(VALU_DEP_1) | instskip(SKIP_1) | instid1(VALU_DEP_1)
	v_cmp_gt_i32_e32 vcc_lo, 64, v7
	v_cndmask_b32_e32 v7, v4, v7, vcc_lo
	v_dual_max_f32 v5, v5, v6 :: v_dual_lshlrev_b32 v14, 2, v7
	ds_bpermute_b32 v6, v13, v5
	v_xor_b32_e32 v7, 1, v4
	s_delay_alu instid0(VALU_DEP_1) | instskip(SKIP_3) | instid1(VALU_DEP_1)
	v_cmp_gt_i32_e32 vcc_lo, 64, v7
	v_cndmask_b32_e32 v4, v4, v7, vcc_lo
	s_waitcnt lgkmcnt(0)
	v_max_f32_e32 v6, v6, v6
	v_max_f32_e32 v5, v5, v6
	ds_bpermute_b32 v6, v14, v5
	s_waitcnt lgkmcnt(0)
	v_dual_max_f32 v6, v6, v6 :: v_dual_lshlrev_b32 v15, 2, v4
	s_delay_alu instid0(VALU_DEP_1) | instskip(SKIP_3) | instid1(VALU_DEP_1)
	v_max_f32_e32 v4, v5, v6
	ds_bpermute_b32 v5, v15, v4
	s_waitcnt lgkmcnt(0)
	v_max_f32_e32 v5, v5, v5
	v_max_f32_e32 v4, v4, v5
	s_delay_alu instid0(VALU_DEP_1) | instskip(NEXT) | instid1(VALU_DEP_1)
	v_sub_f32_e32 v3, v3, v4
	v_dual_mul_f32 v7, 0x3fb8aa3b, v3 :: v_dual_sub_f32 v2, v2, v4
	v_sub_f32_e32 v1, v1, v4
	v_sub_f32_e32 v0, v0, v4
	s_delay_alu instid0(VALU_DEP_3) | instskip(NEXT) | instid1(VALU_DEP_3)
	v_rndne_f32_e32 v23, v7
	v_dual_mul_f32 v6, 0x3fb8aa3b, v2 :: v_dual_mul_f32 v5, 0x3fb8aa3b, v1
	s_delay_alu instid0(VALU_DEP_3) | instskip(NEXT) | instid1(VALU_DEP_2)
	v_cmp_ngt_f32_e32 vcc_lo, 0xc2ce8ed0, v0
	v_rndne_f32_e32 v21, v6
	s_delay_alu instid0(VALU_DEP_3) | instskip(SKIP_3) | instid1(VALU_DEP_4)
	v_rndne_f32_e32 v19, v5
	v_mul_f32_e32 v4, 0x3fb8aa3b, v0
	v_fma_f32 v18, 0x3fb8aa3b, v1, -v5
	v_fma_f32 v20, 0x3fb8aa3b, v2, -v6
	v_sub_f32_e32 v5, v5, v19
	s_delay_alu instid0(VALU_DEP_4) | instskip(SKIP_1) | instid1(VALU_DEP_2)
	v_fma_f32 v16, 0x3fb8aa3b, v0, -v4
	v_rndne_f32_e32 v17, v4
	v_fmac_f32_e32 v16, 0x32a5705f, v0
	s_delay_alu instid0(VALU_DEP_2) | instskip(SKIP_1) | instid1(VALU_DEP_2)
	v_sub_f32_e32 v4, v4, v17
	v_fma_f32 v22, 0x3fb8aa3b, v3, -v7
	v_dual_sub_f32 v7, v7, v23 :: v_dual_add_f32 v4, v4, v16
	s_delay_alu instid0(VALU_DEP_2)
	v_fmac_f32_e32 v22, 0x32a5705f, v3
	v_fmac_f32_e32 v18, 0x32a5705f, v1
	v_cvt_i32_f32_e32 v16, v17
	v_cvt_i32_f32_e32 v17, v19
	v_exp_f32_e32 v4, v4
	v_dual_add_f32 v7, v7, v22 :: v_dual_sub_f32 v6, v6, v21
	v_add_f32_e32 v5, v5, v18
	v_cvt_i32_f32_e32 v18, v21
	v_cvt_i32_f32_e32 v19, v23
	s_delay_alu instid0(VALU_DEP_4) | instskip(NEXT) | instid1(VALU_DEP_3)
	v_exp_f32_e32 v7, v7
	v_exp_f32_e32 v5, v5
	s_delay_alu instid0(TRANS32_DEP_3) | instskip(NEXT) | instid1(VALU_DEP_1)
	v_ldexp_f32 v4, v4, v16
	v_cndmask_b32_e32 v4, 0, v4, vcc_lo
	v_cmp_ngt_f32_e32 vcc_lo, 0xc2ce8ed0, v1
	s_waitcnt_depctr 0xfff
	v_ldexp_f32 v7, v7, v19
	v_ldexp_f32 v5, v5, v17
	s_delay_alu instid0(VALU_DEP_1) | instskip(NEXT) | instid1(VALU_DEP_1)
	v_dual_fmac_f32 v20, 0x32a5705f, v2 :: v_dual_cndmask_b32 v5, 0, v5
	v_add_f32_e32 v6, v6, v20
	v_cmp_ngt_f32_e32 vcc_lo, 0xc2ce8ed0, v2
	s_delay_alu instid0(VALU_DEP_2) | instskip(SKIP_2) | instid1(VALU_DEP_1)
	v_exp_f32_e32 v6, v6
	s_waitcnt_depctr 0xfff
	v_ldexp_f32 v6, v6, v18
	v_cndmask_b32_e32 v6, 0, v6, vcc_lo
	v_cmp_nlt_f32_e32 vcc_lo, 0x42b17218, v0
	v_cndmask_b32_e32 v0, 0x7f800000, v4, vcc_lo
	v_cmp_nlt_f32_e32 vcc_lo, 0x42b17218, v1
	v_cndmask_b32_e32 v1, 0x7f800000, v5, vcc_lo
	v_cmp_ngt_f32_e32 vcc_lo, 0xc2ce8ed0, v3
	s_delay_alu instid0(VALU_DEP_2) | instskip(SKIP_3) | instid1(VALU_DEP_2)
	v_dual_add_f32 v5, v0, v1 :: v_dual_cndmask_b32 v4, 0, v7
	v_cmp_nlt_f32_e32 vcc_lo, 0x42b17218, v2
	v_cndmask_b32_e32 v2, 0x7f800000, v6, vcc_lo
	v_cmp_nlt_f32_e32 vcc_lo, 0x42b17218, v3
	v_dual_cndmask_b32 v3, 0x7f800000, v4 :: v_dual_add_f32 v4, v5, v2
	s_delay_alu instid0(VALU_DEP_1)
	v_add_f32_e32 v4, v4, v3
	ds_bpermute_b32 v5, v10, v4
	s_waitcnt lgkmcnt(0)
	v_add_f32_e32 v4, v4, v5
	ds_bpermute_b32 v5, v11, v4
	s_waitcnt lgkmcnt(0)
	;; [unrolled: 3-line block ×6, first 2 shown]
	v_add_f32_e32 v4, v4, v5
	s_delay_alu instid0(VALU_DEP_1) | instskip(SKIP_1) | instid1(VALU_DEP_2)
	v_div_scale_f32 v5, null, v4, v4, 1.0
	v_div_scale_f32 v16, vcc_lo, 1.0, v4, 1.0
	v_rcp_f32_e32 v6, v5
	s_waitcnt_depctr 0xfff
	v_fma_f32 v7, -v5, v6, 1.0
	s_delay_alu instid0(VALU_DEP_1) | instskip(NEXT) | instid1(VALU_DEP_1)
	v_fmac_f32_e32 v6, v7, v6
	v_mul_f32_e32 v7, v16, v6
	s_delay_alu instid0(VALU_DEP_1) | instskip(NEXT) | instid1(VALU_DEP_1)
	v_fma_f32 v17, -v5, v7, v16
	v_fmac_f32_e32 v7, v17, v6
	s_delay_alu instid0(VALU_DEP_1) | instskip(SKIP_1) | instid1(VALU_DEP_2)
	v_fma_f32 v5, -v5, v7, v16
	v_lshlrev_b32_e32 v16, 2, v9
	v_div_fmas_f32 v5, v5, v6, v7
	s_delay_alu instid0(VALU_DEP_1) | instskip(NEXT) | instid1(VALU_DEP_1)
	v_div_fixup_f32 v4, v5, v4, 1.0
	v_mul_f32_e32 v0, v4, v0
	v_mul_f32_e32 v1, v4, v1
	v_mul_f32_e32 v2, v4, v2
	v_mul_f32_e32 v3, v4, v3
	s_delay_alu instid0(VALU_DEP_4)
	v_cmp_class_f32_e64 vcc_lo, v0, 0x1f8
	v_cndmask_b32_e32 v0, 0, v0, vcc_lo
	v_cmp_class_f32_e64 vcc_lo, v1, 0x1f8
	v_cndmask_b32_e32 v1, 0, v1, vcc_lo
	;; [unrolled: 2-line block ×4, first 2 shown]
	s_cbranch_scc1 .LBB61_39
; %bb.4:
	v_lshlrev_b32_e32 v4, 2, v16
	global_load_b128 v[4:7], v4, s[2:3]
	s_waitcnt vmcnt(0)
	v_dual_add_f32 v5, v5, v1 :: v_dual_add_f32 v4, v4, v0
	v_dual_add_f32 v7, v7, v3 :: v_dual_add_f32 v6, v6, v2
	s_cbranch_execnz .LBB61_6
.LBB61_5:
	v_dual_mov_b32 v7, v3 :: v_dual_mov_b32 v6, v2
	v_dual_mov_b32 v5, v1 :: v_dual_mov_b32 v4, v0
.LBB61_6:
	s_load_b128 s[4:7], s[0:1], 0x30
	v_cmp_eq_u32_e64 s2, 0, v9
	s_waitcnt lgkmcnt(0)
	s_bitcmp1_b32 s7, 0
	s_mov_b32 s7, 0
	s_cselect_b32 vcc_lo, -1, 0
	s_cmp_gt_i32 s4, 0
	s_cselect_b32 s3, -1, 0
	s_cmp_lt_i32 s4, 1
	s_cbranch_scc1 .LBB61_40
; %bb.7:
	s_load_b128 s[8:11], s[0:1], 0x20
	v_mul_lo_u32 v18, v8, s4
	v_mov_b32_e32 v17, 0
	v_mov_b32_e32 v19, v8
	s_branch .LBB61_10
.LBB61_8:                               ;   in Loop: Header=BB61_10 Depth=1
	s_or_b32 exec_lo, exec_lo, s1
.LBB61_9:                               ;   in Loop: Header=BB61_10 Depth=1
	v_add_nc_u32_e32 v19, s14, v19
	s_cmp_eq_u32 s4, s7
	s_cbranch_scc1 .LBB61_41
.LBB61_10:                              ; =>This Inner Loop Header: Depth=1
	v_cmp_gt_f32_e64 s0, v5, v4
	s_mov_b32 s17, exec_lo
	s_delay_alu instid0(VALU_DEP_1) | instskip(SKIP_2) | instid1(VALU_DEP_3)
	v_cndmask_b32_e64 v20, v4, v5, s0
	v_cndmask_b32_e64 v21, 0, 1, s0
	;; [unrolled: 1-line block ×3, first 2 shown]
	v_cmp_gt_f32_e64 s1, v6, v20
	s_delay_alu instid0(VALU_DEP_1) | instskip(NEXT) | instid1(VALU_DEP_4)
	v_cndmask_b32_e64 v20, v20, v6, s1
	v_cndmask_b32_e64 v21, v21, 2, s1
	s_waitcnt lgkmcnt(0)
	v_cndmask_b32_e64 v23, v22, v2, s1
	s_delay_alu instid0(VALU_DEP_3) | instskip(NEXT) | instid1(VALU_DEP_1)
	v_cmp_gt_f32_e64 s0, v7, v20
	v_cndmask_b32_e64 v22, v20, v7, s0
	v_cndmask_b32_e64 v20, v21, 3, s0
	s_delay_alu instid0(VALU_DEP_4)
	v_cndmask_b32_e64 v21, v23, v3, s0
	ds_bpermute_b32 v23, v10, v22
	v_or_b32_e32 v20, v16, v20
	ds_bpermute_b32 v25, v10, v21
	ds_bpermute_b32 v24, v10, v20
	s_waitcnt lgkmcnt(0)
	v_cmp_lt_f32_e64 s16, v22, v23
	v_cmpx_nlt_f32_e32 v22, v23
; %bb.11:                               ;   in Loop: Header=BB61_10 Depth=1
	v_cmp_eq_f32_e64 s0, v22, v23
	v_cmp_lt_i32_e64 s1, v24, v20
	s_delay_alu instid0(VALU_DEP_1) | instskip(SKIP_2) | instid1(SALU_CYCLE_1)
	s_and_b32 s0, s0, s1
	s_and_not1_b32 s1, s16, exec_lo
	s_and_b32 s0, s0, exec_lo
	s_or_b32 s16, s1, s0
; %bb.12:                               ;   in Loop: Header=BB61_10 Depth=1
	s_or_b32 exec_lo, exec_lo, s17
	s_and_saveexec_b32 s0, s16
; %bb.13:                               ;   in Loop: Header=BB61_10 Depth=1
	v_dual_mov_b32 v21, v25 :: v_dual_mov_b32 v22, v23
	v_mov_b32_e32 v20, v24
; %bb.14:                               ;   in Loop: Header=BB61_10 Depth=1
	s_or_b32 exec_lo, exec_lo, s0
	ds_bpermute_b32 v24, v11, v22
	ds_bpermute_b32 v25, v11, v21
	;; [unrolled: 1-line block ×3, first 2 shown]
	s_mov_b32 s17, exec_lo
	s_waitcnt lgkmcnt(2)
	v_cmp_lt_f32_e64 s16, v22, v24
	v_cmpx_nlt_f32_e32 v22, v24
	s_cbranch_execz .LBB61_16
; %bb.15:                               ;   in Loop: Header=BB61_10 Depth=1
	v_cmp_eq_f32_e64 s0, v22, v24
	s_waitcnt lgkmcnt(0)
	v_cmp_lt_i32_e64 s1, v23, v20
	s_delay_alu instid0(VALU_DEP_1) | instskip(SKIP_2) | instid1(SALU_CYCLE_1)
	s_and_b32 s0, s0, s1
	s_and_not1_b32 s1, s16, exec_lo
	s_and_b32 s0, s0, exec_lo
	s_or_b32 s16, s1, s0
.LBB61_16:                              ;   in Loop: Header=BB61_10 Depth=1
	s_or_b32 exec_lo, exec_lo, s17
	s_delay_alu instid0(VALU_DEP_2)
	s_and_saveexec_b32 s0, s16
	s_cbranch_execz .LBB61_18
; %bb.17:                               ;   in Loop: Header=BB61_10 Depth=1
	s_waitcnt lgkmcnt(1)
	v_dual_mov_b32 v21, v25 :: v_dual_mov_b32 v22, v24
	s_waitcnt lgkmcnt(0)
	v_mov_b32_e32 v20, v23
.LBB61_18:                              ;   in Loop: Header=BB61_10 Depth=1
	s_or_b32 exec_lo, exec_lo, s0
	ds_bpermute_b32 v24, v12, v22
	s_waitcnt lgkmcnt(2)
	ds_bpermute_b32 v25, v12, v21
	s_waitcnt lgkmcnt(2)
	ds_bpermute_b32 v23, v12, v20
	s_mov_b32 s17, exec_lo
	s_waitcnt lgkmcnt(2)
	v_cmp_lt_f32_e64 s16, v22, v24
	v_cmpx_nlt_f32_e32 v22, v24
	s_cbranch_execz .LBB61_20
; %bb.19:                               ;   in Loop: Header=BB61_10 Depth=1
	v_cmp_eq_f32_e64 s0, v22, v24
	s_waitcnt lgkmcnt(0)
	v_cmp_lt_i32_e64 s1, v23, v20
	s_delay_alu instid0(VALU_DEP_1) | instskip(SKIP_2) | instid1(SALU_CYCLE_1)
	s_and_b32 s0, s0, s1
	s_and_not1_b32 s1, s16, exec_lo
	s_and_b32 s0, s0, exec_lo
	s_or_b32 s16, s1, s0
.LBB61_20:                              ;   in Loop: Header=BB61_10 Depth=1
	s_or_b32 exec_lo, exec_lo, s17
	s_delay_alu instid0(VALU_DEP_2)
	s_and_saveexec_b32 s0, s16
	s_cbranch_execz .LBB61_22
; %bb.21:                               ;   in Loop: Header=BB61_10 Depth=1
	s_waitcnt lgkmcnt(1)
	v_dual_mov_b32 v21, v25 :: v_dual_mov_b32 v22, v24
	s_waitcnt lgkmcnt(0)
	v_mov_b32_e32 v20, v23
.LBB61_22:                              ;   in Loop: Header=BB61_10 Depth=1
	s_or_b32 exec_lo, exec_lo, s0
	ds_bpermute_b32 v24, v13, v22
	s_waitcnt lgkmcnt(2)
	ds_bpermute_b32 v25, v13, v21
	s_waitcnt lgkmcnt(2)
	ds_bpermute_b32 v23, v13, v20
	;; [unrolled: 31-line block ×3, first 2 shown]
	s_mov_b32 s17, exec_lo
	s_waitcnt lgkmcnt(2)
	v_cmp_lt_f32_e64 s16, v22, v24
	v_cmpx_nlt_f32_e32 v22, v24
	s_cbranch_execz .LBB61_28
; %bb.27:                               ;   in Loop: Header=BB61_10 Depth=1
	v_cmp_eq_f32_e64 s0, v22, v24
	s_waitcnt lgkmcnt(0)
	v_cmp_lt_i32_e64 s1, v23, v20
	s_delay_alu instid0(VALU_DEP_1) | instskip(SKIP_2) | instid1(SALU_CYCLE_1)
	s_and_b32 s0, s0, s1
	s_and_not1_b32 s1, s16, exec_lo
	s_and_b32 s0, s0, exec_lo
	s_or_b32 s16, s1, s0
.LBB61_28:                              ;   in Loop: Header=BB61_10 Depth=1
	s_or_b32 exec_lo, exec_lo, s17
	s_delay_alu instid0(VALU_DEP_2)
	s_and_saveexec_b32 s0, s16
	s_cbranch_execz .LBB61_30
; %bb.29:                               ;   in Loop: Header=BB61_10 Depth=1
	s_waitcnt lgkmcnt(1)
	v_dual_mov_b32 v21, v25 :: v_dual_mov_b32 v22, v24
	s_waitcnt lgkmcnt(0)
	v_mov_b32_e32 v20, v23
.LBB61_30:                              ;   in Loop: Header=BB61_10 Depth=1
	s_or_b32 exec_lo, exec_lo, s0
	s_waitcnt lgkmcnt(1)
	ds_bpermute_b32 v25, v15, v22
	ds_bpermute_b32 v24, v15, v21
	s_waitcnt lgkmcnt(2)
	ds_bpermute_b32 v23, v15, v20
	s_mov_b32 s17, exec_lo
	s_waitcnt lgkmcnt(2)
	v_cmp_lt_f32_e64 s16, v22, v25
	v_cmpx_nlt_f32_e32 v22, v25
	s_cbranch_execnz .LBB61_34
; %bb.31:                               ;   in Loop: Header=BB61_10 Depth=1
	s_or_b32 exec_lo, exec_lo, s17
	s_delay_alu instid0(VALU_DEP_2)
	s_and_saveexec_b32 s0, s16
	s_cbranch_execnz .LBB61_35
.LBB61_32:                              ;   in Loop: Header=BB61_10 Depth=1
	s_or_b32 exec_lo, exec_lo, s0
	s_and_saveexec_b32 s16, s2
	s_cbranch_execnz .LBB61_36
.LBB61_33:                              ;   in Loop: Header=BB61_10 Depth=1
	s_or_b32 exec_lo, exec_lo, s16
	s_add_i32 s7, s7, 1
	s_delay_alu instid0(SALU_CYCLE_1)
	s_cmp_ge_i32 s7, s4
	s_cbranch_scc1 .LBB61_9
	s_branch .LBB61_37
.LBB61_34:                              ;   in Loop: Header=BB61_10 Depth=1
	v_cmp_eq_f32_e64 s0, v22, v25
	s_waitcnt lgkmcnt(0)
	v_cmp_lt_i32_e64 s1, v23, v20
	s_delay_alu instid0(VALU_DEP_1) | instskip(SKIP_2) | instid1(SALU_CYCLE_1)
	s_and_b32 s0, s0, s1
	s_and_not1_b32 s1, s16, exec_lo
	s_and_b32 s0, s0, exec_lo
	s_or_b32 s16, s1, s0
	s_or_b32 exec_lo, exec_lo, s17
	s_and_saveexec_b32 s0, s16
	s_cbranch_execz .LBB61_32
.LBB61_35:                              ;   in Loop: Header=BB61_10 Depth=1
	s_waitcnt lgkmcnt(0)
	v_dual_mov_b32 v21, v24 :: v_dual_mov_b32 v20, v23
	s_or_b32 exec_lo, exec_lo, s0
	s_and_saveexec_b32 s16, s2
	s_cbranch_execz .LBB61_33
.LBB61_36:                              ;   in Loop: Header=BB61_10 Depth=1
	v_add_nc_u32_e32 v22, s7, v18
	v_subrev_nc_u32_e32 v26, s5, v20
	v_cmp_le_i32_e64 s0, s5, v20
	v_cmp_gt_i32_e64 s1, s6, v20
	v_add_f32_e32 v30, v17, v21
	s_waitcnt lgkmcnt(0)
	v_ashrrev_i32_e32 v23, 31, v22
	v_ashrrev_i32_e32 v27, 31, v26
	s_and_b32 s0, s0, s1
	v_cndmask_b32_e32 v17, v17, v30, vcc_lo
	s_delay_alu instid0(VALU_DEP_3) | instskip(SKIP_2) | instid1(SALU_CYCLE_1)
	v_lshlrev_b64 v[24:25], 2, v[22:23]
	v_lshlrev_b64 v[22:23], 3, v[22:23]
	s_and_b32 s0, s15, s0
	v_cndmask_b32_e64 v27, 0, v27, s0
	v_cndmask_b32_e64 v26, 0x100, v26, s0
	s_delay_alu instid0(VALU_DEP_4) | instskip(NEXT) | instid1(VALU_DEP_1)
	v_add_co_u32 v28, s0, s12, v24
	v_add_co_ci_u32_e64 v29, s0, s13, v25, s0
	v_add_co_u32 v22, s0, s8, v22
	s_delay_alu instid0(VALU_DEP_1) | instskip(SKIP_1) | instid1(VALU_DEP_1)
	v_add_co_ci_u32_e64 v23, s0, s9, v23, s0
	v_add_co_u32 v24, s0, s10, v24
	v_add_co_ci_u32_e64 v25, s0, s11, v25, s0
	global_store_b32 v[28:29], v21, off
	global_store_b64 v[22:23], v[26:27], off
	global_store_b32 v[24:25], v19, off
	s_or_b32 exec_lo, exec_lo, s16
	s_add_i32 s7, s7, 1
	s_delay_alu instid0(SALU_CYCLE_1)
	s_cmp_ge_i32 s7, s4
	s_cbranch_scc1 .LBB61_9
.LBB61_37:                              ;   in Loop: Header=BB61_10 Depth=1
	v_ashrrev_i32_e32 v21, 31, v20
	s_mov_b32 s1, exec_lo
	s_delay_alu instid0(VALU_DEP_1) | instskip(NEXT) | instid1(VALU_DEP_1)
	v_lshrrev_b32_e32 v22, 30, v21
	v_add_nc_u32_e32 v22, v20, v22
	s_waitcnt lgkmcnt(0)
	s_delay_alu instid0(VALU_DEP_1) | instskip(SKIP_1) | instid1(VALU_DEP_2)
	v_ashrrev_i32_e32 v23, 31, v22
	v_ashrrev_i32_e32 v22, 2, v22
	v_lshrrev_b32_e32 v23, 26, v23
	s_delay_alu instid0(VALU_DEP_1) | instskip(NEXT) | instid1(VALU_DEP_1)
	v_add_nc_u32_e32 v23, v22, v23
	v_and_b32_e32 v23, 0xffffffc0, v23
	s_delay_alu instid0(VALU_DEP_1) | instskip(NEXT) | instid1(VALU_DEP_1)
	v_sub_nc_u32_e32 v23, v22, v23
	v_cmpx_eq_u32_e64 v9, v23
	s_cbranch_execz .LBB61_8
; %bb.38:                               ;   in Loop: Header=BB61_10 Depth=1
	v_lshrrev_b32_e32 v21, 24, v21
	v_lshlrev_b32_e32 v22, 2, v22
	s_delay_alu instid0(VALU_DEP_2) | instskip(NEXT) | instid1(VALU_DEP_2)
	v_add_nc_u32_e32 v21, v20, v21
	v_sub_nc_u32_e32 v20, v20, v22
	s_delay_alu instid0(VALU_DEP_2) | instskip(NEXT) | instid1(VALU_DEP_1)
	v_ashrrev_i32_e32 v21, 8, v21
	v_lshl_add_u32 v20, v21, 2, v20
	s_delay_alu instid0(VALU_DEP_1) | instskip(NEXT) | instid1(VALU_DEP_1)
	v_cmp_ne_u32_e64 s0, 3, v20
	v_cndmask_b32_e64 v7, 0xc61c4000, v7, s0
	v_cmp_ne_u32_e64 s0, 2, v20
	s_delay_alu instid0(VALU_DEP_1) | instskip(SKIP_1) | instid1(VALU_DEP_1)
	v_cndmask_b32_e64 v6, 0xc61c4000, v6, s0
	v_cmp_ne_u32_e64 s0, 1, v20
	v_cndmask_b32_e64 v5, 0xc61c4000, v5, s0
	v_cmp_ne_u32_e64 s0, 0, v20
	s_delay_alu instid0(VALU_DEP_1)
	v_cndmask_b32_e64 v4, 0xc61c4000, v4, s0
	s_branch .LBB61_8
.LBB61_39:
                                        ; implicit-def: $vgpr4_vgpr5_vgpr6_vgpr7
	s_and_not1_b32 vcc_lo, exec_lo, s8
	s_cbranch_vccz .LBB61_5
	s_branch .LBB61_6
.LBB61_40:
	v_mov_b32_e32 v17, 0
.LBB61_41:
	v_cmp_eq_u32_e64 s0, 0, v9
	s_delay_alu instid0(VALU_DEP_1) | instskip(NEXT) | instid1(SALU_CYCLE_1)
	s_and_b32 s0, s0, vcc_lo
	s_and_b32 exec_lo, exec_lo, s0
	s_cbranch_execz .LBB61_45
; %bb.42:
	s_and_not1_b32 vcc_lo, exec_lo, s3
	s_cbranch_vccnz .LBB61_45
; %bb.43:
	v_mul_lo_u32 v0, v8, s4
	v_cmp_lt_f32_e32 vcc_lo, 0, v17
	v_cndmask_b32_e32 v2, 1.0, v17, vcc_lo
	s_delay_alu instid0(VALU_DEP_3) | instskip(NEXT) | instid1(VALU_DEP_1)
	v_ashrrev_i32_e32 v1, 31, v0
	v_lshlrev_b64 v[0:1], 2, v[0:1]
	s_delay_alu instid0(VALU_DEP_1) | instskip(NEXT) | instid1(VALU_DEP_2)
	v_add_co_u32 v0, vcc_lo, s12, v0
	v_add_co_ci_u32_e32 v1, vcc_lo, s13, v1, vcc_lo
	.p2align	6
.LBB61_44:                              ; =>This Inner Loop Header: Depth=1
	global_load_b32 v3, v[0:1], off
	s_add_i32 s4, s4, -1
	s_delay_alu instid0(SALU_CYCLE_1) | instskip(SKIP_3) | instid1(VALU_DEP_2)
	s_cmp_lg_u32 s4, 0
	s_waitcnt vmcnt(0)
	v_div_scale_f32 v4, null, v2, v2, v3
	v_div_scale_f32 v7, vcc_lo, v3, v2, v3
	v_rcp_f32_e32 v5, v4
	s_waitcnt_depctr 0xfff
	v_fma_f32 v6, -v4, v5, 1.0
	s_delay_alu instid0(VALU_DEP_1) | instskip(NEXT) | instid1(VALU_DEP_1)
	v_fmac_f32_e32 v5, v6, v5
	v_mul_f32_e32 v6, v7, v5
	s_delay_alu instid0(VALU_DEP_1) | instskip(NEXT) | instid1(VALU_DEP_1)
	v_fma_f32 v8, -v4, v6, v7
	v_fmac_f32_e32 v6, v8, v5
	s_delay_alu instid0(VALU_DEP_1) | instskip(NEXT) | instid1(VALU_DEP_1)
	v_fma_f32 v4, -v4, v6, v7
	v_div_fmas_f32 v4, v4, v5, v6
	s_delay_alu instid0(VALU_DEP_1)
	v_div_fixup_f32 v3, v4, v2, v3
	global_store_b32 v[0:1], v3, off
	v_add_co_u32 v0, vcc_lo, v0, 4
	v_add_co_ci_u32_e32 v1, vcc_lo, 0, v1, vcc_lo
	s_cbranch_scc1 .LBB61_44
.LBB61_45:
	s_nop 0
	s_sendmsg sendmsg(MSG_DEALLOC_VGPRS)
	s_endpgm
	.section	.rodata,"a",@progbits
	.p2align	6, 0x0
	.amdhsa_kernel _ZN4vllm3moe10topkGatingILi4ELi256ELi4ELi16ELi64ElfLNS0_11ScoringFuncE0EEEvPKT5_PKbPfiPT4_PiiiibPKf
		.amdhsa_group_segment_fixed_size 0
		.amdhsa_private_segment_fixed_size 0
		.amdhsa_kernarg_size 72
		.amdhsa_user_sgpr_count 15
		.amdhsa_user_sgpr_dispatch_ptr 0
		.amdhsa_user_sgpr_queue_ptr 0
		.amdhsa_user_sgpr_kernarg_segment_ptr 1
		.amdhsa_user_sgpr_dispatch_id 0
		.amdhsa_user_sgpr_private_segment_size 0
		.amdhsa_wavefront_size32 1
		.amdhsa_uses_dynamic_stack 0
		.amdhsa_enable_private_segment 0
		.amdhsa_system_sgpr_workgroup_id_x 1
		.amdhsa_system_sgpr_workgroup_id_y 0
		.amdhsa_system_sgpr_workgroup_id_z 0
		.amdhsa_system_sgpr_workgroup_info 0
		.amdhsa_system_vgpr_workitem_id 1
		.amdhsa_next_free_vgpr 31
		.amdhsa_next_free_sgpr 18
		.amdhsa_reserve_vcc 1
		.amdhsa_float_round_mode_32 0
		.amdhsa_float_round_mode_16_64 0
		.amdhsa_float_denorm_mode_32 3
		.amdhsa_float_denorm_mode_16_64 3
		.amdhsa_dx10_clamp 1
		.amdhsa_ieee_mode 1
		.amdhsa_fp16_overflow 0
		.amdhsa_workgroup_processor_mode 1
		.amdhsa_memory_ordered 1
		.amdhsa_forward_progress 0
		.amdhsa_shared_vgpr_count 0
		.amdhsa_exception_fp_ieee_invalid_op 0
		.amdhsa_exception_fp_denorm_src 0
		.amdhsa_exception_fp_ieee_div_zero 0
		.amdhsa_exception_fp_ieee_overflow 0
		.amdhsa_exception_fp_ieee_underflow 0
		.amdhsa_exception_fp_ieee_inexact 0
		.amdhsa_exception_int_div_zero 0
	.end_amdhsa_kernel
	.section	.text._ZN4vllm3moe10topkGatingILi4ELi256ELi4ELi16ELi64ElfLNS0_11ScoringFuncE0EEEvPKT5_PKbPfiPT4_PiiiibPKf,"axG",@progbits,_ZN4vllm3moe10topkGatingILi4ELi256ELi4ELi16ELi64ElfLNS0_11ScoringFuncE0EEEvPKT5_PKbPfiPT4_PiiiibPKf,comdat
.Lfunc_end61:
	.size	_ZN4vllm3moe10topkGatingILi4ELi256ELi4ELi16ELi64ElfLNS0_11ScoringFuncE0EEEvPKT5_PKbPfiPT4_PiiiibPKf, .Lfunc_end61-_ZN4vllm3moe10topkGatingILi4ELi256ELi4ELi16ELi64ElfLNS0_11ScoringFuncE0EEEvPKT5_PKbPfiPT4_PiiiibPKf
                                        ; -- End function
	.section	.AMDGPU.csdata,"",@progbits
; Kernel info:
; codeLenInByte = 2968
; NumSgprs: 20
; NumVgprs: 31
; ScratchSize: 0
; MemoryBound: 0
; FloatMode: 240
; IeeeMode: 1
; LDSByteSize: 0 bytes/workgroup (compile time only)
; SGPRBlocks: 2
; VGPRBlocks: 3
; NumSGPRsForWavesPerEU: 20
; NumVGPRsForWavesPerEU: 31
; Occupancy: 16
; WaveLimiterHint : 0
; COMPUTE_PGM_RSRC2:SCRATCH_EN: 0
; COMPUTE_PGM_RSRC2:USER_SGPR: 15
; COMPUTE_PGM_RSRC2:TRAP_HANDLER: 0
; COMPUTE_PGM_RSRC2:TGID_X_EN: 1
; COMPUTE_PGM_RSRC2:TGID_Y_EN: 0
; COMPUTE_PGM_RSRC2:TGID_Z_EN: 0
; COMPUTE_PGM_RSRC2:TIDIG_COMP_CNT: 1
	.section	.text._ZN4vllm3moe10topkGatingILi8ELi256ELi4ELi16ELi32ElfLNS0_11ScoringFuncE0EEEvPKT5_PKbPfiPT4_PiiiibPKf,"axG",@progbits,_ZN4vllm3moe10topkGatingILi8ELi256ELi4ELi16ELi32ElfLNS0_11ScoringFuncE0EEEvPKT5_PKbPfiPT4_PiiiibPKf,comdat
	.protected	_ZN4vllm3moe10topkGatingILi8ELi256ELi4ELi16ELi32ElfLNS0_11ScoringFuncE0EEEvPKT5_PKbPfiPT4_PiiiibPKf ; -- Begin function _ZN4vllm3moe10topkGatingILi8ELi256ELi4ELi16ELi32ElfLNS0_11ScoringFuncE0EEEvPKT5_PKbPfiPT4_PiiiibPKf
	.globl	_ZN4vllm3moe10topkGatingILi8ELi256ELi4ELi16ELi32ElfLNS0_11ScoringFuncE0EEEvPKT5_PKbPfiPT4_PiiiibPKf
	.p2align	8
	.type	_ZN4vllm3moe10topkGatingILi8ELi256ELi4ELi16ELi32ElfLNS0_11ScoringFuncE0EEEvPKT5_PKbPfiPT4_PiiiibPKf,@function
_ZN4vllm3moe10topkGatingILi8ELi256ELi4ELi16ELi32ElfLNS0_11ScoringFuncE0EEEvPKT5_PKbPfiPT4_PiiiibPKf: ; @_ZN4vllm3moe10topkGatingILi8ELi256ELi4ELi16ELi32ElfLNS0_11ScoringFuncE0EEEvPKT5_PKbPfiPT4_PiiiibPKf
; %bb.0:
	s_load_b32 s14, s[0:1], 0x18
	v_and_b32_e32 v1, 0x3ff, v0
	v_bfe_u32 v0, v0, 10, 10
	s_lshl_b32 s2, s15, 2
	s_delay_alu instid0(VALU_DEP_2) | instskip(NEXT) | instid1(VALU_DEP_1)
	v_lshrrev_b32_e32 v2, 5, v1
	v_add3_u32 v16, s2, v0, v2
	s_mov_b32 s2, exec_lo
	s_waitcnt lgkmcnt(0)
	s_delay_alu instid0(VALU_DEP_1)
	v_cmpx_gt_i32_e64 s14, v16
	s_cbranch_execz .LBB62_41
; %bb.1:
	s_clause 0x1
	s_load_b128 s[4:7], s[0:1], 0x0
	s_load_b64 s[12:13], s[0:1], 0x10
	s_mov_b32 s8, -1
	s_mov_b32 s15, -1
	s_waitcnt lgkmcnt(0)
	s_cmp_eq_u64 s[6:7], 0
	s_cbranch_scc1 .LBB62_3
; %bb.2:
	v_ashrrev_i32_e32 v0, 31, v16
	v_add_co_u32 v2, vcc_lo, s6, v16
	s_delay_alu instid0(VALU_DEP_2) | instskip(SKIP_3) | instid1(VALU_DEP_1)
	v_add_co_ci_u32_e32 v3, vcc_lo, s7, v0, vcc_lo
	global_load_u8 v0, v[2:3], off
	s_waitcnt vmcnt(0)
	v_and_b32_e32 v0, 1, v0
	v_cmp_eq_u32_e32 vcc_lo, 1, v0
	s_xor_b32 s2, vcc_lo, -1
	s_delay_alu instid0(SALU_CYCLE_1)
	s_or_not1_b32 s15, s2, exec_lo
.LBB62_3:
	v_mbcnt_lo_u32_b32 v10, -1, 0
	v_lshlrev_b32_e32 v2, 8, v16
	v_and_b32_e32 v17, 31, v1
	s_load_b64 s[2:3], s[0:1], 0x40
	s_delay_alu instid0(VALU_DEP_3) | instskip(NEXT) | instid1(VALU_DEP_3)
	v_xor_b32_e32 v11, 8, v10
	v_ashrrev_i32_e32 v3, 31, v2
	s_delay_alu instid0(VALU_DEP_1) | instskip(SKIP_1) | instid1(VALU_DEP_2)
	v_lshlrev_b64 v[0:1], 2, v[2:3]
	v_lshlrev_b32_e32 v2, 4, v17
	v_add_co_u32 v0, vcc_lo, s4, v0
	s_delay_alu instid0(VALU_DEP_3) | instskip(NEXT) | instid1(VALU_DEP_2)
	v_add_co_ci_u32_e32 v1, vcc_lo, s5, v1, vcc_lo
	v_add_co_u32 v4, vcc_lo, v0, v2
	s_delay_alu instid0(VALU_DEP_2)
	v_add_co_ci_u32_e32 v5, vcc_lo, 0, v1, vcc_lo
	s_waitcnt lgkmcnt(0)
	s_cmp_eq_u64 s[2:3], 0
	s_clause 0x1
	global_load_b128 v[0:3], v[4:5], off
	global_load_b128 v[4:7], v[4:5], off offset:512
	s_waitcnt vmcnt(1)
	v_dual_max_f32 v9, v0, v0 :: v_dual_max_f32 v8, v1, v1
	s_delay_alu instid0(VALU_DEP_1) | instskip(SKIP_1) | instid1(VALU_DEP_2)
	v_max_f32_e32 v8, v9, v8
	v_xor_b32_e32 v9, 16, v10
	v_max3_f32 v8, v8, v2, v3
	s_delay_alu instid0(VALU_DEP_2) | instskip(SKIP_1) | instid1(VALU_DEP_2)
	v_cmp_gt_i32_e32 vcc_lo, 32, v9
	s_waitcnt vmcnt(0)
	v_max3_f32 v8, v8, v4, v5
	v_cndmask_b32_e32 v9, v10, v9, vcc_lo
	v_cmp_gt_i32_e32 vcc_lo, 32, v11
	s_delay_alu instid0(VALU_DEP_3) | instskip(SKIP_1) | instid1(VALU_DEP_1)
	v_max3_f32 v8, v8, v6, v7
	v_cndmask_b32_e32 v11, v10, v11, vcc_lo
	v_lshlrev_b32_e32 v19, 2, v11
	v_xor_b32_e32 v11, 4, v10
	s_delay_alu instid0(VALU_DEP_1) | instskip(SKIP_4) | instid1(VALU_DEP_1)
	v_cmp_gt_i32_e32 vcc_lo, 32, v11
	v_dual_cndmask_b32 v11, v10, v11 :: v_dual_lshlrev_b32 v18, 2, v9
	ds_bpermute_b32 v9, v18, v8
	v_lshlrev_b32_e32 v20, 2, v11
	v_xor_b32_e32 v11, 2, v10
	v_cmp_gt_i32_e32 vcc_lo, 32, v11
	v_cndmask_b32_e32 v11, v10, v11, vcc_lo
	s_waitcnt lgkmcnt(0)
	v_max_f32_e32 v9, v9, v9
	s_delay_alu instid0(VALU_DEP_2) | instskip(SKIP_1) | instid1(VALU_DEP_3)
	v_lshlrev_b32_e32 v21, 2, v11
	v_xor_b32_e32 v11, 1, v10
	v_max_f32_e32 v8, v8, v9
	s_delay_alu instid0(VALU_DEP_2) | instskip(SKIP_3) | instid1(VALU_DEP_1)
	v_cmp_gt_i32_e32 vcc_lo, 32, v11
	ds_bpermute_b32 v9, v19, v8
	v_cndmask_b32_e32 v10, v10, v11, vcc_lo
	s_waitcnt lgkmcnt(0)
	v_dual_max_f32 v9, v9, v9 :: v_dual_lshlrev_b32 v22, 2, v10
	s_delay_alu instid0(VALU_DEP_1) | instskip(SKIP_3) | instid1(VALU_DEP_1)
	v_max_f32_e32 v8, v8, v9
	ds_bpermute_b32 v9, v20, v8
	s_waitcnt lgkmcnt(0)
	v_max_f32_e32 v9, v9, v9
	v_max_f32_e32 v8, v8, v9
	ds_bpermute_b32 v9, v21, v8
	s_waitcnt lgkmcnt(0)
	v_max_f32_e32 v9, v9, v9
	s_delay_alu instid0(VALU_DEP_1) | instskip(SKIP_3) | instid1(VALU_DEP_1)
	v_max_f32_e32 v8, v8, v9
	ds_bpermute_b32 v9, v22, v8
	s_waitcnt lgkmcnt(0)
	v_max_f32_e32 v9, v9, v9
	v_max_f32_e32 v8, v8, v9
	s_delay_alu instid0(VALU_DEP_1) | instskip(NEXT) | instid1(VALU_DEP_1)
	v_sub_f32_e32 v7, v7, v8
	v_dual_mul_f32 v15, 0x3fb8aa3b, v7 :: v_dual_sub_f32 v2, v2, v8
	v_sub_f32_e32 v1, v1, v8
	v_sub_f32_e32 v0, v0, v8
	;; [unrolled: 1-line block ×4, first 2 shown]
	v_mul_f32_e32 v10, 0x3fb8aa3b, v2
	v_dual_sub_f32 v4, v4, v8 :: v_dual_mul_f32 v9, 0x3fb8aa3b, v1
	v_sub_f32_e32 v3, v3, v8
	v_cmp_ngt_f32_e32 vcc_lo, 0xc2ce8ed0, v0
	s_delay_alu instid0(VALU_DEP_4) | instskip(SKIP_4) | instid1(VALU_DEP_4)
	v_fma_f32 v27, 0x3fb8aa3b, v2, -v10
	v_rndne_f32_e32 v28, v10
	v_rndne_f32_e32 v26, v9
	v_mul_f32_e32 v8, 0x3fb8aa3b, v0
	v_fma_f32 v25, 0x3fb8aa3b, v1, -v9
	v_dual_fmac_f32 v27, 0x32a5705f, v2 :: v_dual_sub_f32 v10, v10, v28
	s_delay_alu instid0(VALU_DEP_4) | instskip(NEXT) | instid1(VALU_DEP_4)
	v_sub_f32_e32 v9, v9, v26
	v_fma_f32 v23, 0x3fb8aa3b, v0, -v8
	v_rndne_f32_e32 v24, v8
	s_delay_alu instid0(VALU_DEP_4) | instskip(SKIP_1) | instid1(VALU_DEP_4)
	v_dual_fmac_f32 v25, 0x32a5705f, v1 :: v_dual_add_f32 v10, v10, v27
	v_cvt_i32_f32_e32 v26, v26
	v_fmac_f32_e32 v23, 0x32a5705f, v0
	s_delay_alu instid0(VALU_DEP_3) | instskip(SKIP_3) | instid1(VALU_DEP_3)
	v_dual_sub_f32 v8, v8, v24 :: v_dual_add_f32 v9, v9, v25
	v_cvt_i32_f32_e32 v24, v24
	v_exp_f32_e32 v10, v10
	v_cvt_i32_f32_e32 v28, v28
	v_dual_add_f32 v8, v8, v23 :: v_dual_mul_f32 v13, 0x3fb8aa3b, v5
	v_dual_mul_f32 v14, 0x3fb8aa3b, v6 :: v_dual_mul_f32 v11, 0x3fb8aa3b, v3
	v_exp_f32_e32 v9, v9
	s_delay_alu instid0(VALU_DEP_2) | instskip(NEXT) | instid1(VALU_DEP_2)
	v_exp_f32_e32 v8, v8
	v_rndne_f32_e32 v34, v13
	v_fma_f32 v33, 0x3fb8aa3b, v5, -v13
	v_fma_f32 v29, 0x3fb8aa3b, v3, -v11
	v_rndne_f32_e32 v30, v11
	v_mul_f32_e32 v12, 0x3fb8aa3b, v4
	v_fma_f32 v37, 0x3fb8aa3b, v7, -v15
	v_ldexp_f32 v10, v10, v28
	v_rndne_f32_e32 v38, v15
	v_sub_f32_e32 v11, v11, v30
	v_ldexp_f32 v8, v8, v24
	v_rndne_f32_e32 v32, v12
	v_fmac_f32_e32 v29, 0x32a5705f, v3
	v_sub_f32_e32 v13, v13, v34
	v_ldexp_f32 v9, v9, v26
	v_cndmask_b32_e32 v8, 0, v8, vcc_lo
	v_cmp_ngt_f32_e32 vcc_lo, 0xc2ce8ed0, v1
	v_fma_f32 v31, 0x3fb8aa3b, v4, -v12
	v_dual_sub_f32 v12, v12, v32 :: v_dual_add_f32 v11, v11, v29
	v_cvt_i32_f32_e32 v30, v30
	v_cndmask_b32_e32 v9, 0, v9, vcc_lo
	v_cmp_ngt_f32_e32 vcc_lo, 0xc2ce8ed0, v2
	v_fmac_f32_e32 v37, 0x32a5705f, v7
	v_exp_f32_e32 v11, v11
	v_fma_f32 v35, 0x3fb8aa3b, v6, -v14
	v_rndne_f32_e32 v36, v14
	v_cndmask_b32_e32 v10, 0, v10, vcc_lo
	v_cmp_nlt_f32_e32 vcc_lo, 0x42b17218, v0
	v_sub_f32_e32 v15, v15, v38
	s_delay_alu instid0(VALU_DEP_4)
	v_dual_fmac_f32 v33, 0x32a5705f, v5 :: v_dual_sub_f32 v14, v14, v36
	v_cvt_i32_f32_e32 v32, v32
	v_cndmask_b32_e32 v0, 0x7f800000, v8, vcc_lo
	v_cmp_nlt_f32_e32 vcc_lo, 0x42b17218, v1
	v_ldexp_f32 v11, v11, v30
	v_cvt_i32_f32_e32 v34, v34
	v_cvt_i32_f32_e32 v23, v36
	;; [unrolled: 1-line block ×3, first 2 shown]
	v_cndmask_b32_e32 v1, 0x7f800000, v9, vcc_lo
	v_cmp_ngt_f32_e32 vcc_lo, 0xc2ce8ed0, v3
	v_dual_fmac_f32 v35, 0x32a5705f, v6 :: v_dual_cndmask_b32 v8, 0, v11
	s_delay_alu instid0(VALU_DEP_1) | instskip(SKIP_1) | instid1(VALU_DEP_2)
	v_dual_fmac_f32 v31, 0x32a5705f, v4 :: v_dual_add_f32 v14, v14, v35
	v_cmp_nlt_f32_e32 vcc_lo, 0x42b17218, v2
	v_add_f32_e32 v12, v12, v31
	s_delay_alu instid0(VALU_DEP_3) | instskip(SKIP_2) | instid1(VALU_DEP_3)
	v_exp_f32_e32 v14, v14
	v_cndmask_b32_e32 v2, 0x7f800000, v10, vcc_lo
	v_cmp_ngt_f32_e32 vcc_lo, 0xc2ce8ed0, v4
	v_exp_f32_e32 v12, v12
	s_waitcnt_depctr 0xfff
	v_ldexp_f32 v14, v14, v23
	v_add_f32_e32 v9, v0, v1
	v_add_f32_e32 v15, v15, v37
	v_lshlrev_b32_e32 v23, 2, v17
	v_ldexp_f32 v12, v12, v32
	s_delay_alu instid0(VALU_DEP_1) | instskip(SKIP_1) | instid1(VALU_DEP_2)
	v_dual_cndmask_b32 v10, 0, v12 :: v_dual_add_f32 v13, v13, v33
	v_cmp_nlt_f32_e32 vcc_lo, 0x42b17218, v3
	v_exp_f32_e32 v13, v13
	v_cndmask_b32_e32 v3, 0x7f800000, v8, vcc_lo
	v_cmp_ngt_f32_e32 vcc_lo, 0xc2ce8ed0, v5
	v_add_f32_e32 v8, v9, v2
	v_exp_f32_e32 v15, v15
	s_delay_alu instid0(VALU_DEP_1) | instskip(SKIP_3) | instid1(VALU_DEP_2)
	v_add_f32_e32 v8, v8, v3
	s_waitcnt_depctr 0xfff
	v_ldexp_f32 v13, v13, v34
	v_ldexp_f32 v15, v15, v25
	v_cndmask_b32_e32 v9, 0, v13, vcc_lo
	v_cmp_nlt_f32_e32 vcc_lo, 0x42b17218, v4
	v_cndmask_b32_e32 v4, 0x7f800000, v10, vcc_lo
	v_cmp_ngt_f32_e32 vcc_lo, 0xc2ce8ed0, v6
	s_delay_alu instid0(VALU_DEP_2) | instskip(SKIP_4) | instid1(VALU_DEP_2)
	v_add_f32_e32 v8, v8, v4
	v_cndmask_b32_e32 v10, 0, v14, vcc_lo
	v_cmp_nlt_f32_e32 vcc_lo, 0x42b17218, v5
	v_cndmask_b32_e32 v5, 0x7f800000, v9, vcc_lo
	v_cmp_ngt_f32_e32 vcc_lo, 0xc2ce8ed0, v7
	v_dual_add_f32 v8, v8, v5 :: v_dual_cndmask_b32 v9, 0, v15
	v_cmp_nlt_f32_e32 vcc_lo, 0x42b17218, v6
	v_cndmask_b32_e32 v6, 0x7f800000, v10, vcc_lo
	v_cmp_nlt_f32_e32 vcc_lo, 0x42b17218, v7
	s_delay_alu instid0(VALU_DEP_2) | instskip(NEXT) | instid1(VALU_DEP_1)
	v_dual_add_f32 v8, v8, v6 :: v_dual_cndmask_b32 v7, 0x7f800000, v9
	v_add_f32_e32 v8, v8, v7
	ds_bpermute_b32 v9, v18, v8
	s_waitcnt lgkmcnt(0)
	v_add_f32_e32 v8, v8, v9
	ds_bpermute_b32 v9, v19, v8
	s_waitcnt lgkmcnt(0)
	;; [unrolled: 3-line block ×5, first 2 shown]
	v_add_f32_e32 v8, v8, v9
	s_delay_alu instid0(VALU_DEP_1) | instskip(SKIP_1) | instid1(VALU_DEP_2)
	v_div_scale_f32 v9, null, v8, v8, 1.0
	v_div_scale_f32 v12, vcc_lo, 1.0, v8, 1.0
	v_rcp_f32_e32 v10, v9
	s_waitcnt_depctr 0xfff
	v_fma_f32 v11, -v9, v10, 1.0
	s_delay_alu instid0(VALU_DEP_1) | instskip(NEXT) | instid1(VALU_DEP_1)
	v_fmac_f32_e32 v10, v11, v10
	v_mul_f32_e32 v11, v12, v10
	s_delay_alu instid0(VALU_DEP_1) | instskip(NEXT) | instid1(VALU_DEP_1)
	v_fma_f32 v13, -v9, v11, v12
	v_fmac_f32_e32 v11, v13, v10
	s_delay_alu instid0(VALU_DEP_1) | instskip(NEXT) | instid1(VALU_DEP_1)
	v_fma_f32 v9, -v9, v11, v12
	v_div_fmas_f32 v9, v9, v10, v11
	s_delay_alu instid0(VALU_DEP_1) | instskip(NEXT) | instid1(VALU_DEP_1)
	v_div_fixup_f32 v8, v9, v8, 1.0
	v_mul_f32_e32 v0, v8, v0
	v_mul_f32_e32 v2, v8, v2
	;; [unrolled: 1-line block ×5, first 2 shown]
	v_cmp_class_f32_e64 vcc_lo, v0, 0x1f8
	v_mul_f32_e32 v4, v8, v4
	v_mul_f32_e32 v3, v8, v3
	v_dual_mul_f32 v7, v8, v7 :: v_dual_cndmask_b32 v0, 0, v0
	v_cmp_class_f32_e64 vcc_lo, v1, 0x1f8
	v_cndmask_b32_e32 v1, 0, v1, vcc_lo
	v_cmp_class_f32_e64 vcc_lo, v2, 0x1f8
	v_cndmask_b32_e32 v2, 0, v2, vcc_lo
	;; [unrolled: 2-line block ×7, first 2 shown]
	s_cbranch_scc1 .LBB62_35
; %bb.4:
	v_lshlrev_b32_e32 v12, 2, v23
	s_clause 0x1
	global_load_b128 v[8:11], v12, s[2:3]
	global_load_b128 v[12:15], v12, s[2:3] offset:512
	s_waitcnt vmcnt(1)
	v_dual_add_f32 v9, v9, v1 :: v_dual_add_f32 v8, v8, v0
	v_dual_add_f32 v11, v11, v3 :: v_dual_add_f32 v10, v10, v2
	s_waitcnt vmcnt(0)
	v_dual_add_f32 v13, v13, v5 :: v_dual_add_f32 v12, v12, v4
	v_dual_add_f32 v15, v15, v7 :: v_dual_add_f32 v14, v14, v6
	s_cbranch_execnz .LBB62_6
.LBB62_5:
	v_dual_mov_b32 v15, v7 :: v_dual_mov_b32 v14, v6
	v_dual_mov_b32 v13, v5 :: v_dual_mov_b32 v12, v4
	v_dual_mov_b32 v11, v3 :: v_dual_mov_b32 v10, v2
	v_dual_mov_b32 v9, v1 :: v_dual_mov_b32 v8, v0
.LBB62_6:
	s_load_b128 s[4:7], s[0:1], 0x30
	v_cmp_eq_u32_e64 s2, 0, v17
	s_waitcnt lgkmcnt(0)
	s_bitcmp1_b32 s7, 0
	s_mov_b32 s7, 0
	s_cselect_b32 vcc_lo, -1, 0
	s_cmp_gt_i32 s4, 0
	s_cselect_b32 s3, -1, 0
	s_cmp_lt_i32 s4, 1
	s_cbranch_scc1 .LBB62_36
; %bb.7:
	s_load_b128 s[8:11], s[0:1], 0x20
	v_mul_lo_u32 v25, v16, s4
	v_mov_b32_e32 v24, 0
	v_mov_b32_e32 v26, v16
	s_branch .LBB62_10
.LBB62_8:                               ;   in Loop: Header=BB62_10 Depth=1
	s_or_b32 exec_lo, exec_lo, s1
.LBB62_9:                               ;   in Loop: Header=BB62_10 Depth=1
	v_add_nc_u32_e32 v26, s14, v26
	s_cmp_eq_u32 s4, s7
	s_cbranch_scc1 .LBB62_37
.LBB62_10:                              ; =>This Inner Loop Header: Depth=1
	v_cmp_gt_f32_e64 s0, v9, v8
	s_mov_b32 s17, exec_lo
	s_delay_alu instid0(VALU_DEP_1) | instskip(SKIP_2) | instid1(VALU_DEP_3)
	v_cndmask_b32_e64 v27, v8, v9, s0
	v_cndmask_b32_e64 v28, 0, 1, s0
	;; [unrolled: 1-line block ×3, first 2 shown]
	v_cmp_gt_f32_e64 s1, v10, v27
	s_delay_alu instid0(VALU_DEP_1) | instskip(NEXT) | instid1(VALU_DEP_4)
	v_cndmask_b32_e64 v27, v27, v10, s1
	v_cndmask_b32_e64 v28, v28, 2, s1
	s_delay_alu instid0(VALU_DEP_4) | instskip(NEXT) | instid1(VALU_DEP_3)
	v_cndmask_b32_e64 v29, v29, v2, s1
	v_cmp_gt_f32_e64 s0, v11, v27
	s_delay_alu instid0(VALU_DEP_1) | instskip(NEXT) | instid1(VALU_DEP_4)
	v_cndmask_b32_e64 v27, v27, v11, s0
	v_cndmask_b32_e64 v28, v28, 3, s0
	s_delay_alu instid0(VALU_DEP_4) | instskip(NEXT) | instid1(VALU_DEP_3)
	v_cndmask_b32_e64 v29, v29, v3, s0
	;; [unrolled: 6-line block ×4, first 2 shown]
	v_cmp_gt_f32_e64 s1, v14, v27
	s_delay_alu instid0(VALU_DEP_1) | instskip(NEXT) | instid1(VALU_DEP_4)
	v_cndmask_b32_e64 v27, v27, v14, s1
	v_cndmask_b32_e64 v28, v28, 0x82, s1
	s_waitcnt lgkmcnt(0)
	v_cndmask_b32_e64 v30, v29, v6, s1
	s_delay_alu instid0(VALU_DEP_3) | instskip(NEXT) | instid1(VALU_DEP_1)
	v_cmp_gt_f32_e64 s0, v15, v27
	v_cndmask_b32_e64 v29, v27, v15, s0
	v_cndmask_b32_e64 v27, v28, 0x83, s0
	s_delay_alu instid0(VALU_DEP_4)
	v_cndmask_b32_e64 v28, v30, v7, s0
	ds_bpermute_b32 v30, v18, v29
	v_or_b32_e32 v27, v23, v27
	ds_bpermute_b32 v32, v18, v28
	ds_bpermute_b32 v31, v18, v27
	s_waitcnt lgkmcnt(0)
	v_cmp_lt_f32_e64 s16, v29, v30
	v_cmpx_nlt_f32_e32 v29, v30
; %bb.11:                               ;   in Loop: Header=BB62_10 Depth=1
	v_cmp_eq_f32_e64 s0, v29, v30
	v_cmp_lt_i32_e64 s1, v31, v27
	s_delay_alu instid0(VALU_DEP_1) | instskip(SKIP_2) | instid1(SALU_CYCLE_1)
	s_and_b32 s0, s0, s1
	s_and_not1_b32 s1, s16, exec_lo
	s_and_b32 s0, s0, exec_lo
	s_or_b32 s16, s1, s0
; %bb.12:                               ;   in Loop: Header=BB62_10 Depth=1
	s_or_b32 exec_lo, exec_lo, s17
	s_and_saveexec_b32 s0, s16
; %bb.13:                               ;   in Loop: Header=BB62_10 Depth=1
	v_dual_mov_b32 v28, v32 :: v_dual_mov_b32 v29, v30
	v_mov_b32_e32 v27, v31
; %bb.14:                               ;   in Loop: Header=BB62_10 Depth=1
	s_or_b32 exec_lo, exec_lo, s0
	ds_bpermute_b32 v31, v19, v29
	ds_bpermute_b32 v32, v19, v28
	;; [unrolled: 1-line block ×3, first 2 shown]
	s_mov_b32 s17, exec_lo
	s_waitcnt lgkmcnt(2)
	v_cmp_lt_f32_e64 s16, v29, v31
	v_cmpx_nlt_f32_e32 v29, v31
	s_cbranch_execz .LBB62_16
; %bb.15:                               ;   in Loop: Header=BB62_10 Depth=1
	v_cmp_eq_f32_e64 s0, v29, v31
	s_waitcnt lgkmcnt(0)
	v_cmp_lt_i32_e64 s1, v30, v27
	s_delay_alu instid0(VALU_DEP_1) | instskip(SKIP_2) | instid1(SALU_CYCLE_1)
	s_and_b32 s0, s0, s1
	s_and_not1_b32 s1, s16, exec_lo
	s_and_b32 s0, s0, exec_lo
	s_or_b32 s16, s1, s0
.LBB62_16:                              ;   in Loop: Header=BB62_10 Depth=1
	s_or_b32 exec_lo, exec_lo, s17
	s_delay_alu instid0(VALU_DEP_2)
	s_and_saveexec_b32 s0, s16
	s_cbranch_execz .LBB62_18
; %bb.17:                               ;   in Loop: Header=BB62_10 Depth=1
	s_waitcnt lgkmcnt(1)
	v_dual_mov_b32 v28, v32 :: v_dual_mov_b32 v29, v31
	s_waitcnt lgkmcnt(0)
	v_mov_b32_e32 v27, v30
.LBB62_18:                              ;   in Loop: Header=BB62_10 Depth=1
	s_or_b32 exec_lo, exec_lo, s0
	ds_bpermute_b32 v31, v20, v29
	s_waitcnt lgkmcnt(2)
	ds_bpermute_b32 v32, v20, v28
	s_waitcnt lgkmcnt(2)
	ds_bpermute_b32 v30, v20, v27
	s_mov_b32 s17, exec_lo
	s_waitcnt lgkmcnt(2)
	v_cmp_lt_f32_e64 s16, v29, v31
	v_cmpx_nlt_f32_e32 v29, v31
	s_cbranch_execz .LBB62_20
; %bb.19:                               ;   in Loop: Header=BB62_10 Depth=1
	v_cmp_eq_f32_e64 s0, v29, v31
	s_waitcnt lgkmcnt(0)
	v_cmp_lt_i32_e64 s1, v30, v27
	s_delay_alu instid0(VALU_DEP_1) | instskip(SKIP_2) | instid1(SALU_CYCLE_1)
	s_and_b32 s0, s0, s1
	s_and_not1_b32 s1, s16, exec_lo
	s_and_b32 s0, s0, exec_lo
	s_or_b32 s16, s1, s0
.LBB62_20:                              ;   in Loop: Header=BB62_10 Depth=1
	s_or_b32 exec_lo, exec_lo, s17
	s_delay_alu instid0(VALU_DEP_2)
	s_and_saveexec_b32 s0, s16
	s_cbranch_execz .LBB62_22
; %bb.21:                               ;   in Loop: Header=BB62_10 Depth=1
	s_waitcnt lgkmcnt(1)
	v_dual_mov_b32 v28, v32 :: v_dual_mov_b32 v29, v31
	s_waitcnt lgkmcnt(0)
	v_mov_b32_e32 v27, v30
.LBB62_22:                              ;   in Loop: Header=BB62_10 Depth=1
	s_or_b32 exec_lo, exec_lo, s0
	ds_bpermute_b32 v31, v21, v29
	s_waitcnt lgkmcnt(2)
	ds_bpermute_b32 v32, v21, v28
	s_waitcnt lgkmcnt(2)
	ds_bpermute_b32 v30, v21, v27
	s_mov_b32 s17, exec_lo
	s_waitcnt lgkmcnt(2)
	v_cmp_lt_f32_e64 s16, v29, v31
	v_cmpx_nlt_f32_e32 v29, v31
	s_cbranch_execz .LBB62_24
; %bb.23:                               ;   in Loop: Header=BB62_10 Depth=1
	v_cmp_eq_f32_e64 s0, v29, v31
	s_waitcnt lgkmcnt(0)
	v_cmp_lt_i32_e64 s1, v30, v27
	s_delay_alu instid0(VALU_DEP_1) | instskip(SKIP_2) | instid1(SALU_CYCLE_1)
	s_and_b32 s0, s0, s1
	s_and_not1_b32 s1, s16, exec_lo
	s_and_b32 s0, s0, exec_lo
	s_or_b32 s16, s1, s0
.LBB62_24:                              ;   in Loop: Header=BB62_10 Depth=1
	s_or_b32 exec_lo, exec_lo, s17
	s_delay_alu instid0(VALU_DEP_2)
	s_and_saveexec_b32 s0, s16
	s_cbranch_execz .LBB62_26
; %bb.25:                               ;   in Loop: Header=BB62_10 Depth=1
	s_waitcnt lgkmcnt(1)
	v_dual_mov_b32 v28, v32 :: v_dual_mov_b32 v29, v31
	s_waitcnt lgkmcnt(0)
	v_mov_b32_e32 v27, v30
.LBB62_26:                              ;   in Loop: Header=BB62_10 Depth=1
	s_or_b32 exec_lo, exec_lo, s0
	s_waitcnt lgkmcnt(1)
	ds_bpermute_b32 v32, v22, v29
	ds_bpermute_b32 v31, v22, v28
	s_waitcnt lgkmcnt(2)
	ds_bpermute_b32 v30, v22, v27
	s_mov_b32 s17, exec_lo
	s_waitcnt lgkmcnt(2)
	v_cmp_lt_f32_e64 s16, v29, v32
	v_cmpx_nlt_f32_e32 v29, v32
	s_cbranch_execnz .LBB62_30
; %bb.27:                               ;   in Loop: Header=BB62_10 Depth=1
	s_or_b32 exec_lo, exec_lo, s17
	s_delay_alu instid0(VALU_DEP_2)
	s_and_saveexec_b32 s0, s16
	s_cbranch_execnz .LBB62_31
.LBB62_28:                              ;   in Loop: Header=BB62_10 Depth=1
	s_or_b32 exec_lo, exec_lo, s0
	s_and_saveexec_b32 s16, s2
	s_cbranch_execnz .LBB62_32
.LBB62_29:                              ;   in Loop: Header=BB62_10 Depth=1
	s_or_b32 exec_lo, exec_lo, s16
	s_add_i32 s7, s7, 1
	s_delay_alu instid0(SALU_CYCLE_1)
	s_cmp_ge_i32 s7, s4
	s_cbranch_scc1 .LBB62_9
	s_branch .LBB62_33
.LBB62_30:                              ;   in Loop: Header=BB62_10 Depth=1
	v_cmp_eq_f32_e64 s0, v29, v32
	s_waitcnt lgkmcnt(0)
	v_cmp_lt_i32_e64 s1, v30, v27
	s_delay_alu instid0(VALU_DEP_1) | instskip(SKIP_2) | instid1(SALU_CYCLE_1)
	s_and_b32 s0, s0, s1
	s_and_not1_b32 s1, s16, exec_lo
	s_and_b32 s0, s0, exec_lo
	s_or_b32 s16, s1, s0
	s_or_b32 exec_lo, exec_lo, s17
	s_and_saveexec_b32 s0, s16
	s_cbranch_execz .LBB62_28
.LBB62_31:                              ;   in Loop: Header=BB62_10 Depth=1
	s_waitcnt lgkmcnt(0)
	v_dual_mov_b32 v28, v31 :: v_dual_mov_b32 v27, v30
	s_or_b32 exec_lo, exec_lo, s0
	s_and_saveexec_b32 s16, s2
	s_cbranch_execz .LBB62_29
.LBB62_32:                              ;   in Loop: Header=BB62_10 Depth=1
	v_add_nc_u32_e32 v29, s7, v25
	v_subrev_nc_u32_e32 v33, s5, v27
	v_cmp_le_i32_e64 s0, s5, v27
	v_cmp_gt_i32_e64 s1, s6, v27
	v_add_f32_e32 v37, v24, v28
	s_waitcnt lgkmcnt(0)
	v_ashrrev_i32_e32 v30, 31, v29
	v_ashrrev_i32_e32 v34, 31, v33
	s_and_b32 s0, s0, s1
	v_cndmask_b32_e32 v24, v24, v37, vcc_lo
	s_delay_alu instid0(VALU_DEP_3) | instskip(SKIP_2) | instid1(SALU_CYCLE_1)
	v_lshlrev_b64 v[31:32], 2, v[29:30]
	v_lshlrev_b64 v[29:30], 3, v[29:30]
	s_and_b32 s0, s15, s0
	v_cndmask_b32_e64 v34, 0, v34, s0
	v_cndmask_b32_e64 v33, 0x100, v33, s0
	s_delay_alu instid0(VALU_DEP_4) | instskip(NEXT) | instid1(VALU_DEP_1)
	v_add_co_u32 v35, s0, s12, v31
	v_add_co_ci_u32_e64 v36, s0, s13, v32, s0
	v_add_co_u32 v29, s0, s8, v29
	s_delay_alu instid0(VALU_DEP_1) | instskip(SKIP_1) | instid1(VALU_DEP_1)
	v_add_co_ci_u32_e64 v30, s0, s9, v30, s0
	v_add_co_u32 v31, s0, s10, v31
	v_add_co_ci_u32_e64 v32, s0, s11, v32, s0
	global_store_b32 v[35:36], v28, off
	global_store_b64 v[29:30], v[33:34], off
	global_store_b32 v[31:32], v26, off
	s_or_b32 exec_lo, exec_lo, s16
	s_add_i32 s7, s7, 1
	s_delay_alu instid0(SALU_CYCLE_1)
	s_cmp_ge_i32 s7, s4
	s_cbranch_scc1 .LBB62_9
.LBB62_33:                              ;   in Loop: Header=BB62_10 Depth=1
	v_ashrrev_i32_e32 v28, 31, v27
	s_mov_b32 s1, exec_lo
	s_delay_alu instid0(VALU_DEP_1) | instskip(NEXT) | instid1(VALU_DEP_1)
	v_lshrrev_b32_e32 v29, 30, v28
	v_add_nc_u32_e32 v29, v27, v29
	s_waitcnt lgkmcnt(0)
	s_delay_alu instid0(VALU_DEP_1) | instskip(SKIP_1) | instid1(VALU_DEP_2)
	v_ashrrev_i32_e32 v30, 31, v29
	v_ashrrev_i32_e32 v29, 2, v29
	v_lshrrev_b32_e32 v30, 27, v30
	s_delay_alu instid0(VALU_DEP_1) | instskip(NEXT) | instid1(VALU_DEP_1)
	v_add_nc_u32_e32 v30, v29, v30
	v_and_b32_e32 v30, 0xffffffe0, v30
	s_delay_alu instid0(VALU_DEP_1) | instskip(NEXT) | instid1(VALU_DEP_1)
	v_sub_nc_u32_e32 v30, v29, v30
	v_cmpx_eq_u32_e64 v17, v30
	s_cbranch_execz .LBB62_8
; %bb.34:                               ;   in Loop: Header=BB62_10 Depth=1
	v_lshrrev_b32_e32 v28, 25, v28
	v_lshlrev_b32_e32 v29, 2, v29
	s_delay_alu instid0(VALU_DEP_2) | instskip(NEXT) | instid1(VALU_DEP_2)
	v_add_nc_u32_e32 v28, v27, v28
	v_sub_nc_u32_e32 v27, v27, v29
	s_delay_alu instid0(VALU_DEP_2) | instskip(NEXT) | instid1(VALU_DEP_1)
	v_ashrrev_i32_e32 v28, 7, v28
	v_lshl_add_u32 v27, v28, 2, v27
	s_delay_alu instid0(VALU_DEP_1) | instskip(NEXT) | instid1(VALU_DEP_1)
	v_cmp_ne_u32_e64 s0, 7, v27
	v_cndmask_b32_e64 v15, 0xc61c4000, v15, s0
	v_cmp_ne_u32_e64 s0, 6, v27
	s_delay_alu instid0(VALU_DEP_1) | instskip(SKIP_1) | instid1(VALU_DEP_1)
	v_cndmask_b32_e64 v14, 0xc61c4000, v14, s0
	v_cmp_ne_u32_e64 s0, 5, v27
	v_cndmask_b32_e64 v13, 0xc61c4000, v13, s0
	v_cmp_ne_u32_e64 s0, 4, v27
	s_delay_alu instid0(VALU_DEP_1) | instskip(SKIP_1) | instid1(VALU_DEP_1)
	v_cndmask_b32_e64 v12, 0xc61c4000, v12, s0
	v_cmp_ne_u32_e64 s0, 3, v27
	v_cndmask_b32_e64 v11, 0xc61c4000, v11, s0
	v_cmp_ne_u32_e64 s0, 2, v27
	s_delay_alu instid0(VALU_DEP_1) | instskip(SKIP_1) | instid1(VALU_DEP_1)
	v_cndmask_b32_e64 v10, 0xc61c4000, v10, s0
	v_cmp_ne_u32_e64 s0, 1, v27
	v_cndmask_b32_e64 v9, 0xc61c4000, v9, s0
	v_cmp_ne_u32_e64 s0, 0, v27
	s_delay_alu instid0(VALU_DEP_1)
	v_cndmask_b32_e64 v8, 0xc61c4000, v8, s0
	s_branch .LBB62_8
.LBB62_35:
                                        ; implicit-def: $vgpr8_vgpr9_vgpr10_vgpr11_vgpr12_vgpr13_vgpr14_vgpr15
	s_and_not1_b32 vcc_lo, exec_lo, s8
	s_cbranch_vccz .LBB62_5
	s_branch .LBB62_6
.LBB62_36:
	v_mov_b32_e32 v24, 0
.LBB62_37:
	v_cmp_eq_u32_e64 s0, 0, v17
	s_delay_alu instid0(VALU_DEP_1) | instskip(NEXT) | instid1(SALU_CYCLE_1)
	s_and_b32 s0, s0, vcc_lo
	s_and_b32 exec_lo, exec_lo, s0
	s_cbranch_execz .LBB62_41
; %bb.38:
	s_and_not1_b32 vcc_lo, exec_lo, s3
	s_cbranch_vccnz .LBB62_41
; %bb.39:
	v_mul_lo_u32 v0, v16, s4
	v_cmp_lt_f32_e32 vcc_lo, 0, v24
	v_cndmask_b32_e32 v2, 1.0, v24, vcc_lo
	s_delay_alu instid0(VALU_DEP_3) | instskip(NEXT) | instid1(VALU_DEP_1)
	v_ashrrev_i32_e32 v1, 31, v0
	v_lshlrev_b64 v[0:1], 2, v[0:1]
	s_delay_alu instid0(VALU_DEP_1) | instskip(NEXT) | instid1(VALU_DEP_2)
	v_add_co_u32 v0, vcc_lo, s12, v0
	v_add_co_ci_u32_e32 v1, vcc_lo, s13, v1, vcc_lo
	.p2align	6
.LBB62_40:                              ; =>This Inner Loop Header: Depth=1
	global_load_b32 v3, v[0:1], off
	s_add_i32 s4, s4, -1
	s_delay_alu instid0(SALU_CYCLE_1) | instskip(SKIP_3) | instid1(VALU_DEP_2)
	s_cmp_lg_u32 s4, 0
	s_waitcnt vmcnt(0)
	v_div_scale_f32 v4, null, v2, v2, v3
	v_div_scale_f32 v7, vcc_lo, v3, v2, v3
	v_rcp_f32_e32 v5, v4
	s_waitcnt_depctr 0xfff
	v_fma_f32 v6, -v4, v5, 1.0
	s_delay_alu instid0(VALU_DEP_1) | instskip(NEXT) | instid1(VALU_DEP_1)
	v_fmac_f32_e32 v5, v6, v5
	v_mul_f32_e32 v6, v7, v5
	s_delay_alu instid0(VALU_DEP_1) | instskip(NEXT) | instid1(VALU_DEP_1)
	v_fma_f32 v8, -v4, v6, v7
	v_fmac_f32_e32 v6, v8, v5
	s_delay_alu instid0(VALU_DEP_1) | instskip(NEXT) | instid1(VALU_DEP_1)
	v_fma_f32 v4, -v4, v6, v7
	v_div_fmas_f32 v4, v4, v5, v6
	s_delay_alu instid0(VALU_DEP_1)
	v_div_fixup_f32 v3, v4, v2, v3
	global_store_b32 v[0:1], v3, off
	v_add_co_u32 v0, vcc_lo, v0, 4
	v_add_co_ci_u32_e32 v1, vcc_lo, 0, v1, vcc_lo
	s_cbranch_scc1 .LBB62_40
.LBB62_41:
	s_nop 0
	s_sendmsg sendmsg(MSG_DEALLOC_VGPRS)
	s_endpgm
	.section	.rodata,"a",@progbits
	.p2align	6, 0x0
	.amdhsa_kernel _ZN4vllm3moe10topkGatingILi8ELi256ELi4ELi16ELi32ElfLNS0_11ScoringFuncE0EEEvPKT5_PKbPfiPT4_PiiiibPKf
		.amdhsa_group_segment_fixed_size 0
		.amdhsa_private_segment_fixed_size 0
		.amdhsa_kernarg_size 72
		.amdhsa_user_sgpr_count 15
		.amdhsa_user_sgpr_dispatch_ptr 0
		.amdhsa_user_sgpr_queue_ptr 0
		.amdhsa_user_sgpr_kernarg_segment_ptr 1
		.amdhsa_user_sgpr_dispatch_id 0
		.amdhsa_user_sgpr_private_segment_size 0
		.amdhsa_wavefront_size32 1
		.amdhsa_uses_dynamic_stack 0
		.amdhsa_enable_private_segment 0
		.amdhsa_system_sgpr_workgroup_id_x 1
		.amdhsa_system_sgpr_workgroup_id_y 0
		.amdhsa_system_sgpr_workgroup_id_z 0
		.amdhsa_system_sgpr_workgroup_info 0
		.amdhsa_system_vgpr_workitem_id 1
		.amdhsa_next_free_vgpr 39
		.amdhsa_next_free_sgpr 18
		.amdhsa_reserve_vcc 1
		.amdhsa_float_round_mode_32 0
		.amdhsa_float_round_mode_16_64 0
		.amdhsa_float_denorm_mode_32 3
		.amdhsa_float_denorm_mode_16_64 3
		.amdhsa_dx10_clamp 1
		.amdhsa_ieee_mode 1
		.amdhsa_fp16_overflow 0
		.amdhsa_workgroup_processor_mode 1
		.amdhsa_memory_ordered 1
		.amdhsa_forward_progress 0
		.amdhsa_shared_vgpr_count 0
		.amdhsa_exception_fp_ieee_invalid_op 0
		.amdhsa_exception_fp_denorm_src 0
		.amdhsa_exception_fp_ieee_div_zero 0
		.amdhsa_exception_fp_ieee_overflow 0
		.amdhsa_exception_fp_ieee_underflow 0
		.amdhsa_exception_fp_ieee_inexact 0
		.amdhsa_exception_int_div_zero 0
	.end_amdhsa_kernel
	.section	.text._ZN4vllm3moe10topkGatingILi8ELi256ELi4ELi16ELi32ElfLNS0_11ScoringFuncE0EEEvPKT5_PKbPfiPT4_PiiiibPKf,"axG",@progbits,_ZN4vllm3moe10topkGatingILi8ELi256ELi4ELi16ELi32ElfLNS0_11ScoringFuncE0EEEvPKT5_PKbPfiPT4_PiiiibPKf,comdat
.Lfunc_end62:
	.size	_ZN4vllm3moe10topkGatingILi8ELi256ELi4ELi16ELi32ElfLNS0_11ScoringFuncE0EEEvPKT5_PKbPfiPT4_PiiiibPKf, .Lfunc_end62-_ZN4vllm3moe10topkGatingILi8ELi256ELi4ELi16ELi32ElfLNS0_11ScoringFuncE0EEEvPKT5_PKbPfiPT4_PiiiibPKf
                                        ; -- End function
	.section	.AMDGPU.csdata,"",@progbits
; Kernel info:
; codeLenInByte = 3568
; NumSgprs: 20
; NumVgprs: 39
; ScratchSize: 0
; MemoryBound: 0
; FloatMode: 240
; IeeeMode: 1
; LDSByteSize: 0 bytes/workgroup (compile time only)
; SGPRBlocks: 2
; VGPRBlocks: 4
; NumSGPRsForWavesPerEU: 20
; NumVGPRsForWavesPerEU: 39
; Occupancy: 16
; WaveLimiterHint : 1
; COMPUTE_PGM_RSRC2:SCRATCH_EN: 0
; COMPUTE_PGM_RSRC2:USER_SGPR: 15
; COMPUTE_PGM_RSRC2:TRAP_HANDLER: 0
; COMPUTE_PGM_RSRC2:TGID_X_EN: 1
; COMPUTE_PGM_RSRC2:TGID_Y_EN: 0
; COMPUTE_PGM_RSRC2:TGID_Z_EN: 0
; COMPUTE_PGM_RSRC2:TIDIG_COMP_CNT: 1
	.section	.text._ZN4vllm3moe10topkGatingILi8ELi512ELi4ELi16ELi64ElfLNS0_11ScoringFuncE0EEEvPKT5_PKbPfiPT4_PiiiibPKf,"axG",@progbits,_ZN4vllm3moe10topkGatingILi8ELi512ELi4ELi16ELi64ElfLNS0_11ScoringFuncE0EEEvPKT5_PKbPfiPT4_PiiiibPKf,comdat
	.protected	_ZN4vllm3moe10topkGatingILi8ELi512ELi4ELi16ELi64ElfLNS0_11ScoringFuncE0EEEvPKT5_PKbPfiPT4_PiiiibPKf ; -- Begin function _ZN4vllm3moe10topkGatingILi8ELi512ELi4ELi16ELi64ElfLNS0_11ScoringFuncE0EEEvPKT5_PKbPfiPT4_PiiiibPKf
	.globl	_ZN4vllm3moe10topkGatingILi8ELi512ELi4ELi16ELi64ElfLNS0_11ScoringFuncE0EEEvPKT5_PKbPfiPT4_PiiiibPKf
	.p2align	8
	.type	_ZN4vllm3moe10topkGatingILi8ELi512ELi4ELi16ELi64ElfLNS0_11ScoringFuncE0EEEvPKT5_PKbPfiPT4_PiiiibPKf,@function
_ZN4vllm3moe10topkGatingILi8ELi512ELi4ELi16ELi64ElfLNS0_11ScoringFuncE0EEEvPKT5_PKbPfiPT4_PiiiibPKf: ; @_ZN4vllm3moe10topkGatingILi8ELi512ELi4ELi16ELi64ElfLNS0_11ScoringFuncE0EEEvPKT5_PKbPfiPT4_PiiiibPKf
; %bb.0:
	s_load_b32 s14, s[0:1], 0x18
	v_and_b32_e32 v1, 0x3ff, v0
	v_bfe_u32 v0, v0, 10, 10
	s_lshl_b32 s2, s15, 2
	s_delay_alu instid0(VALU_DEP_2) | instskip(NEXT) | instid1(VALU_DEP_1)
	v_lshrrev_b32_e32 v2, 6, v1
	v_add3_u32 v16, s2, v0, v2
	s_mov_b32 s2, exec_lo
	s_waitcnt lgkmcnt(0)
	s_delay_alu instid0(VALU_DEP_1)
	v_cmpx_gt_i32_e64 s14, v16
	s_cbranch_execz .LBB63_45
; %bb.1:
	s_clause 0x1
	s_load_b128 s[4:7], s[0:1], 0x0
	s_load_b64 s[12:13], s[0:1], 0x10
	s_mov_b32 s8, -1
	s_mov_b32 s15, -1
	s_waitcnt lgkmcnt(0)
	s_cmp_eq_u64 s[6:7], 0
	s_cbranch_scc1 .LBB63_3
; %bb.2:
	v_ashrrev_i32_e32 v0, 31, v16
	v_add_co_u32 v2, vcc_lo, s6, v16
	s_delay_alu instid0(VALU_DEP_2) | instskip(SKIP_3) | instid1(VALU_DEP_1)
	v_add_co_ci_u32_e32 v3, vcc_lo, s7, v0, vcc_lo
	global_load_u8 v0, v[2:3], off
	s_waitcnt vmcnt(0)
	v_and_b32_e32 v0, 1, v0
	v_cmp_eq_u32_e32 vcc_lo, 1, v0
	s_xor_b32 s2, vcc_lo, -1
	s_delay_alu instid0(SALU_CYCLE_1)
	s_or_not1_b32 s15, s2, exec_lo
.LBB63_3:
	v_mbcnt_lo_u32_b32 v10, -1, 0
	v_lshlrev_b32_e32 v2, 9, v16
	v_and_b32_e32 v17, 63, v1
	s_load_b64 s[2:3], s[0:1], 0x40
	s_delay_alu instid0(VALU_DEP_3) | instskip(NEXT) | instid1(VALU_DEP_3)
	v_xor_b32_e32 v11, 16, v10
	v_ashrrev_i32_e32 v3, 31, v2
	s_delay_alu instid0(VALU_DEP_1) | instskip(SKIP_1) | instid1(VALU_DEP_2)
	v_lshlrev_b64 v[0:1], 2, v[2:3]
	v_lshlrev_b32_e32 v2, 4, v17
	v_add_co_u32 v0, vcc_lo, s4, v0
	s_delay_alu instid0(VALU_DEP_3) | instskip(NEXT) | instid1(VALU_DEP_2)
	v_add_co_ci_u32_e32 v1, vcc_lo, s5, v1, vcc_lo
	v_add_co_u32 v4, vcc_lo, v0, v2
	s_delay_alu instid0(VALU_DEP_2)
	v_add_co_ci_u32_e32 v5, vcc_lo, 0, v1, vcc_lo
	s_waitcnt lgkmcnt(0)
	s_cmp_eq_u64 s[2:3], 0
	s_clause 0x1
	global_load_b128 v[0:3], v[4:5], off
	global_load_b128 v[4:7], v[4:5], off offset:1024
	s_waitcnt vmcnt(1)
	v_dual_max_f32 v9, v0, v0 :: v_dual_max_f32 v8, v1, v1
	s_delay_alu instid0(VALU_DEP_1) | instskip(SKIP_1) | instid1(VALU_DEP_2)
	v_max_f32_e32 v8, v9, v8
	v_or_b32_e32 v9, 32, v10
	v_max3_f32 v8, v8, v2, v3
	s_delay_alu instid0(VALU_DEP_2) | instskip(SKIP_1) | instid1(VALU_DEP_2)
	v_cmp_gt_i32_e32 vcc_lo, 64, v9
	s_waitcnt vmcnt(0)
	v_max3_f32 v8, v8, v4, v5
	v_cndmask_b32_e32 v9, v10, v9, vcc_lo
	v_cmp_gt_i32_e32 vcc_lo, 64, v11
	s_delay_alu instid0(VALU_DEP_3) | instskip(SKIP_1) | instid1(VALU_DEP_1)
	v_max3_f32 v8, v8, v6, v7
	v_cndmask_b32_e32 v11, v10, v11, vcc_lo
	v_lshlrev_b32_e32 v19, 2, v11
	v_xor_b32_e32 v11, 8, v10
	s_delay_alu instid0(VALU_DEP_1) | instskip(SKIP_4) | instid1(VALU_DEP_1)
	v_cmp_gt_i32_e32 vcc_lo, 64, v11
	v_dual_cndmask_b32 v11, v10, v11 :: v_dual_lshlrev_b32 v18, 2, v9
	ds_bpermute_b32 v9, v18, v8
	v_lshlrev_b32_e32 v20, 2, v11
	v_xor_b32_e32 v11, 4, v10
	v_cmp_gt_i32_e32 vcc_lo, 64, v11
	v_cndmask_b32_e32 v11, v10, v11, vcc_lo
	s_waitcnt lgkmcnt(0)
	v_max_f32_e32 v9, v9, v9
	s_delay_alu instid0(VALU_DEP_2) | instskip(SKIP_1) | instid1(VALU_DEP_3)
	v_lshlrev_b32_e32 v21, 2, v11
	v_xor_b32_e32 v11, 2, v10
	v_max_f32_e32 v8, v8, v9
	s_delay_alu instid0(VALU_DEP_2) | instskip(SKIP_2) | instid1(VALU_DEP_1)
	v_cmp_gt_i32_e32 vcc_lo, 64, v11
	ds_bpermute_b32 v9, v19, v8
	v_cndmask_b32_e32 v11, v10, v11, vcc_lo
	v_lshlrev_b32_e32 v22, 2, v11
	v_xor_b32_e32 v11, 1, v10
	s_delay_alu instid0(VALU_DEP_1) | instskip(SKIP_2) | instid1(VALU_DEP_1)
	v_cmp_gt_i32_e32 vcc_lo, 64, v11
	s_waitcnt lgkmcnt(0)
	v_dual_cndmask_b32 v10, v10, v11 :: v_dual_max_f32 v9, v9, v9
	v_dual_max_f32 v8, v8, v9 :: v_dual_lshlrev_b32 v23, 2, v10
	ds_bpermute_b32 v9, v20, v8
	s_waitcnt lgkmcnt(0)
	v_max_f32_e32 v9, v9, v9
	s_delay_alu instid0(VALU_DEP_1) | instskip(SKIP_3) | instid1(VALU_DEP_1)
	v_max_f32_e32 v8, v8, v9
	ds_bpermute_b32 v9, v21, v8
	s_waitcnt lgkmcnt(0)
	v_max_f32_e32 v9, v9, v9
	v_max_f32_e32 v8, v8, v9
	ds_bpermute_b32 v9, v22, v8
	s_waitcnt lgkmcnt(0)
	v_max_f32_e32 v9, v9, v9
	s_delay_alu instid0(VALU_DEP_1) | instskip(SKIP_3) | instid1(VALU_DEP_1)
	v_max_f32_e32 v8, v8, v9
	ds_bpermute_b32 v9, v23, v8
	s_waitcnt lgkmcnt(0)
	v_max_f32_e32 v9, v9, v9
	v_max_f32_e32 v8, v8, v9
	s_delay_alu instid0(VALU_DEP_1) | instskip(NEXT) | instid1(VALU_DEP_1)
	v_sub_f32_e32 v3, v3, v8
	v_dual_mul_f32 v11, 0x3fb8aa3b, v3 :: v_dual_sub_f32 v2, v2, v8
	v_sub_f32_e32 v1, v1, v8
	v_sub_f32_e32 v0, v0, v8
	;; [unrolled: 1-line block ×3, first 2 shown]
	s_delay_alu instid0(VALU_DEP_4) | instskip(NEXT) | instid1(VALU_DEP_4)
	v_dual_sub_f32 v5, v5, v8 :: v_dual_mul_f32 v10, 0x3fb8aa3b, v2
	v_dual_sub_f32 v6, v6, v8 :: v_dual_mul_f32 v9, 0x3fb8aa3b, v1
	v_rndne_f32_e32 v31, v11
	v_cmp_ngt_f32_e32 vcc_lo, 0xc2ce8ed0, v0
	s_delay_alu instid0(VALU_DEP_4) | instskip(NEXT) | instid1(VALU_DEP_4)
	v_fma_f32 v28, 0x3fb8aa3b, v2, -v10
	v_mul_f32_e32 v14, 0x3fb8aa3b, v6
	v_fma_f32 v26, 0x3fb8aa3b, v1, -v9
	v_sub_f32_e32 v7, v7, v8
	v_mul_f32_e32 v8, 0x3fb8aa3b, v0
	v_rndne_f32_e32 v27, v9
	v_rndne_f32_e32 v29, v10
	v_fma_f32 v30, 0x3fb8aa3b, v3, -v11
	v_fmac_f32_e32 v26, 0x32a5705f, v1
	v_fma_f32 v24, 0x3fb8aa3b, v0, -v8
	v_rndne_f32_e32 v25, v8
	v_dual_sub_f32 v9, v9, v27 :: v_dual_fmac_f32 v28, 0x32a5705f, v2
	s_delay_alu instid0(VALU_DEP_3) | instskip(NEXT) | instid1(VALU_DEP_3)
	v_dual_sub_f32 v11, v11, v31 :: v_dual_fmac_f32 v24, 0x32a5705f, v0
	v_sub_f32_e32 v8, v8, v25
	v_mul_f32_e32 v13, 0x3fb8aa3b, v5
	s_delay_alu instid0(VALU_DEP_4) | instskip(SKIP_1) | instid1(VALU_DEP_4)
	v_dual_fmac_f32 v30, 0x32a5705f, v3 :: v_dual_add_f32 v9, v9, v26
	v_cvt_i32_f32_e32 v25, v25
	v_add_f32_e32 v8, v8, v24
	s_delay_alu instid0(VALU_DEP_4) | instskip(SKIP_4) | instid1(VALU_DEP_2)
	v_rndne_f32_e32 v35, v13
	v_sub_f32_e32 v10, v10, v29
	v_fma_f32 v34, 0x3fb8aa3b, v5, -v13
	v_exp_f32_e32 v9, v9
	v_exp_f32_e32 v8, v8
	v_dual_sub_f32 v13, v13, v35 :: v_dual_add_f32 v10, v10, v28
	v_cvt_i32_f32_e32 v27, v27
	v_dual_mul_f32 v12, 0x3fb8aa3b, v4 :: v_dual_mul_f32 v15, 0x3fb8aa3b, v7
	v_fma_f32 v36, 0x3fb8aa3b, v6, -v14
	s_delay_alu instid0(VALU_DEP_4) | instskip(SKIP_1) | instid1(TRANS32_DEP_3)
	v_exp_f32_e32 v10, v10
	v_cvt_i32_f32_e32 v29, v29
	v_ldexp_f32 v9, v9, v27
	s_delay_alu instid0(TRANS32_DEP_2)
	v_ldexp_f32 v8, v8, v25
	v_rndne_f32_e32 v33, v12
	v_fma_f32 v32, 0x3fb8aa3b, v4, -v12
	v_add_f32_e32 v11, v11, v30
	v_fma_f32 v38, 0x3fb8aa3b, v7, -v15
	v_cndmask_b32_e32 v8, 0, v8, vcc_lo
	v_cmp_ngt_f32_e32 vcc_lo, 0xc2ce8ed0, v1
	v_fmac_f32_e32 v36, 0x32a5705f, v6
	v_ldexp_f32 v10, v10, v29
	v_sub_f32_e32 v12, v12, v33
	v_rndne_f32_e32 v39, v15
	v_cndmask_b32_e32 v9, 0, v9, vcc_lo
	v_cmp_ngt_f32_e32 vcc_lo, 0xc2ce8ed0, v2
	v_fmac_f32_e32 v32, 0x32a5705f, v4
	v_exp_f32_e32 v11, v11
	v_sub_f32_e32 v15, v15, v39
	v_cvt_i32_f32_e32 v31, v31
	v_cndmask_b32_e32 v10, 0, v10, vcc_lo
	v_cmp_nlt_f32_e32 vcc_lo, 0x42b17218, v0
	v_add_f32_e32 v12, v12, v32
	v_rndne_f32_e32 v37, v14
	v_cvt_i32_f32_e32 v33, v33
	v_cvt_i32_f32_e32 v26, v39
	v_cndmask_b32_e32 v0, 0x7f800000, v8, vcc_lo
	v_cmp_nlt_f32_e32 vcc_lo, 0x42b17218, v1
	v_exp_f32_e32 v12, v12
	v_ldexp_f32 v11, v11, v31
	v_cvt_i32_f32_e32 v35, v35
	v_cvt_i32_f32_e32 v24, v37
	v_cndmask_b32_e32 v1, 0x7f800000, v9, vcc_lo
	v_fmac_f32_e32 v38, 0x32a5705f, v7
	v_cmp_ngt_f32_e32 vcc_lo, 0xc2ce8ed0, v3
	s_delay_alu instid0(VALU_DEP_3) | instskip(NEXT) | instid1(VALU_DEP_3)
	v_add_f32_e32 v9, v0, v1
	v_dual_fmac_f32 v34, 0x32a5705f, v5 :: v_dual_add_f32 v15, v15, v38
	v_sub_f32_e32 v14, v14, v37
	v_cndmask_b32_e32 v8, 0, v11, vcc_lo
	v_cmp_nlt_f32_e32 vcc_lo, 0x42b17218, v2
	s_delay_alu instid0(VALU_DEP_4) | instskip(SKIP_3) | instid1(VALU_DEP_3)
	v_add_f32_e32 v13, v13, v34
	v_exp_f32_e32 v15, v15
	v_ldexp_f32 v12, v12, v33
	v_cndmask_b32_e32 v2, 0x7f800000, v10, vcc_lo
	v_exp_f32_e32 v13, v13
	v_cmp_ngt_f32_e32 vcc_lo, 0xc2ce8ed0, v4
	s_waitcnt_depctr 0xfff
	v_ldexp_f32 v15, v15, v26
	v_add_f32_e32 v14, v14, v36
	v_cndmask_b32_e32 v10, 0, v12, vcc_lo
	v_cmp_nlt_f32_e32 vcc_lo, 0x42b17218, v3
	v_ldexp_f32 v13, v13, v35
	s_delay_alu instid0(VALU_DEP_4) | instskip(SKIP_2) | instid1(VALU_DEP_3)
	v_exp_f32_e32 v14, v14
	v_dual_cndmask_b32 v3, 0x7f800000, v8 :: v_dual_add_f32 v8, v9, v2
	v_cmp_ngt_f32_e32 vcc_lo, 0xc2ce8ed0, v5
	v_cndmask_b32_e32 v9, 0, v13, vcc_lo
	v_cmp_nlt_f32_e32 vcc_lo, 0x42b17218, v4
	s_waitcnt_depctr 0xfff
	v_ldexp_f32 v14, v14, v24
	v_lshlrev_b32_e32 v24, 2, v17
	v_cndmask_b32_e32 v4, 0x7f800000, v10, vcc_lo
	v_cmp_ngt_f32_e32 vcc_lo, 0xc2ce8ed0, v6
	s_delay_alu instid0(VALU_DEP_4)
	v_cndmask_b32_e32 v10, 0, v14, vcc_lo
	v_cmp_nlt_f32_e32 vcc_lo, 0x42b17218, v5
	v_cndmask_b32_e32 v5, 0x7f800000, v9, vcc_lo
	v_cmp_ngt_f32_e32 vcc_lo, 0xc2ce8ed0, v7
	v_cndmask_b32_e32 v9, 0, v15, vcc_lo
	v_cmp_nlt_f32_e32 vcc_lo, 0x42b17218, v6
	v_cndmask_b32_e32 v6, 0x7f800000, v10, vcc_lo
	v_cmp_nlt_f32_e32 vcc_lo, 0x42b17218, v7
	s_delay_alu instid0(VALU_DEP_4) | instskip(NEXT) | instid1(VALU_DEP_1)
	v_dual_add_f32 v8, v8, v3 :: v_dual_cndmask_b32 v7, 0x7f800000, v9
	v_add_f32_e32 v8, v8, v4
	s_delay_alu instid0(VALU_DEP_1) | instskip(NEXT) | instid1(VALU_DEP_1)
	v_add_f32_e32 v8, v8, v5
	v_add_f32_e32 v8, v8, v6
	s_delay_alu instid0(VALU_DEP_1)
	v_add_f32_e32 v8, v8, v7
	ds_bpermute_b32 v9, v18, v8
	s_waitcnt lgkmcnt(0)
	v_add_f32_e32 v8, v8, v9
	ds_bpermute_b32 v9, v19, v8
	s_waitcnt lgkmcnt(0)
	;; [unrolled: 3-line block ×6, first 2 shown]
	v_add_f32_e32 v8, v8, v9
	s_delay_alu instid0(VALU_DEP_1) | instskip(SKIP_1) | instid1(VALU_DEP_2)
	v_div_scale_f32 v9, null, v8, v8, 1.0
	v_div_scale_f32 v12, vcc_lo, 1.0, v8, 1.0
	v_rcp_f32_e32 v10, v9
	s_waitcnt_depctr 0xfff
	v_fma_f32 v11, -v9, v10, 1.0
	s_delay_alu instid0(VALU_DEP_1) | instskip(NEXT) | instid1(VALU_DEP_1)
	v_fmac_f32_e32 v10, v11, v10
	v_mul_f32_e32 v11, v12, v10
	s_delay_alu instid0(VALU_DEP_1) | instskip(NEXT) | instid1(VALU_DEP_1)
	v_fma_f32 v13, -v9, v11, v12
	v_fmac_f32_e32 v11, v13, v10
	s_delay_alu instid0(VALU_DEP_1) | instskip(NEXT) | instid1(VALU_DEP_1)
	v_fma_f32 v9, -v9, v11, v12
	v_div_fmas_f32 v9, v9, v10, v11
	s_delay_alu instid0(VALU_DEP_1) | instskip(NEXT) | instid1(VALU_DEP_1)
	v_div_fixup_f32 v8, v9, v8, 1.0
	v_mul_f32_e32 v0, v8, v0
	v_mul_f32_e32 v1, v8, v1
	;; [unrolled: 1-line block ×5, first 2 shown]
	v_cmp_class_f32_e64 vcc_lo, v0, 0x1f8
	v_mul_f32_e32 v4, v8, v4
	v_mul_f32_e32 v5, v8, v5
	;; [unrolled: 1-line block ×3, first 2 shown]
	v_cndmask_b32_e32 v0, 0, v0, vcc_lo
	v_cmp_class_f32_e64 vcc_lo, v1, 0x1f8
	v_cndmask_b32_e32 v1, 0, v1, vcc_lo
	v_cmp_class_f32_e64 vcc_lo, v2, 0x1f8
	;; [unrolled: 2-line block ×7, first 2 shown]
	v_cndmask_b32_e32 v7, 0, v7, vcc_lo
	s_cbranch_scc1 .LBB63_39
; %bb.4:
	v_lshlrev_b32_e32 v12, 2, v24
	s_clause 0x1
	global_load_b128 v[8:11], v12, s[2:3]
	global_load_b128 v[12:15], v12, s[2:3] offset:1024
	s_waitcnt vmcnt(1)
	v_dual_add_f32 v9, v9, v1 :: v_dual_add_f32 v8, v8, v0
	v_dual_add_f32 v11, v11, v3 :: v_dual_add_f32 v10, v10, v2
	s_waitcnt vmcnt(0)
	v_dual_add_f32 v13, v13, v5 :: v_dual_add_f32 v12, v12, v4
	v_dual_add_f32 v15, v15, v7 :: v_dual_add_f32 v14, v14, v6
	s_cbranch_execnz .LBB63_6
.LBB63_5:
	v_dual_mov_b32 v15, v7 :: v_dual_mov_b32 v14, v6
	v_dual_mov_b32 v13, v5 :: v_dual_mov_b32 v12, v4
	;; [unrolled: 1-line block ×4, first 2 shown]
.LBB63_6:
	s_load_b128 s[4:7], s[0:1], 0x30
	v_cmp_eq_u32_e64 s2, 0, v17
	s_waitcnt lgkmcnt(0)
	s_bitcmp1_b32 s7, 0
	s_mov_b32 s7, 0
	s_cselect_b32 vcc_lo, -1, 0
	s_cmp_gt_i32 s4, 0
	s_cselect_b32 s3, -1, 0
	s_cmp_lt_i32 s4, 1
	s_cbranch_scc1 .LBB63_40
; %bb.7:
	s_load_b128 s[8:11], s[0:1], 0x20
	v_mul_lo_u32 v26, v16, s4
	v_mov_b32_e32 v25, 0
	v_mov_b32_e32 v27, v16
	s_branch .LBB63_10
.LBB63_8:                               ;   in Loop: Header=BB63_10 Depth=1
	s_or_b32 exec_lo, exec_lo, s1
.LBB63_9:                               ;   in Loop: Header=BB63_10 Depth=1
	v_add_nc_u32_e32 v27, s14, v27
	s_cmp_eq_u32 s4, s7
	s_cbranch_scc1 .LBB63_41
.LBB63_10:                              ; =>This Inner Loop Header: Depth=1
	v_cmp_gt_f32_e64 s0, v9, v8
	s_mov_b32 s17, exec_lo
	s_delay_alu instid0(VALU_DEP_1) | instskip(SKIP_2) | instid1(VALU_DEP_3)
	v_cndmask_b32_e64 v28, v8, v9, s0
	v_cndmask_b32_e64 v29, 0, 1, s0
	v_cndmask_b32_e64 v30, v0, v1, s0
	v_cmp_gt_f32_e64 s1, v10, v28
	s_delay_alu instid0(VALU_DEP_1) | instskip(NEXT) | instid1(VALU_DEP_4)
	v_cndmask_b32_e64 v28, v28, v10, s1
	v_cndmask_b32_e64 v29, v29, 2, s1
	s_delay_alu instid0(VALU_DEP_4) | instskip(NEXT) | instid1(VALU_DEP_3)
	v_cndmask_b32_e64 v30, v30, v2, s1
	v_cmp_gt_f32_e64 s0, v11, v28
	s_delay_alu instid0(VALU_DEP_1) | instskip(NEXT) | instid1(VALU_DEP_4)
	v_cndmask_b32_e64 v28, v28, v11, s0
	v_cndmask_b32_e64 v29, v29, 3, s0
	s_delay_alu instid0(VALU_DEP_4) | instskip(NEXT) | instid1(VALU_DEP_3)
	v_cndmask_b32_e64 v30, v30, v3, s0
	;; [unrolled: 6-line block ×4, first 2 shown]
	v_cmp_gt_f32_e64 s1, v14, v28
	s_delay_alu instid0(VALU_DEP_1) | instskip(NEXT) | instid1(VALU_DEP_4)
	v_cndmask_b32_e64 v28, v28, v14, s1
	v_cndmask_b32_e64 v29, v29, 0x102, s1
	s_waitcnt lgkmcnt(0)
	v_cndmask_b32_e64 v31, v30, v6, s1
	s_delay_alu instid0(VALU_DEP_3) | instskip(NEXT) | instid1(VALU_DEP_1)
	v_cmp_gt_f32_e64 s0, v15, v28
	v_cndmask_b32_e64 v30, v28, v15, s0
	v_cndmask_b32_e64 v28, v29, 0x103, s0
	s_delay_alu instid0(VALU_DEP_4)
	v_cndmask_b32_e64 v29, v31, v7, s0
	ds_bpermute_b32 v31, v18, v30
	v_or_b32_e32 v28, v24, v28
	ds_bpermute_b32 v33, v18, v29
	ds_bpermute_b32 v32, v18, v28
	s_waitcnt lgkmcnt(0)
	v_cmp_lt_f32_e64 s16, v30, v31
	v_cmpx_nlt_f32_e32 v30, v31
; %bb.11:                               ;   in Loop: Header=BB63_10 Depth=1
	v_cmp_eq_f32_e64 s0, v30, v31
	v_cmp_lt_i32_e64 s1, v32, v28
	s_delay_alu instid0(VALU_DEP_1) | instskip(SKIP_2) | instid1(SALU_CYCLE_1)
	s_and_b32 s0, s0, s1
	s_and_not1_b32 s1, s16, exec_lo
	s_and_b32 s0, s0, exec_lo
	s_or_b32 s16, s1, s0
; %bb.12:                               ;   in Loop: Header=BB63_10 Depth=1
	s_or_b32 exec_lo, exec_lo, s17
	s_and_saveexec_b32 s0, s16
; %bb.13:                               ;   in Loop: Header=BB63_10 Depth=1
	v_dual_mov_b32 v29, v33 :: v_dual_mov_b32 v30, v31
	v_mov_b32_e32 v28, v32
; %bb.14:                               ;   in Loop: Header=BB63_10 Depth=1
	s_or_b32 exec_lo, exec_lo, s0
	ds_bpermute_b32 v32, v19, v30
	ds_bpermute_b32 v33, v19, v29
	;; [unrolled: 1-line block ×3, first 2 shown]
	s_mov_b32 s17, exec_lo
	s_waitcnt lgkmcnt(2)
	v_cmp_lt_f32_e64 s16, v30, v32
	v_cmpx_nlt_f32_e32 v30, v32
	s_cbranch_execz .LBB63_16
; %bb.15:                               ;   in Loop: Header=BB63_10 Depth=1
	v_cmp_eq_f32_e64 s0, v30, v32
	s_waitcnt lgkmcnt(0)
	v_cmp_lt_i32_e64 s1, v31, v28
	s_delay_alu instid0(VALU_DEP_1) | instskip(SKIP_2) | instid1(SALU_CYCLE_1)
	s_and_b32 s0, s0, s1
	s_and_not1_b32 s1, s16, exec_lo
	s_and_b32 s0, s0, exec_lo
	s_or_b32 s16, s1, s0
.LBB63_16:                              ;   in Loop: Header=BB63_10 Depth=1
	s_or_b32 exec_lo, exec_lo, s17
	s_delay_alu instid0(VALU_DEP_2)
	s_and_saveexec_b32 s0, s16
	s_cbranch_execz .LBB63_18
; %bb.17:                               ;   in Loop: Header=BB63_10 Depth=1
	s_waitcnt lgkmcnt(1)
	v_dual_mov_b32 v29, v33 :: v_dual_mov_b32 v30, v32
	s_waitcnt lgkmcnt(0)
	v_mov_b32_e32 v28, v31
.LBB63_18:                              ;   in Loop: Header=BB63_10 Depth=1
	s_or_b32 exec_lo, exec_lo, s0
	ds_bpermute_b32 v32, v20, v30
	s_waitcnt lgkmcnt(2)
	ds_bpermute_b32 v33, v20, v29
	s_waitcnt lgkmcnt(2)
	ds_bpermute_b32 v31, v20, v28
	s_mov_b32 s17, exec_lo
	s_waitcnt lgkmcnt(2)
	v_cmp_lt_f32_e64 s16, v30, v32
	v_cmpx_nlt_f32_e32 v30, v32
	s_cbranch_execz .LBB63_20
; %bb.19:                               ;   in Loop: Header=BB63_10 Depth=1
	v_cmp_eq_f32_e64 s0, v30, v32
	s_waitcnt lgkmcnt(0)
	v_cmp_lt_i32_e64 s1, v31, v28
	s_delay_alu instid0(VALU_DEP_1) | instskip(SKIP_2) | instid1(SALU_CYCLE_1)
	s_and_b32 s0, s0, s1
	s_and_not1_b32 s1, s16, exec_lo
	s_and_b32 s0, s0, exec_lo
	s_or_b32 s16, s1, s0
.LBB63_20:                              ;   in Loop: Header=BB63_10 Depth=1
	s_or_b32 exec_lo, exec_lo, s17
	s_delay_alu instid0(VALU_DEP_2)
	s_and_saveexec_b32 s0, s16
	s_cbranch_execz .LBB63_22
; %bb.21:                               ;   in Loop: Header=BB63_10 Depth=1
	s_waitcnt lgkmcnt(1)
	v_dual_mov_b32 v29, v33 :: v_dual_mov_b32 v30, v32
	s_waitcnt lgkmcnt(0)
	v_mov_b32_e32 v28, v31
.LBB63_22:                              ;   in Loop: Header=BB63_10 Depth=1
	s_or_b32 exec_lo, exec_lo, s0
	ds_bpermute_b32 v32, v21, v30
	s_waitcnt lgkmcnt(2)
	ds_bpermute_b32 v33, v21, v29
	s_waitcnt lgkmcnt(2)
	ds_bpermute_b32 v31, v21, v28
	;; [unrolled: 31-line block ×3, first 2 shown]
	s_mov_b32 s17, exec_lo
	s_waitcnt lgkmcnt(2)
	v_cmp_lt_f32_e64 s16, v30, v32
	v_cmpx_nlt_f32_e32 v30, v32
	s_cbranch_execz .LBB63_28
; %bb.27:                               ;   in Loop: Header=BB63_10 Depth=1
	v_cmp_eq_f32_e64 s0, v30, v32
	s_waitcnt lgkmcnt(0)
	v_cmp_lt_i32_e64 s1, v31, v28
	s_delay_alu instid0(VALU_DEP_1) | instskip(SKIP_2) | instid1(SALU_CYCLE_1)
	s_and_b32 s0, s0, s1
	s_and_not1_b32 s1, s16, exec_lo
	s_and_b32 s0, s0, exec_lo
	s_or_b32 s16, s1, s0
.LBB63_28:                              ;   in Loop: Header=BB63_10 Depth=1
	s_or_b32 exec_lo, exec_lo, s17
	s_delay_alu instid0(VALU_DEP_2)
	s_and_saveexec_b32 s0, s16
	s_cbranch_execz .LBB63_30
; %bb.29:                               ;   in Loop: Header=BB63_10 Depth=1
	s_waitcnt lgkmcnt(1)
	v_dual_mov_b32 v29, v33 :: v_dual_mov_b32 v30, v32
	s_waitcnt lgkmcnt(0)
	v_mov_b32_e32 v28, v31
.LBB63_30:                              ;   in Loop: Header=BB63_10 Depth=1
	s_or_b32 exec_lo, exec_lo, s0
	s_waitcnt lgkmcnt(1)
	ds_bpermute_b32 v33, v23, v30
	ds_bpermute_b32 v32, v23, v29
	s_waitcnt lgkmcnt(2)
	ds_bpermute_b32 v31, v23, v28
	s_mov_b32 s17, exec_lo
	s_waitcnt lgkmcnt(2)
	v_cmp_lt_f32_e64 s16, v30, v33
	v_cmpx_nlt_f32_e32 v30, v33
	s_cbranch_execnz .LBB63_34
; %bb.31:                               ;   in Loop: Header=BB63_10 Depth=1
	s_or_b32 exec_lo, exec_lo, s17
	s_delay_alu instid0(VALU_DEP_2)
	s_and_saveexec_b32 s0, s16
	s_cbranch_execnz .LBB63_35
.LBB63_32:                              ;   in Loop: Header=BB63_10 Depth=1
	s_or_b32 exec_lo, exec_lo, s0
	s_and_saveexec_b32 s16, s2
	s_cbranch_execnz .LBB63_36
.LBB63_33:                              ;   in Loop: Header=BB63_10 Depth=1
	s_or_b32 exec_lo, exec_lo, s16
	s_add_i32 s7, s7, 1
	s_delay_alu instid0(SALU_CYCLE_1)
	s_cmp_ge_i32 s7, s4
	s_cbranch_scc1 .LBB63_9
	s_branch .LBB63_37
.LBB63_34:                              ;   in Loop: Header=BB63_10 Depth=1
	v_cmp_eq_f32_e64 s0, v30, v33
	s_waitcnt lgkmcnt(0)
	v_cmp_lt_i32_e64 s1, v31, v28
	s_delay_alu instid0(VALU_DEP_1) | instskip(SKIP_2) | instid1(SALU_CYCLE_1)
	s_and_b32 s0, s0, s1
	s_and_not1_b32 s1, s16, exec_lo
	s_and_b32 s0, s0, exec_lo
	s_or_b32 s16, s1, s0
	s_or_b32 exec_lo, exec_lo, s17
	s_and_saveexec_b32 s0, s16
	s_cbranch_execz .LBB63_32
.LBB63_35:                              ;   in Loop: Header=BB63_10 Depth=1
	s_waitcnt lgkmcnt(0)
	v_dual_mov_b32 v29, v32 :: v_dual_mov_b32 v28, v31
	s_or_b32 exec_lo, exec_lo, s0
	s_and_saveexec_b32 s16, s2
	s_cbranch_execz .LBB63_33
.LBB63_36:                              ;   in Loop: Header=BB63_10 Depth=1
	v_add_nc_u32_e32 v30, s7, v26
	v_subrev_nc_u32_e32 v34, s5, v28
	v_cmp_le_i32_e64 s0, s5, v28
	v_cmp_gt_i32_e64 s1, s6, v28
	v_add_f32_e32 v38, v25, v29
	s_waitcnt lgkmcnt(0)
	v_ashrrev_i32_e32 v31, 31, v30
	v_ashrrev_i32_e32 v35, 31, v34
	s_and_b32 s0, s0, s1
	v_cndmask_b32_e32 v25, v25, v38, vcc_lo
	s_delay_alu instid0(VALU_DEP_3) | instskip(SKIP_2) | instid1(SALU_CYCLE_1)
	v_lshlrev_b64 v[32:33], 2, v[30:31]
	v_lshlrev_b64 v[30:31], 3, v[30:31]
	s_and_b32 s0, s15, s0
	v_cndmask_b32_e64 v35, 0, v35, s0
	v_cndmask_b32_e64 v34, 0x200, v34, s0
	s_delay_alu instid0(VALU_DEP_4) | instskip(NEXT) | instid1(VALU_DEP_1)
	v_add_co_u32 v36, s0, s12, v32
	v_add_co_ci_u32_e64 v37, s0, s13, v33, s0
	v_add_co_u32 v30, s0, s8, v30
	s_delay_alu instid0(VALU_DEP_1) | instskip(SKIP_1) | instid1(VALU_DEP_1)
	v_add_co_ci_u32_e64 v31, s0, s9, v31, s0
	v_add_co_u32 v32, s0, s10, v32
	v_add_co_ci_u32_e64 v33, s0, s11, v33, s0
	global_store_b32 v[36:37], v29, off
	global_store_b64 v[30:31], v[34:35], off
	global_store_b32 v[32:33], v27, off
	s_or_b32 exec_lo, exec_lo, s16
	s_add_i32 s7, s7, 1
	s_delay_alu instid0(SALU_CYCLE_1)
	s_cmp_ge_i32 s7, s4
	s_cbranch_scc1 .LBB63_9
.LBB63_37:                              ;   in Loop: Header=BB63_10 Depth=1
	v_ashrrev_i32_e32 v29, 31, v28
	s_mov_b32 s1, exec_lo
	s_delay_alu instid0(VALU_DEP_1) | instskip(NEXT) | instid1(VALU_DEP_1)
	v_lshrrev_b32_e32 v30, 30, v29
	v_add_nc_u32_e32 v30, v28, v30
	s_waitcnt lgkmcnt(0)
	s_delay_alu instid0(VALU_DEP_1) | instskip(SKIP_1) | instid1(VALU_DEP_2)
	v_ashrrev_i32_e32 v31, 31, v30
	v_ashrrev_i32_e32 v30, 2, v30
	v_lshrrev_b32_e32 v31, 26, v31
	s_delay_alu instid0(VALU_DEP_1) | instskip(NEXT) | instid1(VALU_DEP_1)
	v_add_nc_u32_e32 v31, v30, v31
	v_and_b32_e32 v31, 0xffffffc0, v31
	s_delay_alu instid0(VALU_DEP_1) | instskip(NEXT) | instid1(VALU_DEP_1)
	v_sub_nc_u32_e32 v31, v30, v31
	v_cmpx_eq_u32_e64 v17, v31
	s_cbranch_execz .LBB63_8
; %bb.38:                               ;   in Loop: Header=BB63_10 Depth=1
	v_lshrrev_b32_e32 v29, 24, v29
	v_lshlrev_b32_e32 v30, 2, v30
	s_delay_alu instid0(VALU_DEP_2) | instskip(NEXT) | instid1(VALU_DEP_2)
	v_add_nc_u32_e32 v29, v28, v29
	v_sub_nc_u32_e32 v28, v28, v30
	s_delay_alu instid0(VALU_DEP_2) | instskip(NEXT) | instid1(VALU_DEP_1)
	v_ashrrev_i32_e32 v29, 8, v29
	v_lshl_add_u32 v28, v29, 2, v28
	s_delay_alu instid0(VALU_DEP_1) | instskip(NEXT) | instid1(VALU_DEP_1)
	v_cmp_ne_u32_e64 s0, 7, v28
	v_cndmask_b32_e64 v15, 0xc61c4000, v15, s0
	v_cmp_ne_u32_e64 s0, 6, v28
	s_delay_alu instid0(VALU_DEP_1) | instskip(SKIP_1) | instid1(VALU_DEP_1)
	v_cndmask_b32_e64 v14, 0xc61c4000, v14, s0
	v_cmp_ne_u32_e64 s0, 5, v28
	v_cndmask_b32_e64 v13, 0xc61c4000, v13, s0
	v_cmp_ne_u32_e64 s0, 4, v28
	s_delay_alu instid0(VALU_DEP_1) | instskip(SKIP_1) | instid1(VALU_DEP_1)
	v_cndmask_b32_e64 v12, 0xc61c4000, v12, s0
	;; [unrolled: 5-line block ×3, first 2 shown]
	v_cmp_ne_u32_e64 s0, 1, v28
	v_cndmask_b32_e64 v9, 0xc61c4000, v9, s0
	v_cmp_ne_u32_e64 s0, 0, v28
	s_delay_alu instid0(VALU_DEP_1)
	v_cndmask_b32_e64 v8, 0xc61c4000, v8, s0
	s_branch .LBB63_8
.LBB63_39:
                                        ; implicit-def: $vgpr8_vgpr9_vgpr10_vgpr11_vgpr12_vgpr13_vgpr14_vgpr15
	s_and_not1_b32 vcc_lo, exec_lo, s8
	s_cbranch_vccz .LBB63_5
	s_branch .LBB63_6
.LBB63_40:
	v_mov_b32_e32 v25, 0
.LBB63_41:
	v_cmp_eq_u32_e64 s0, 0, v17
	s_delay_alu instid0(VALU_DEP_1) | instskip(NEXT) | instid1(SALU_CYCLE_1)
	s_and_b32 s0, s0, vcc_lo
	s_and_b32 exec_lo, exec_lo, s0
	s_cbranch_execz .LBB63_45
; %bb.42:
	s_and_not1_b32 vcc_lo, exec_lo, s3
	s_cbranch_vccnz .LBB63_45
; %bb.43:
	v_mul_lo_u32 v0, v16, s4
	v_cmp_lt_f32_e32 vcc_lo, 0, v25
	v_cndmask_b32_e32 v2, 1.0, v25, vcc_lo
	s_delay_alu instid0(VALU_DEP_3) | instskip(NEXT) | instid1(VALU_DEP_1)
	v_ashrrev_i32_e32 v1, 31, v0
	v_lshlrev_b64 v[0:1], 2, v[0:1]
	s_delay_alu instid0(VALU_DEP_1) | instskip(NEXT) | instid1(VALU_DEP_2)
	v_add_co_u32 v0, vcc_lo, s12, v0
	v_add_co_ci_u32_e32 v1, vcc_lo, s13, v1, vcc_lo
	.p2align	6
.LBB63_44:                              ; =>This Inner Loop Header: Depth=1
	global_load_b32 v3, v[0:1], off
	s_add_i32 s4, s4, -1
	s_delay_alu instid0(SALU_CYCLE_1) | instskip(SKIP_3) | instid1(VALU_DEP_2)
	s_cmp_lg_u32 s4, 0
	s_waitcnt vmcnt(0)
	v_div_scale_f32 v4, null, v2, v2, v3
	v_div_scale_f32 v7, vcc_lo, v3, v2, v3
	v_rcp_f32_e32 v5, v4
	s_waitcnt_depctr 0xfff
	v_fma_f32 v6, -v4, v5, 1.0
	s_delay_alu instid0(VALU_DEP_1) | instskip(NEXT) | instid1(VALU_DEP_1)
	v_fmac_f32_e32 v5, v6, v5
	v_mul_f32_e32 v6, v7, v5
	s_delay_alu instid0(VALU_DEP_1) | instskip(NEXT) | instid1(VALU_DEP_1)
	v_fma_f32 v8, -v4, v6, v7
	v_fmac_f32_e32 v6, v8, v5
	s_delay_alu instid0(VALU_DEP_1) | instskip(NEXT) | instid1(VALU_DEP_1)
	v_fma_f32 v4, -v4, v6, v7
	v_div_fmas_f32 v4, v4, v5, v6
	s_delay_alu instid0(VALU_DEP_1)
	v_div_fixup_f32 v3, v4, v2, v3
	global_store_b32 v[0:1], v3, off
	v_add_co_u32 v0, vcc_lo, v0, 4
	v_add_co_ci_u32_e32 v1, vcc_lo, 0, v1, vcc_lo
	s_cbranch_scc1 .LBB63_44
.LBB63_45:
	s_nop 0
	s_sendmsg sendmsg(MSG_DEALLOC_VGPRS)
	s_endpgm
	.section	.rodata,"a",@progbits
	.p2align	6, 0x0
	.amdhsa_kernel _ZN4vllm3moe10topkGatingILi8ELi512ELi4ELi16ELi64ElfLNS0_11ScoringFuncE0EEEvPKT5_PKbPfiPT4_PiiiibPKf
		.amdhsa_group_segment_fixed_size 0
		.amdhsa_private_segment_fixed_size 0
		.amdhsa_kernarg_size 72
		.amdhsa_user_sgpr_count 15
		.amdhsa_user_sgpr_dispatch_ptr 0
		.amdhsa_user_sgpr_queue_ptr 0
		.amdhsa_user_sgpr_kernarg_segment_ptr 1
		.amdhsa_user_sgpr_dispatch_id 0
		.amdhsa_user_sgpr_private_segment_size 0
		.amdhsa_wavefront_size32 1
		.amdhsa_uses_dynamic_stack 0
		.amdhsa_enable_private_segment 0
		.amdhsa_system_sgpr_workgroup_id_x 1
		.amdhsa_system_sgpr_workgroup_id_y 0
		.amdhsa_system_sgpr_workgroup_id_z 0
		.amdhsa_system_sgpr_workgroup_info 0
		.amdhsa_system_vgpr_workitem_id 1
		.amdhsa_next_free_vgpr 40
		.amdhsa_next_free_sgpr 18
		.amdhsa_reserve_vcc 1
		.amdhsa_float_round_mode_32 0
		.amdhsa_float_round_mode_16_64 0
		.amdhsa_float_denorm_mode_32 3
		.amdhsa_float_denorm_mode_16_64 3
		.amdhsa_dx10_clamp 1
		.amdhsa_ieee_mode 1
		.amdhsa_fp16_overflow 0
		.amdhsa_workgroup_processor_mode 1
		.amdhsa_memory_ordered 1
		.amdhsa_forward_progress 0
		.amdhsa_shared_vgpr_count 0
		.amdhsa_exception_fp_ieee_invalid_op 0
		.amdhsa_exception_fp_denorm_src 0
		.amdhsa_exception_fp_ieee_div_zero 0
		.amdhsa_exception_fp_ieee_overflow 0
		.amdhsa_exception_fp_ieee_underflow 0
		.amdhsa_exception_fp_ieee_inexact 0
		.amdhsa_exception_int_div_zero 0
	.end_amdhsa_kernel
	.section	.text._ZN4vllm3moe10topkGatingILi8ELi512ELi4ELi16ELi64ElfLNS0_11ScoringFuncE0EEEvPKT5_PKbPfiPT4_PiiiibPKf,"axG",@progbits,_ZN4vllm3moe10topkGatingILi8ELi512ELi4ELi16ELi64ElfLNS0_11ScoringFuncE0EEEvPKT5_PKbPfiPT4_PiiiibPKf,comdat
.Lfunc_end63:
	.size	_ZN4vllm3moe10topkGatingILi8ELi512ELi4ELi16ELi64ElfLNS0_11ScoringFuncE0EEEvPKT5_PKbPfiPT4_PiiiibPKf, .Lfunc_end63-_ZN4vllm3moe10topkGatingILi8ELi512ELi4ELi16ELi64ElfLNS0_11ScoringFuncE0EEEvPKT5_PKbPfiPT4_PiiiibPKf
                                        ; -- End function
	.section	.AMDGPU.csdata,"",@progbits
; Kernel info:
; codeLenInByte = 3768
; NumSgprs: 20
; NumVgprs: 40
; ScratchSize: 0
; MemoryBound: 0
; FloatMode: 240
; IeeeMode: 1
; LDSByteSize: 0 bytes/workgroup (compile time only)
; SGPRBlocks: 2
; VGPRBlocks: 4
; NumSGPRsForWavesPerEU: 20
; NumVGPRsForWavesPerEU: 40
; Occupancy: 16
; WaveLimiterHint : 1
; COMPUTE_PGM_RSRC2:SCRATCH_EN: 0
; COMPUTE_PGM_RSRC2:USER_SGPR: 15
; COMPUTE_PGM_RSRC2:TRAP_HANDLER: 0
; COMPUTE_PGM_RSRC2:TGID_X_EN: 1
; COMPUTE_PGM_RSRC2:TGID_Y_EN: 0
; COMPUTE_PGM_RSRC2:TGID_Z_EN: 0
; COMPUTE_PGM_RSRC2:TIDIG_COMP_CNT: 1
	.section	.text._ZN4vllm3moe10topkGatingILi16ELi512ELi4ELi16ELi32ElfLNS0_11ScoringFuncE0EEEvPKT5_PKbPfiPT4_PiiiibPKf,"axG",@progbits,_ZN4vllm3moe10topkGatingILi16ELi512ELi4ELi16ELi32ElfLNS0_11ScoringFuncE0EEEvPKT5_PKbPfiPT4_PiiiibPKf,comdat
	.protected	_ZN4vllm3moe10topkGatingILi16ELi512ELi4ELi16ELi32ElfLNS0_11ScoringFuncE0EEEvPKT5_PKbPfiPT4_PiiiibPKf ; -- Begin function _ZN4vllm3moe10topkGatingILi16ELi512ELi4ELi16ELi32ElfLNS0_11ScoringFuncE0EEEvPKT5_PKbPfiPT4_PiiiibPKf
	.globl	_ZN4vllm3moe10topkGatingILi16ELi512ELi4ELi16ELi32ElfLNS0_11ScoringFuncE0EEEvPKT5_PKbPfiPT4_PiiiibPKf
	.p2align	8
	.type	_ZN4vllm3moe10topkGatingILi16ELi512ELi4ELi16ELi32ElfLNS0_11ScoringFuncE0EEEvPKT5_PKbPfiPT4_PiiiibPKf,@function
_ZN4vllm3moe10topkGatingILi16ELi512ELi4ELi16ELi32ElfLNS0_11ScoringFuncE0EEEvPKT5_PKbPfiPT4_PiiiibPKf: ; @_ZN4vllm3moe10topkGatingILi16ELi512ELi4ELi16ELi32ElfLNS0_11ScoringFuncE0EEEvPKT5_PKbPfiPT4_PiiiibPKf
; %bb.0:
	s_load_b32 s14, s[0:1], 0x18
	v_and_b32_e32 v1, 0x3ff, v0
	v_bfe_u32 v0, v0, 10, 10
	s_lshl_b32 s2, s15, 2
	s_delay_alu instid0(VALU_DEP_2) | instskip(NEXT) | instid1(VALU_DEP_1)
	v_lshrrev_b32_e32 v2, 5, v1
	v_add3_u32 v32, s2, v0, v2
	s_mov_b32 s2, exec_lo
	s_waitcnt lgkmcnt(0)
	s_delay_alu instid0(VALU_DEP_1)
	v_cmpx_gt_i32_e64 s14, v32
	s_cbranch_execz .LBB64_41
; %bb.1:
	s_clause 0x1
	s_load_b128 s[4:7], s[0:1], 0x0
	s_load_b64 s[12:13], s[0:1], 0x10
	s_mov_b32 s8, -1
	s_mov_b32 s15, -1
	s_waitcnt lgkmcnt(0)
	s_cmp_eq_u64 s[6:7], 0
	s_cbranch_scc1 .LBB64_3
; %bb.2:
	v_ashrrev_i32_e32 v0, 31, v32
	v_add_co_u32 v2, vcc_lo, s6, v32
	s_delay_alu instid0(VALU_DEP_2) | instskip(SKIP_3) | instid1(VALU_DEP_1)
	v_add_co_ci_u32_e32 v3, vcc_lo, s7, v0, vcc_lo
	global_load_u8 v0, v[2:3], off
	s_waitcnt vmcnt(0)
	v_and_b32_e32 v0, 1, v0
	v_cmp_eq_u32_e32 vcc_lo, 1, v0
	s_xor_b32 s2, vcc_lo, -1
	s_delay_alu instid0(SALU_CYCLE_1)
	s_or_not1_b32 s15, s2, exec_lo
.LBB64_3:
	v_lshlrev_b32_e32 v2, 9, v32
	v_and_b32_e32 v33, 31, v1
	s_load_b64 s[2:3], s[0:1], 0x40
	s_delay_alu instid0(VALU_DEP_2) | instskip(NEXT) | instid1(VALU_DEP_1)
	v_ashrrev_i32_e32 v3, 31, v2
	v_lshlrev_b64 v[0:1], 2, v[2:3]
	s_delay_alu instid0(VALU_DEP_3) | instskip(NEXT) | instid1(VALU_DEP_2)
	v_lshlrev_b32_e32 v2, 4, v33
	v_add_co_u32 v0, vcc_lo, s4, v0
	s_delay_alu instid0(VALU_DEP_3) | instskip(NEXT) | instid1(VALU_DEP_2)
	v_add_co_ci_u32_e32 v1, vcc_lo, s5, v1, vcc_lo
	v_add_co_u32 v12, vcc_lo, v0, v2
	s_delay_alu instid0(VALU_DEP_2)
	v_add_co_ci_u32_e32 v13, vcc_lo, 0, v1, vcc_lo
	s_waitcnt lgkmcnt(0)
	s_cmp_eq_u64 s[2:3], 0
	s_clause 0x3
	global_load_b128 v[0:3], v[12:13], off
	global_load_b128 v[4:7], v[12:13], off offset:512
	global_load_b128 v[8:11], v[12:13], off offset:1024
	;; [unrolled: 1-line block ×3, first 2 shown]
	s_waitcnt vmcnt(3)
	v_dual_max_f32 v17, v0, v0 :: v_dual_max_f32 v16, v1, v1
	s_delay_alu instid0(VALU_DEP_1) | instskip(SKIP_1) | instid1(VALU_DEP_2)
	v_max_f32_e32 v16, v17, v16
	v_mbcnt_lo_u32_b32 v17, -1, 0
	v_max3_f32 v16, v16, v2, v3
	s_delay_alu instid0(VALU_DEP_2) | instskip(SKIP_2) | instid1(VALU_DEP_3)
	v_xor_b32_e32 v18, 16, v17
	v_xor_b32_e32 v19, 8, v17
	s_waitcnt vmcnt(2)
	v_max3_f32 v16, v16, v4, v5
	s_delay_alu instid0(VALU_DEP_3) | instskip(NEXT) | instid1(VALU_DEP_2)
	v_cmp_gt_i32_e32 vcc_lo, 32, v18
	v_max3_f32 v16, v16, v6, v7
	v_cndmask_b32_e32 v18, v17, v18, vcc_lo
	v_cmp_gt_i32_e32 vcc_lo, 32, v19
	s_waitcnt vmcnt(1)
	s_delay_alu instid0(VALU_DEP_3) | instskip(SKIP_1) | instid1(VALU_DEP_2)
	v_max3_f32 v16, v16, v8, v9
	v_cndmask_b32_e32 v19, v17, v19, vcc_lo
	v_max3_f32 v16, v16, v10, v11
	s_delay_alu instid0(VALU_DEP_2) | instskip(SKIP_2) | instid1(VALU_DEP_3)
	v_lshlrev_b32_e32 v35, 2, v19
	v_xor_b32_e32 v19, 4, v17
	s_waitcnt vmcnt(0)
	v_max3_f32 v16, v16, v12, v13
	s_delay_alu instid0(VALU_DEP_2) | instskip(NEXT) | instid1(VALU_DEP_2)
	v_cmp_gt_i32_e32 vcc_lo, 32, v19
	v_max3_f32 v16, v16, v14, v15
	v_cndmask_b32_e32 v19, v17, v19, vcc_lo
	s_delay_alu instid0(VALU_DEP_1) | instskip(SKIP_1) | instid1(VALU_DEP_1)
	v_lshlrev_b32_e32 v36, 2, v19
	v_xor_b32_e32 v19, 2, v17
	v_cmp_gt_i32_e32 vcc_lo, 32, v19
	v_cndmask_b32_e32 v19, v17, v19, vcc_lo
	s_delay_alu instid0(VALU_DEP_1) | instskip(SKIP_1) | instid1(VALU_DEP_1)
	v_lshlrev_b32_e32 v37, 2, v19
	v_xor_b32_e32 v19, 1, v17
	v_cmp_gt_i32_e32 vcc_lo, 32, v19
	v_dual_cndmask_b32 v17, v17, v19 :: v_dual_lshlrev_b32 v34, 2, v18
	ds_bpermute_b32 v18, v34, v16
	v_lshlrev_b32_e32 v38, 2, v17
	s_waitcnt lgkmcnt(0)
	v_max_f32_e32 v18, v18, v18
	s_delay_alu instid0(VALU_DEP_1) | instskip(SKIP_3) | instid1(VALU_DEP_1)
	v_max_f32_e32 v16, v16, v18
	ds_bpermute_b32 v18, v35, v16
	s_waitcnt lgkmcnt(0)
	v_max_f32_e32 v18, v18, v18
	v_max_f32_e32 v16, v16, v18
	ds_bpermute_b32 v18, v36, v16
	s_waitcnt lgkmcnt(0)
	v_max_f32_e32 v18, v18, v18
	s_delay_alu instid0(VALU_DEP_1) | instskip(SKIP_3) | instid1(VALU_DEP_1)
	v_max_f32_e32 v16, v16, v18
	ds_bpermute_b32 v18, v37, v16
	s_waitcnt lgkmcnt(0)
	v_max_f32_e32 v18, v18, v18
	v_max_f32_e32 v16, v16, v18
	ds_bpermute_b32 v17, v38, v16
	s_waitcnt lgkmcnt(0)
	v_max_f32_e32 v17, v17, v17
	s_delay_alu instid0(VALU_DEP_1) | instskip(NEXT) | instid1(VALU_DEP_1)
	v_max_f32_e32 v16, v16, v17
	v_sub_f32_e32 v11, v11, v16
	s_delay_alu instid0(VALU_DEP_1) | instskip(SKIP_4) | instid1(VALU_DEP_4)
	v_mul_f32_e32 v27, 0x3fb8aa3b, v11
	v_sub_f32_e32 v3, v3, v16
	v_sub_f32_e32 v1, v1, v16
	;; [unrolled: 1-line block ×4, first 2 shown]
	v_dual_sub_f32 v4, v4, v16 :: v_dual_mul_f32 v19, 0x3fb8aa3b, v3
	s_delay_alu instid0(VALU_DEP_4) | instskip(NEXT) | instid1(VALU_DEP_4)
	v_mul_f32_e32 v17, 0x3fb8aa3b, v1
	v_mul_f32_e32 v21, 0x3fb8aa3b, v5
	v_rndne_f32_e32 v62, v27
	s_delay_alu instid0(VALU_DEP_4)
	v_rndne_f32_e32 v46, v19
	v_sub_f32_e32 v14, v14, v16
	v_fma_f32 v41, 0x3fb8aa3b, v1, -v17
	v_sub_f32_e32 v6, v6, v16
	v_fma_f32 v45, 0x3fb8aa3b, v3, -v19
	v_sub_f32_e32 v19, v19, v46
	v_dual_sub_f32 v13, v13, v16 :: v_dual_mul_f32 v30, 0x3fb8aa3b, v14
	v_dual_sub_f32 v2, v2, v16 :: v_dual_fmac_f32 v41, 0x32a5705f, v1
	v_dual_sub_f32 v9, v9, v16 :: v_dual_mul_f32 v22, 0x3fb8aa3b, v6
	s_delay_alu instid0(VALU_DEP_3) | instskip(NEXT) | instid1(VALU_DEP_3)
	v_dual_sub_f32 v0, v0, v16 :: v_dual_mul_f32 v29, 0x3fb8aa3b, v13
	v_dual_sub_f32 v7, v7, v16 :: v_dual_mul_f32 v18, 0x3fb8aa3b, v2
	v_dual_sub_f32 v12, v12, v16 :: v_dual_fmac_f32 v45, 0x32a5705f, v3
	s_delay_alu instid0(VALU_DEP_4)
	v_mul_f32_e32 v25, 0x3fb8aa3b, v9
	v_rndne_f32_e32 v42, v17
	v_sub_f32_e32 v8, v8, v16
	v_fma_f32 v43, 0x3fb8aa3b, v2, -v18
	v_sub_f32_e32 v10, v10, v16
	v_rndne_f32_e32 v50, v21
	v_mul_f32_e32 v16, 0x3fb8aa3b, v0
	v_rndne_f32_e32 v44, v18
	v_fma_f32 v49, 0x3fb8aa3b, v5, -v21
	v_fma_f32 v51, 0x3fb8aa3b, v6, -v22
	v_sub_f32_e32 v21, v21, v50
	v_fma_f32 v39, 0x3fb8aa3b, v0, -v16
	v_rndne_f32_e32 v40, v16
	v_rndne_f32_e32 v58, v25
	v_dual_sub_f32 v17, v17, v42 :: v_dual_mul_f32 v24, 0x3fb8aa3b, v8
	v_fmac_f32_e32 v43, 0x32a5705f, v2
	v_mul_f32_e32 v26, 0x3fb8aa3b, v10
	v_fma_f32 v57, 0x3fb8aa3b, v9, -v25
	v_sub_f32_e32 v25, v25, v58
	v_rndne_f32_e32 v56, v24
	v_dual_sub_f32 v16, v16, v40 :: v_dual_fmac_f32 v49, 0x32a5705f, v5
	v_fma_f32 v59, 0x3fb8aa3b, v10, -v26
	v_rndne_f32_e32 v60, v26
	v_dual_sub_f32 v18, v18, v44 :: v_dual_fmac_f32 v51, 0x32a5705f, v6
	v_fmac_f32_e32 v39, 0x32a5705f, v0
	v_fma_f32 v55, 0x3fb8aa3b, v8, -v24
	v_fma_f32 v61, 0x3fb8aa3b, v11, -v27
	s_delay_alu instid0(VALU_DEP_4)
	v_add_f32_e32 v18, v18, v43
	v_rndne_f32_e32 v66, v29
	v_fma_f32 v67, 0x3fb8aa3b, v14, -v30
	v_rndne_f32_e32 v68, v30
	v_dual_sub_f32 v24, v24, v56 :: v_dual_fmac_f32 v59, 0x32a5705f, v10
	v_dual_sub_f32 v26, v26, v60 :: v_dual_fmac_f32 v61, 0x32a5705f, v11
	v_add_f32_e32 v16, v16, v39
	v_fma_f32 v65, 0x3fb8aa3b, v13, -v29
	v_dual_sub_f32 v29, v29, v66 :: v_dual_sub_f32 v30, v30, v68
	s_delay_alu instid0(VALU_DEP_4) | instskip(SKIP_3) | instid1(VALU_DEP_3)
	v_dual_fmac_f32 v67, 0x32a5705f, v14 :: v_dual_add_f32 v26, v26, v59
	v_add_f32_e32 v17, v17, v41
	v_exp_f32_e32 v16, v16
	v_mul_f32_e32 v31, 0x3fb8aa3b, v15
	v_add_f32_e32 v30, v30, v67
	v_cvt_i32_f32_e32 v40, v40
	v_exp_f32_e32 v17, v17
	v_mul_f32_e32 v23, 0x3fb8aa3b, v7
	v_fma_f32 v69, 0x3fb8aa3b, v15, -v31
	v_cvt_i32_f32_e32 v42, v42
	v_exp_f32_e32 v18, v18
	v_cmp_ngt_f32_e32 vcc_lo, 0xc2ce8ed0, v0
	v_ldexp_f32 v16, v16, v40
	v_rndne_f32_e32 v54, v23
	v_mul_f32_e32 v20, 0x3fb8aa3b, v4
	v_cvt_i32_f32_e32 v44, v44
	s_delay_alu instid0(VALU_DEP_4)
	v_dual_fmac_f32 v69, 0x32a5705f, v15 :: v_dual_cndmask_b32 v16, 0, v16
	v_ldexp_f32 v17, v17, v42
	v_cmp_ngt_f32_e32 vcc_lo, 0xc2ce8ed0, v1
	v_rndne_f32_e32 v52, v22
	v_fma_f32 v53, 0x3fb8aa3b, v7, -v23
	v_sub_f32_e32 v23, v23, v54
	v_fma_f32 v47, 0x3fb8aa3b, v4, -v20
	v_rndne_f32_e32 v48, v20
	v_ldexp_f32 v18, v18, v44
	v_cndmask_b32_e32 v17, 0, v17, vcc_lo
	v_cmp_ngt_f32_e32 vcc_lo, 0xc2ce8ed0, v2
	s_delay_alu instid0(VALU_DEP_4) | instskip(SKIP_3) | instid1(VALU_DEP_4)
	v_dual_add_f32 v19, v19, v45 :: v_dual_sub_f32 v20, v20, v48
	v_dual_fmac_f32 v53, 0x32a5705f, v7 :: v_dual_sub_f32 v22, v22, v52
	v_fmac_f32_e32 v57, 0x32a5705f, v9
	v_dual_fmac_f32 v47, 0x32a5705f, v4 :: v_dual_cndmask_b32 v18, 0, v18
	v_exp_f32_e32 v19, v19
	s_delay_alu instid0(VALU_DEP_3)
	v_add_f32_e32 v22, v22, v51
	v_cmp_nlt_f32_e32 vcc_lo, 0x42b17218, v0
	v_cvt_i32_f32_e32 v46, v46
	v_dual_fmac_f32 v55, 0x32a5705f, v8 :: v_dual_add_f32 v20, v20, v47
	v_dual_add_f32 v21, v21, v49 :: v_dual_cndmask_b32 v0, 0x7f800000, v16
	v_cmp_nlt_f32_e32 vcc_lo, 0x42b17218, v1
	v_dual_mul_f32 v28, 0x3fb8aa3b, v12 :: v_dual_sub_f32 v27, v27, v62
	s_delay_alu instid0(VALU_DEP_4) | instskip(NEXT) | instid1(TRANS32_DEP_2)
	v_exp_f32_e32 v20, v20
	v_ldexp_f32 v19, v19, v46
	v_cndmask_b32_e32 v1, 0x7f800000, v17, vcc_lo
	v_cmp_ngt_f32_e32 vcc_lo, 0xc2ce8ed0, v3
	v_fma_f32 v63, 0x3fb8aa3b, v12, -v28
	v_cvt_i32_f32_e32 v48, v48
	v_dual_add_f32 v23, v23, v53 :: v_dual_add_f32 v24, v24, v55
	v_cndmask_b32_e32 v16, 0, v19, vcc_lo
	v_cmp_nlt_f32_e32 vcc_lo, 0x42b17218, v2
	v_fmac_f32_e32 v63, 0x32a5705f, v12
	v_add_f32_e32 v25, v25, v57
	v_exp_f32_e32 v21, v21
	v_exp_f32_e32 v22, v22
	v_cndmask_b32_e32 v2, 0x7f800000, v18, vcc_lo
	v_ldexp_f32 v20, v20, v48
	v_cmp_ngt_f32_e32 vcc_lo, 0xc2ce8ed0, v4
	v_rndne_f32_e32 v64, v28
	v_rndne_f32_e32 v70, v31
	v_cvt_i32_f32_e32 v50, v50
	v_cvt_i32_f32_e32 v52, v52
	v_dual_add_f32 v27, v27, v61 :: v_dual_cndmask_b32 v18, 0, v20
	v_exp_f32_e32 v24, v24
	v_cmp_nlt_f32_e32 vcc_lo, 0x42b17218, v3
	v_cvt_i32_f32_e32 v56, v56
	v_dual_sub_f32 v28, v28, v64 :: v_dual_fmac_f32 v65, 0x32a5705f, v13
	v_sub_f32_e32 v31, v31, v70
	v_ldexp_f32 v21, v21, v50
	v_ldexp_f32 v22, v22, v52
	s_delay_alu instid0(VALU_DEP_4)
	v_add_f32_e32 v28, v28, v63
	v_add_f32_e32 v17, v0, v1
	v_cndmask_b32_e32 v3, 0x7f800000, v16, vcc_lo
	v_cmp_ngt_f32_e32 vcc_lo, 0xc2ce8ed0, v5
	v_add_f32_e32 v31, v31, v69
	v_ldexp_f32 v24, v24, v56
	v_add_f32_e32 v16, v17, v2
	v_exp_f32_e32 v23, v23
	v_cndmask_b32_e32 v17, 0, v21, vcc_lo
	v_cmp_nlt_f32_e32 vcc_lo, 0x42b17218, v4
	v_add_f32_e32 v29, v29, v65
	v_cvt_i32_f32_e32 v54, v54
	v_exp_f32_e32 v26, v26
	v_cvt_i32_f32_e32 v60, v60
	v_cndmask_b32_e32 v4, 0x7f800000, v18, vcc_lo
	v_cmp_ngt_f32_e32 vcc_lo, 0xc2ce8ed0, v6
	v_exp_f32_e32 v25, v25
	v_ldexp_f32 v23, v23, v54
	v_add_f32_e32 v16, v16, v3
	v_cvt_i32_f32_e32 v58, v58
	v_cndmask_b32_e32 v18, 0, v22, vcc_lo
	v_cmp_nlt_f32_e32 vcc_lo, 0x42b17218, v5
	v_ldexp_f32 v26, v26, v60
	v_dual_add_f32 v16, v16, v4 :: v_dual_lshlrev_b32 v39, 2, v33
	v_exp_f32_e32 v27, v27
	v_cndmask_b32_e32 v5, 0x7f800000, v17, vcc_lo
	v_cmp_ngt_f32_e32 vcc_lo, 0xc2ce8ed0, v7
	v_ldexp_f32 v25, v25, v58
	v_cvt_i32_f32_e32 v62, v62
	v_exp_f32_e32 v28, v28
	v_dual_add_f32 v16, v16, v5 :: v_dual_cndmask_b32 v17, 0, v23
	v_cmp_nlt_f32_e32 vcc_lo, 0x42b17218, v6
	v_cvt_i32_f32_e32 v64, v64
	s_delay_alu instid0(TRANS32_DEP_2) | instskip(SKIP_4) | instid1(TRANS32_DEP_2)
	v_ldexp_f32 v27, v27, v62
	v_exp_f32_e32 v29, v29
	v_cvt_i32_f32_e32 v66, v66
	v_cndmask_b32_e32 v6, 0x7f800000, v18, vcc_lo
	v_cmp_ngt_f32_e32 vcc_lo, 0xc2ce8ed0, v8
	v_ldexp_f32 v28, v28, v64
	v_exp_f32_e32 v30, v30
	v_cvt_i32_f32_e32 v68, v68
	v_add_f32_e32 v16, v16, v6
	v_cndmask_b32_e32 v18, 0, v24, vcc_lo
	v_cmp_nlt_f32_e32 vcc_lo, 0x42b17218, v7
	v_ldexp_f32 v29, v29, v66
	v_exp_f32_e32 v31, v31
	v_cvt_i32_f32_e32 v70, v70
	v_cndmask_b32_e32 v7, 0x7f800000, v17, vcc_lo
	v_cmp_ngt_f32_e32 vcc_lo, 0xc2ce8ed0, v9
	v_ldexp_f32 v30, v30, v68
	s_delay_alu instid0(VALU_DEP_3) | instskip(SKIP_1) | instid1(TRANS32_DEP_1)
	v_dual_add_f32 v16, v16, v7 :: v_dual_cndmask_b32 v17, 0, v25
	v_cmp_nlt_f32_e32 vcc_lo, 0x42b17218, v8
	v_ldexp_f32 v31, v31, v70
	v_cndmask_b32_e32 v8, 0x7f800000, v18, vcc_lo
	v_cmp_ngt_f32_e32 vcc_lo, 0xc2ce8ed0, v10
	s_delay_alu instid0(VALU_DEP_2) | instskip(SKIP_4) | instid1(VALU_DEP_2)
	v_add_f32_e32 v16, v16, v8
	v_cndmask_b32_e32 v18, 0, v26, vcc_lo
	v_cmp_nlt_f32_e32 vcc_lo, 0x42b17218, v9
	v_cndmask_b32_e32 v9, 0x7f800000, v17, vcc_lo
	v_cmp_ngt_f32_e32 vcc_lo, 0xc2ce8ed0, v11
	v_dual_add_f32 v16, v16, v9 :: v_dual_cndmask_b32 v17, 0, v27
	v_cmp_nlt_f32_e32 vcc_lo, 0x42b17218, v10
	v_cndmask_b32_e32 v10, 0x7f800000, v18, vcc_lo
	v_cmp_ngt_f32_e32 vcc_lo, 0xc2ce8ed0, v12
	s_delay_alu instid0(VALU_DEP_2)
	v_add_f32_e32 v16, v16, v10
	v_cndmask_b32_e32 v18, 0, v28, vcc_lo
	v_cmp_nlt_f32_e32 vcc_lo, 0x42b17218, v11
	v_cndmask_b32_e32 v11, 0x7f800000, v17, vcc_lo
	v_cmp_ngt_f32_e32 vcc_lo, 0xc2ce8ed0, v13
	v_cndmask_b32_e32 v17, 0, v29, vcc_lo
	v_cmp_nlt_f32_e32 vcc_lo, 0x42b17218, v12
	v_cndmask_b32_e32 v12, 0x7f800000, v18, vcc_lo
	v_cmp_ngt_f32_e32 vcc_lo, 0xc2ce8ed0, v14
	v_cndmask_b32_e32 v18, 0, v30, vcc_lo
	v_cmp_nlt_f32_e32 vcc_lo, 0x42b17218, v13
	v_dual_add_f32 v16, v16, v11 :: v_dual_cndmask_b32 v13, 0x7f800000, v17
	v_cmp_ngt_f32_e32 vcc_lo, 0xc2ce8ed0, v15
	s_delay_alu instid0(VALU_DEP_2) | instskip(SKIP_1) | instid1(VALU_DEP_2)
	v_dual_add_f32 v16, v16, v12 :: v_dual_cndmask_b32 v17, 0, v31
	v_cmp_nlt_f32_e32 vcc_lo, 0x42b17218, v14
	v_add_f32_e32 v16, v16, v13
	v_cndmask_b32_e32 v14, 0x7f800000, v18, vcc_lo
	v_cmp_nlt_f32_e32 vcc_lo, 0x42b17218, v15
	s_delay_alu instid0(VALU_DEP_2) | instskip(NEXT) | instid1(VALU_DEP_1)
	v_dual_add_f32 v16, v16, v14 :: v_dual_cndmask_b32 v15, 0x7f800000, v17
	v_add_f32_e32 v16, v16, v15
	ds_bpermute_b32 v17, v34, v16
	s_waitcnt lgkmcnt(0)
	v_add_f32_e32 v16, v16, v17
	ds_bpermute_b32 v17, v35, v16
	s_waitcnt lgkmcnt(0)
	;; [unrolled: 3-line block ×5, first 2 shown]
	v_add_f32_e32 v16, v16, v17
	s_delay_alu instid0(VALU_DEP_1) | instskip(SKIP_1) | instid1(VALU_DEP_2)
	v_div_scale_f32 v17, null, v16, v16, 1.0
	v_div_scale_f32 v20, vcc_lo, 1.0, v16, 1.0
	v_rcp_f32_e32 v18, v17
	s_waitcnt_depctr 0xfff
	v_fma_f32 v19, -v17, v18, 1.0
	s_delay_alu instid0(VALU_DEP_1) | instskip(NEXT) | instid1(VALU_DEP_1)
	v_fmac_f32_e32 v18, v19, v18
	v_mul_f32_e32 v19, v20, v18
	s_delay_alu instid0(VALU_DEP_1) | instskip(NEXT) | instid1(VALU_DEP_1)
	v_fma_f32 v21, -v17, v19, v20
	v_fmac_f32_e32 v19, v21, v18
	s_delay_alu instid0(VALU_DEP_1) | instskip(NEXT) | instid1(VALU_DEP_1)
	v_fma_f32 v17, -v17, v19, v20
	v_div_fmas_f32 v17, v17, v18, v19
	s_delay_alu instid0(VALU_DEP_1) | instskip(NEXT) | instid1(VALU_DEP_1)
	v_div_fixup_f32 v16, v17, v16, 1.0
	v_mul_f32_e32 v5, v16, v5
	v_mul_f32_e32 v0, v16, v0
	;; [unrolled: 1-line block ×6, first 2 shown]
	v_cmp_class_f32_e64 vcc_lo, v0, 0x1f8
	v_mul_f32_e32 v13, v16, v13
	v_mul_f32_e32 v4, v16, v4
	;; [unrolled: 1-line block ×3, first 2 shown]
	v_dual_mul_f32 v7, v16, v7 :: v_dual_cndmask_b32 v0, 0, v0
	v_cmp_class_f32_e64 vcc_lo, v1, 0x1f8
	v_mul_f32_e32 v8, v16, v8
	v_mul_f32_e32 v10, v16, v10
	;; [unrolled: 1-line block ×3, first 2 shown]
	v_dual_mul_f32 v14, v16, v14 :: v_dual_cndmask_b32 v1, 0, v1
	v_cmp_class_f32_e64 vcc_lo, v2, 0x1f8
	v_dual_mul_f32 v11, v16, v11 :: v_dual_cndmask_b32 v2, 0, v2
	v_cmp_class_f32_e64 vcc_lo, v3, 0x1f8
	v_cndmask_b32_e32 v3, 0, v3, vcc_lo
	v_cmp_class_f32_e64 vcc_lo, v4, 0x1f8
	v_cndmask_b32_e32 v4, 0, v4, vcc_lo
	;; [unrolled: 2-line block ×3, first 2 shown]
	v_cmp_class_f32_e64 vcc_lo, v6, 0x1f8
	v_dual_mul_f32 v15, v16, v15 :: v_dual_cndmask_b32 v6, 0, v6
	v_cmp_class_f32_e64 vcc_lo, v7, 0x1f8
	v_cndmask_b32_e32 v7, 0, v7, vcc_lo
	v_cmp_class_f32_e64 vcc_lo, v8, 0x1f8
	v_cndmask_b32_e32 v8, 0, v8, vcc_lo
	;; [unrolled: 2-line block ×9, first 2 shown]
	s_cbranch_scc1 .LBB64_35
; %bb.4:
	v_lshlrev_b32_e32 v28, 2, v39
	s_clause 0x3
	global_load_b128 v[16:19], v28, s[2:3]
	global_load_b128 v[20:23], v28, s[2:3] offset:512
	global_load_b128 v[24:27], v28, s[2:3] offset:1024
	;; [unrolled: 1-line block ×3, first 2 shown]
	s_waitcnt vmcnt(3)
	v_dual_add_f32 v17, v17, v1 :: v_dual_add_f32 v16, v16, v0
	v_dual_add_f32 v19, v19, v3 :: v_dual_add_f32 v18, v18, v2
	s_waitcnt vmcnt(2)
	v_dual_add_f32 v21, v21, v5 :: v_dual_add_f32 v20, v20, v4
	v_dual_add_f32 v23, v23, v7 :: v_dual_add_f32 v22, v22, v6
	;; [unrolled: 3-line block ×4, first 2 shown]
	s_cbranch_execnz .LBB64_6
.LBB64_5:
	v_dual_mov_b32 v31, v15 :: v_dual_mov_b32 v30, v14
	v_dual_mov_b32 v29, v13 :: v_dual_mov_b32 v28, v12
	;; [unrolled: 1-line block ×8, first 2 shown]
.LBB64_6:
	s_load_b128 s[4:7], s[0:1], 0x30
	v_cmp_eq_u32_e64 s2, 0, v33
	s_waitcnt lgkmcnt(0)
	s_bitcmp1_b32 s7, 0
	s_mov_b32 s7, 0
	s_cselect_b32 vcc_lo, -1, 0
	s_cmp_gt_i32 s4, 0
	s_cselect_b32 s3, -1, 0
	s_cmp_lt_i32 s4, 1
	s_cbranch_scc1 .LBB64_36
; %bb.7:
	s_load_b128 s[8:11], s[0:1], 0x20
	v_mul_lo_u32 v41, v32, s4
	v_mov_b32_e32 v40, 0
	v_mov_b32_e32 v42, v32
	s_branch .LBB64_10
.LBB64_8:                               ;   in Loop: Header=BB64_10 Depth=1
	s_or_b32 exec_lo, exec_lo, s1
.LBB64_9:                               ;   in Loop: Header=BB64_10 Depth=1
	v_add_nc_u32_e32 v42, s14, v42
	s_cmp_eq_u32 s4, s7
	s_cbranch_scc1 .LBB64_37
.LBB64_10:                              ; =>This Inner Loop Header: Depth=1
	v_cmp_gt_f32_e64 s0, v17, v16
	s_mov_b32 s17, exec_lo
	s_delay_alu instid0(VALU_DEP_1) | instskip(SKIP_2) | instid1(VALU_DEP_3)
	v_cndmask_b32_e64 v43, v16, v17, s0
	v_cndmask_b32_e64 v44, 0, 1, s0
	;; [unrolled: 1-line block ×3, first 2 shown]
	v_cmp_gt_f32_e64 s1, v18, v43
	s_delay_alu instid0(VALU_DEP_1) | instskip(NEXT) | instid1(VALU_DEP_4)
	v_cndmask_b32_e64 v43, v43, v18, s1
	v_cndmask_b32_e64 v44, v44, 2, s1
	s_delay_alu instid0(VALU_DEP_4) | instskip(NEXT) | instid1(VALU_DEP_3)
	v_cndmask_b32_e64 v45, v45, v2, s1
	v_cmp_gt_f32_e64 s0, v19, v43
	s_delay_alu instid0(VALU_DEP_1) | instskip(NEXT) | instid1(VALU_DEP_4)
	v_cndmask_b32_e64 v43, v43, v19, s0
	v_cndmask_b32_e64 v44, v44, 3, s0
	s_delay_alu instid0(VALU_DEP_4) | instskip(NEXT) | instid1(VALU_DEP_3)
	v_cndmask_b32_e64 v45, v45, v3, s0
	;; [unrolled: 6-line block ×12, first 2 shown]
	v_cmp_gt_f32_e64 s1, v30, v43
	s_delay_alu instid0(VALU_DEP_1) | instskip(NEXT) | instid1(VALU_DEP_4)
	v_cndmask_b32_e64 v43, v43, v30, s1
	v_cndmask_b32_e64 v44, v44, 0x182, s1
	s_waitcnt lgkmcnt(0)
	v_cndmask_b32_e64 v46, v45, v14, s1
	s_delay_alu instid0(VALU_DEP_3) | instskip(NEXT) | instid1(VALU_DEP_1)
	v_cmp_gt_f32_e64 s0, v31, v43
	v_cndmask_b32_e64 v45, v43, v31, s0
	v_cndmask_b32_e64 v43, v44, 0x183, s0
	s_delay_alu instid0(VALU_DEP_4)
	v_cndmask_b32_e64 v44, v46, v15, s0
	ds_bpermute_b32 v46, v34, v45
	v_or_b32_e32 v43, v39, v43
	ds_bpermute_b32 v48, v34, v44
	ds_bpermute_b32 v47, v34, v43
	s_waitcnt lgkmcnt(0)
	v_cmp_lt_f32_e64 s16, v45, v46
	v_cmpx_nlt_f32_e32 v45, v46
; %bb.11:                               ;   in Loop: Header=BB64_10 Depth=1
	v_cmp_eq_f32_e64 s0, v45, v46
	v_cmp_lt_i32_e64 s1, v47, v43
	s_delay_alu instid0(VALU_DEP_1) | instskip(SKIP_2) | instid1(SALU_CYCLE_1)
	s_and_b32 s0, s0, s1
	s_and_not1_b32 s1, s16, exec_lo
	s_and_b32 s0, s0, exec_lo
	s_or_b32 s16, s1, s0
; %bb.12:                               ;   in Loop: Header=BB64_10 Depth=1
	s_or_b32 exec_lo, exec_lo, s17
	s_and_saveexec_b32 s0, s16
; %bb.13:                               ;   in Loop: Header=BB64_10 Depth=1
	v_dual_mov_b32 v44, v48 :: v_dual_mov_b32 v45, v46
	v_mov_b32_e32 v43, v47
; %bb.14:                               ;   in Loop: Header=BB64_10 Depth=1
	s_or_b32 exec_lo, exec_lo, s0
	ds_bpermute_b32 v47, v35, v45
	ds_bpermute_b32 v48, v35, v44
	;; [unrolled: 1-line block ×3, first 2 shown]
	s_mov_b32 s17, exec_lo
	s_waitcnt lgkmcnt(2)
	v_cmp_lt_f32_e64 s16, v45, v47
	v_cmpx_nlt_f32_e32 v45, v47
	s_cbranch_execz .LBB64_16
; %bb.15:                               ;   in Loop: Header=BB64_10 Depth=1
	v_cmp_eq_f32_e64 s0, v45, v47
	s_waitcnt lgkmcnt(0)
	v_cmp_lt_i32_e64 s1, v46, v43
	s_delay_alu instid0(VALU_DEP_1) | instskip(SKIP_2) | instid1(SALU_CYCLE_1)
	s_and_b32 s0, s0, s1
	s_and_not1_b32 s1, s16, exec_lo
	s_and_b32 s0, s0, exec_lo
	s_or_b32 s16, s1, s0
.LBB64_16:                              ;   in Loop: Header=BB64_10 Depth=1
	s_or_b32 exec_lo, exec_lo, s17
	s_delay_alu instid0(VALU_DEP_2)
	s_and_saveexec_b32 s0, s16
	s_cbranch_execz .LBB64_18
; %bb.17:                               ;   in Loop: Header=BB64_10 Depth=1
	s_waitcnt lgkmcnt(1)
	v_dual_mov_b32 v44, v48 :: v_dual_mov_b32 v45, v47
	s_waitcnt lgkmcnt(0)
	v_mov_b32_e32 v43, v46
.LBB64_18:                              ;   in Loop: Header=BB64_10 Depth=1
	s_or_b32 exec_lo, exec_lo, s0
	ds_bpermute_b32 v47, v36, v45
	s_waitcnt lgkmcnt(2)
	ds_bpermute_b32 v48, v36, v44
	s_waitcnt lgkmcnt(2)
	ds_bpermute_b32 v46, v36, v43
	s_mov_b32 s17, exec_lo
	s_waitcnt lgkmcnt(2)
	v_cmp_lt_f32_e64 s16, v45, v47
	v_cmpx_nlt_f32_e32 v45, v47
	s_cbranch_execz .LBB64_20
; %bb.19:                               ;   in Loop: Header=BB64_10 Depth=1
	v_cmp_eq_f32_e64 s0, v45, v47
	s_waitcnt lgkmcnt(0)
	v_cmp_lt_i32_e64 s1, v46, v43
	s_delay_alu instid0(VALU_DEP_1) | instskip(SKIP_2) | instid1(SALU_CYCLE_1)
	s_and_b32 s0, s0, s1
	s_and_not1_b32 s1, s16, exec_lo
	s_and_b32 s0, s0, exec_lo
	s_or_b32 s16, s1, s0
.LBB64_20:                              ;   in Loop: Header=BB64_10 Depth=1
	s_or_b32 exec_lo, exec_lo, s17
	s_delay_alu instid0(VALU_DEP_2)
	s_and_saveexec_b32 s0, s16
	s_cbranch_execz .LBB64_22
; %bb.21:                               ;   in Loop: Header=BB64_10 Depth=1
	s_waitcnt lgkmcnt(1)
	v_dual_mov_b32 v44, v48 :: v_dual_mov_b32 v45, v47
	s_waitcnt lgkmcnt(0)
	v_mov_b32_e32 v43, v46
.LBB64_22:                              ;   in Loop: Header=BB64_10 Depth=1
	s_or_b32 exec_lo, exec_lo, s0
	ds_bpermute_b32 v47, v37, v45
	s_waitcnt lgkmcnt(2)
	ds_bpermute_b32 v48, v37, v44
	s_waitcnt lgkmcnt(2)
	ds_bpermute_b32 v46, v37, v43
	s_mov_b32 s17, exec_lo
	s_waitcnt lgkmcnt(2)
	v_cmp_lt_f32_e64 s16, v45, v47
	v_cmpx_nlt_f32_e32 v45, v47
	s_cbranch_execz .LBB64_24
; %bb.23:                               ;   in Loop: Header=BB64_10 Depth=1
	v_cmp_eq_f32_e64 s0, v45, v47
	s_waitcnt lgkmcnt(0)
	v_cmp_lt_i32_e64 s1, v46, v43
	s_delay_alu instid0(VALU_DEP_1) | instskip(SKIP_2) | instid1(SALU_CYCLE_1)
	s_and_b32 s0, s0, s1
	s_and_not1_b32 s1, s16, exec_lo
	s_and_b32 s0, s0, exec_lo
	s_or_b32 s16, s1, s0
.LBB64_24:                              ;   in Loop: Header=BB64_10 Depth=1
	s_or_b32 exec_lo, exec_lo, s17
	s_delay_alu instid0(VALU_DEP_2)
	s_and_saveexec_b32 s0, s16
	s_cbranch_execz .LBB64_26
; %bb.25:                               ;   in Loop: Header=BB64_10 Depth=1
	s_waitcnt lgkmcnt(1)
	v_dual_mov_b32 v44, v48 :: v_dual_mov_b32 v45, v47
	s_waitcnt lgkmcnt(0)
	v_mov_b32_e32 v43, v46
.LBB64_26:                              ;   in Loop: Header=BB64_10 Depth=1
	s_or_b32 exec_lo, exec_lo, s0
	s_waitcnt lgkmcnt(1)
	ds_bpermute_b32 v48, v38, v45
	ds_bpermute_b32 v47, v38, v44
	s_waitcnt lgkmcnt(2)
	ds_bpermute_b32 v46, v38, v43
	s_mov_b32 s17, exec_lo
	s_waitcnt lgkmcnt(2)
	v_cmp_lt_f32_e64 s16, v45, v48
	v_cmpx_nlt_f32_e32 v45, v48
	s_cbranch_execnz .LBB64_30
; %bb.27:                               ;   in Loop: Header=BB64_10 Depth=1
	s_or_b32 exec_lo, exec_lo, s17
	s_delay_alu instid0(VALU_DEP_2)
	s_and_saveexec_b32 s0, s16
	s_cbranch_execnz .LBB64_31
.LBB64_28:                              ;   in Loop: Header=BB64_10 Depth=1
	s_or_b32 exec_lo, exec_lo, s0
	s_and_saveexec_b32 s16, s2
	s_cbranch_execnz .LBB64_32
.LBB64_29:                              ;   in Loop: Header=BB64_10 Depth=1
	s_or_b32 exec_lo, exec_lo, s16
	s_add_i32 s7, s7, 1
	s_delay_alu instid0(SALU_CYCLE_1)
	s_cmp_ge_i32 s7, s4
	s_cbranch_scc1 .LBB64_9
	s_branch .LBB64_33
.LBB64_30:                              ;   in Loop: Header=BB64_10 Depth=1
	v_cmp_eq_f32_e64 s0, v45, v48
	s_waitcnt lgkmcnt(0)
	v_cmp_lt_i32_e64 s1, v46, v43
	s_delay_alu instid0(VALU_DEP_1) | instskip(SKIP_2) | instid1(SALU_CYCLE_1)
	s_and_b32 s0, s0, s1
	s_and_not1_b32 s1, s16, exec_lo
	s_and_b32 s0, s0, exec_lo
	s_or_b32 s16, s1, s0
	s_or_b32 exec_lo, exec_lo, s17
	s_and_saveexec_b32 s0, s16
	s_cbranch_execz .LBB64_28
.LBB64_31:                              ;   in Loop: Header=BB64_10 Depth=1
	s_waitcnt lgkmcnt(0)
	v_dual_mov_b32 v44, v47 :: v_dual_mov_b32 v43, v46
	s_or_b32 exec_lo, exec_lo, s0
	s_and_saveexec_b32 s16, s2
	s_cbranch_execz .LBB64_29
.LBB64_32:                              ;   in Loop: Header=BB64_10 Depth=1
	v_add_nc_u32_e32 v45, s7, v41
	v_subrev_nc_u32_e32 v49, s5, v43
	v_cmp_le_i32_e64 s0, s5, v43
	v_cmp_gt_i32_e64 s1, s6, v43
	v_add_f32_e32 v53, v40, v44
	s_waitcnt lgkmcnt(0)
	v_ashrrev_i32_e32 v46, 31, v45
	v_ashrrev_i32_e32 v50, 31, v49
	s_and_b32 s0, s0, s1
	v_cndmask_b32_e32 v40, v40, v53, vcc_lo
	s_delay_alu instid0(VALU_DEP_3) | instskip(SKIP_2) | instid1(SALU_CYCLE_1)
	v_lshlrev_b64 v[47:48], 2, v[45:46]
	v_lshlrev_b64 v[45:46], 3, v[45:46]
	s_and_b32 s0, s15, s0
	v_cndmask_b32_e64 v50, 0, v50, s0
	v_cndmask_b32_e64 v49, 0x200, v49, s0
	s_delay_alu instid0(VALU_DEP_4) | instskip(NEXT) | instid1(VALU_DEP_1)
	v_add_co_u32 v51, s0, s12, v47
	v_add_co_ci_u32_e64 v52, s0, s13, v48, s0
	v_add_co_u32 v45, s0, s8, v45
	s_delay_alu instid0(VALU_DEP_1) | instskip(SKIP_1) | instid1(VALU_DEP_1)
	v_add_co_ci_u32_e64 v46, s0, s9, v46, s0
	v_add_co_u32 v47, s0, s10, v47
	v_add_co_ci_u32_e64 v48, s0, s11, v48, s0
	global_store_b32 v[51:52], v44, off
	global_store_b64 v[45:46], v[49:50], off
	global_store_b32 v[47:48], v42, off
	s_or_b32 exec_lo, exec_lo, s16
	s_add_i32 s7, s7, 1
	s_delay_alu instid0(SALU_CYCLE_1)
	s_cmp_ge_i32 s7, s4
	s_cbranch_scc1 .LBB64_9
.LBB64_33:                              ;   in Loop: Header=BB64_10 Depth=1
	v_ashrrev_i32_e32 v44, 31, v43
	s_mov_b32 s1, exec_lo
	s_delay_alu instid0(VALU_DEP_1) | instskip(NEXT) | instid1(VALU_DEP_1)
	v_lshrrev_b32_e32 v45, 30, v44
	v_add_nc_u32_e32 v45, v43, v45
	s_waitcnt lgkmcnt(0)
	s_delay_alu instid0(VALU_DEP_1) | instskip(SKIP_1) | instid1(VALU_DEP_2)
	v_ashrrev_i32_e32 v46, 31, v45
	v_ashrrev_i32_e32 v45, 2, v45
	v_lshrrev_b32_e32 v46, 27, v46
	s_delay_alu instid0(VALU_DEP_1) | instskip(NEXT) | instid1(VALU_DEP_1)
	v_add_nc_u32_e32 v46, v45, v46
	v_and_b32_e32 v46, 0xffffffe0, v46
	s_delay_alu instid0(VALU_DEP_1) | instskip(NEXT) | instid1(VALU_DEP_1)
	v_sub_nc_u32_e32 v46, v45, v46
	v_cmpx_eq_u32_e64 v33, v46
	s_cbranch_execz .LBB64_8
; %bb.34:                               ;   in Loop: Header=BB64_10 Depth=1
	v_lshrrev_b32_e32 v44, 25, v44
	v_lshlrev_b32_e32 v45, 2, v45
	s_delay_alu instid0(VALU_DEP_2) | instskip(NEXT) | instid1(VALU_DEP_2)
	v_add_nc_u32_e32 v44, v43, v44
	v_sub_nc_u32_e32 v43, v43, v45
	s_delay_alu instid0(VALU_DEP_2) | instskip(NEXT) | instid1(VALU_DEP_1)
	v_ashrrev_i32_e32 v44, 7, v44
	v_lshl_add_u32 v43, v44, 2, v43
	s_delay_alu instid0(VALU_DEP_1) | instskip(NEXT) | instid1(VALU_DEP_1)
	v_cmp_ne_u32_e64 s0, 15, v43
	v_cndmask_b32_e64 v31, 0xc61c4000, v31, s0
	v_cmp_ne_u32_e64 s0, 14, v43
	s_delay_alu instid0(VALU_DEP_1) | instskip(SKIP_1) | instid1(VALU_DEP_1)
	v_cndmask_b32_e64 v30, 0xc61c4000, v30, s0
	v_cmp_ne_u32_e64 s0, 13, v43
	v_cndmask_b32_e64 v29, 0xc61c4000, v29, s0
	v_cmp_ne_u32_e64 s0, 12, v43
	s_delay_alu instid0(VALU_DEP_1) | instskip(SKIP_1) | instid1(VALU_DEP_1)
	v_cndmask_b32_e64 v28, 0xc61c4000, v28, s0
	;; [unrolled: 5-line block ×7, first 2 shown]
	v_cmp_ne_u32_e64 s0, 1, v43
	v_cndmask_b32_e64 v17, 0xc61c4000, v17, s0
	v_cmp_ne_u32_e64 s0, 0, v43
	s_delay_alu instid0(VALU_DEP_1)
	v_cndmask_b32_e64 v16, 0xc61c4000, v16, s0
	s_branch .LBB64_8
.LBB64_35:
                                        ; implicit-def: $vgpr16_vgpr17_vgpr18_vgpr19_vgpr20_vgpr21_vgpr22_vgpr23_vgpr24_vgpr25_vgpr26_vgpr27_vgpr28_vgpr29_vgpr30_vgpr31
	s_and_not1_b32 vcc_lo, exec_lo, s8
	s_cbranch_vccz .LBB64_5
	s_branch .LBB64_6
.LBB64_36:
	v_mov_b32_e32 v40, 0
.LBB64_37:
	v_cmp_eq_u32_e64 s0, 0, v33
	s_delay_alu instid0(VALU_DEP_1) | instskip(NEXT) | instid1(SALU_CYCLE_1)
	s_and_b32 s0, s0, vcc_lo
	s_and_b32 exec_lo, exec_lo, s0
	s_cbranch_execz .LBB64_41
; %bb.38:
	s_and_not1_b32 vcc_lo, exec_lo, s3
	s_cbranch_vccnz .LBB64_41
; %bb.39:
	v_mul_lo_u32 v0, v32, s4
	v_cmp_lt_f32_e32 vcc_lo, 0, v40
	v_cndmask_b32_e32 v2, 1.0, v40, vcc_lo
	s_delay_alu instid0(VALU_DEP_3) | instskip(NEXT) | instid1(VALU_DEP_1)
	v_ashrrev_i32_e32 v1, 31, v0
	v_lshlrev_b64 v[0:1], 2, v[0:1]
	s_delay_alu instid0(VALU_DEP_1) | instskip(NEXT) | instid1(VALU_DEP_2)
	v_add_co_u32 v0, vcc_lo, s12, v0
	v_add_co_ci_u32_e32 v1, vcc_lo, s13, v1, vcc_lo
	.p2align	6
.LBB64_40:                              ; =>This Inner Loop Header: Depth=1
	global_load_b32 v3, v[0:1], off
	s_add_i32 s4, s4, -1
	s_delay_alu instid0(SALU_CYCLE_1) | instskip(SKIP_3) | instid1(VALU_DEP_2)
	s_cmp_lg_u32 s4, 0
	s_waitcnt vmcnt(0)
	v_div_scale_f32 v4, null, v2, v2, v3
	v_div_scale_f32 v7, vcc_lo, v3, v2, v3
	v_rcp_f32_e32 v5, v4
	s_waitcnt_depctr 0xfff
	v_fma_f32 v6, -v4, v5, 1.0
	s_delay_alu instid0(VALU_DEP_1) | instskip(NEXT) | instid1(VALU_DEP_1)
	v_fmac_f32_e32 v5, v6, v5
	v_mul_f32_e32 v6, v7, v5
	s_delay_alu instid0(VALU_DEP_1) | instskip(NEXT) | instid1(VALU_DEP_1)
	v_fma_f32 v8, -v4, v6, v7
	v_fmac_f32_e32 v6, v8, v5
	s_delay_alu instid0(VALU_DEP_1) | instskip(NEXT) | instid1(VALU_DEP_1)
	v_fma_f32 v4, -v4, v6, v7
	v_div_fmas_f32 v4, v4, v5, v6
	s_delay_alu instid0(VALU_DEP_1)
	v_div_fixup_f32 v3, v4, v2, v3
	global_store_b32 v[0:1], v3, off
	v_add_co_u32 v0, vcc_lo, v0, 4
	v_add_co_ci_u32_e32 v1, vcc_lo, 0, v1, vcc_lo
	s_cbranch_scc1 .LBB64_40
.LBB64_41:
	s_nop 0
	s_sendmsg sendmsg(MSG_DEALLOC_VGPRS)
	s_endpgm
	.section	.rodata,"a",@progbits
	.p2align	6, 0x0
	.amdhsa_kernel _ZN4vllm3moe10topkGatingILi16ELi512ELi4ELi16ELi32ElfLNS0_11ScoringFuncE0EEEvPKT5_PKbPfiPT4_PiiiibPKf
		.amdhsa_group_segment_fixed_size 0
		.amdhsa_private_segment_fixed_size 0
		.amdhsa_kernarg_size 72
		.amdhsa_user_sgpr_count 15
		.amdhsa_user_sgpr_dispatch_ptr 0
		.amdhsa_user_sgpr_queue_ptr 0
		.amdhsa_user_sgpr_kernarg_segment_ptr 1
		.amdhsa_user_sgpr_dispatch_id 0
		.amdhsa_user_sgpr_private_segment_size 0
		.amdhsa_wavefront_size32 1
		.amdhsa_uses_dynamic_stack 0
		.amdhsa_enable_private_segment 0
		.amdhsa_system_sgpr_workgroup_id_x 1
		.amdhsa_system_sgpr_workgroup_id_y 0
		.amdhsa_system_sgpr_workgroup_id_z 0
		.amdhsa_system_sgpr_workgroup_info 0
		.amdhsa_system_vgpr_workitem_id 1
		.amdhsa_next_free_vgpr 71
		.amdhsa_next_free_sgpr 18
		.amdhsa_reserve_vcc 1
		.amdhsa_float_round_mode_32 0
		.amdhsa_float_round_mode_16_64 0
		.amdhsa_float_denorm_mode_32 3
		.amdhsa_float_denorm_mode_16_64 3
		.amdhsa_dx10_clamp 1
		.amdhsa_ieee_mode 1
		.amdhsa_fp16_overflow 0
		.amdhsa_workgroup_processor_mode 1
		.amdhsa_memory_ordered 1
		.amdhsa_forward_progress 0
		.amdhsa_shared_vgpr_count 0
		.amdhsa_exception_fp_ieee_invalid_op 0
		.amdhsa_exception_fp_denorm_src 0
		.amdhsa_exception_fp_ieee_div_zero 0
		.amdhsa_exception_fp_ieee_overflow 0
		.amdhsa_exception_fp_ieee_underflow 0
		.amdhsa_exception_fp_ieee_inexact 0
		.amdhsa_exception_int_div_zero 0
	.end_amdhsa_kernel
	.section	.text._ZN4vllm3moe10topkGatingILi16ELi512ELi4ELi16ELi32ElfLNS0_11ScoringFuncE0EEEvPKT5_PKbPfiPT4_PiiiibPKf,"axG",@progbits,_ZN4vllm3moe10topkGatingILi16ELi512ELi4ELi16ELi32ElfLNS0_11ScoringFuncE0EEEvPKT5_PKbPfiPT4_PiiiibPKf,comdat
.Lfunc_end64:
	.size	_ZN4vllm3moe10topkGatingILi16ELi512ELi4ELi16ELi32ElfLNS0_11ScoringFuncE0EEEvPKT5_PKbPfiPT4_PiiiibPKf, .Lfunc_end64-_ZN4vllm3moe10topkGatingILi16ELi512ELi4ELi16ELi32ElfLNS0_11ScoringFuncE0EEEvPKT5_PKbPfiPT4_PiiiibPKf
                                        ; -- End function
	.section	.AMDGPU.csdata,"",@progbits
; Kernel info:
; codeLenInByte = 5164
; NumSgprs: 20
; NumVgprs: 71
; ScratchSize: 0
; MemoryBound: 0
; FloatMode: 240
; IeeeMode: 1
; LDSByteSize: 0 bytes/workgroup (compile time only)
; SGPRBlocks: 2
; VGPRBlocks: 8
; NumSGPRsForWavesPerEU: 20
; NumVGPRsForWavesPerEU: 71
; Occupancy: 16
; WaveLimiterHint : 1
; COMPUTE_PGM_RSRC2:SCRATCH_EN: 0
; COMPUTE_PGM_RSRC2:USER_SGPR: 15
; COMPUTE_PGM_RSRC2:TRAP_HANDLER: 0
; COMPUTE_PGM_RSRC2:TGID_X_EN: 1
; COMPUTE_PGM_RSRC2:TGID_Y_EN: 0
; COMPUTE_PGM_RSRC2:TGID_Z_EN: 0
; COMPUTE_PGM_RSRC2:TIDIG_COMP_CNT: 1
	.section	.text._ZN4vllm3moe7moeTopKILi256ElEEvPKfPKbPfPT0_PiiiiibS3_,"axG",@progbits,_ZN4vllm3moe7moeTopKILi256ElEEvPKfPKbPfPT0_PiiiiibS3_,comdat
	.protected	_ZN4vllm3moe7moeTopKILi256ElEEvPKfPKbPfPT0_PiiiiibS3_ ; -- Begin function _ZN4vllm3moe7moeTopKILi256ElEEvPKfPKbPfPT0_PiiiiibS3_
	.globl	_ZN4vllm3moe7moeTopKILi256ElEEvPKfPKbPfPT0_PiiiiibS3_
	.p2align	8
	.type	_ZN4vllm3moe7moeTopKILi256ElEEvPKfPKbPfPT0_PiiiiibS3_,@function
_ZN4vllm3moe7moeTopKILi256ElEEvPKfPKbPfPT0_PiiiiibS3_: ; @_ZN4vllm3moe7moeTopKILi256ElEEvPKfPKbPfPT0_PiiiiibS3_
; %bb.0:
	s_clause 0x1
	s_load_b256 s[16:23], s[0:1], 0x0
	s_load_b64 s[10:11], s[0:1], 0x20
	s_mov_b32 s3, -1
	s_mov_b32 s30, -1
	s_mov_b32 s32, 0
	s_waitcnt lgkmcnt(0)
	s_cmp_eq_u64 s[18:19], 0
	s_cbranch_scc1 .LBB65_2
; %bb.1:
	v_mov_b32_e32 v1, 0
	s_ashr_i32 s2, s15, 31
	s_add_u32 s4, s18, s15
	s_addc_u32 s5, s19, s2
	global_load_u8 v1, v1, s[4:5]
	s_waitcnt vmcnt(0)
	v_readfirstlane_b32 s2, v1
	s_delay_alu instid0(VALU_DEP_1) | instskip(SKIP_1) | instid1(SALU_CYCLE_1)
	s_bitcmp1_b32 s2, 0
	s_cselect_b32 s2, -1, 0
	s_xor_b32 s30, s2, -1
.LBB65_2:
	s_clause 0x1
	s_load_b32 s2, s[0:1], 0x38
	s_load_b128 s[24:27], s[0:1], 0x28
	s_mov_b32 s4, 0
	s_waitcnt lgkmcnt(0)
	s_bitcmp1_b32 s2, 0
	s_cselect_b32 s2, -1, 0
	s_cmp_gt_i32 s25, 0
	s_cselect_b32 s14, -1, 0
	s_delay_alu instid0(SALU_CYCLE_1)
	s_and_b32 vcc_lo, exec_lo, s14
	s_cbranch_vccnz .LBB65_4
; %bb.3:
	s_mov_b32 s19, -1
	s_mov_b32 s5, 0
	s_delay_alu instid0(SALU_CYCLE_1)
	v_mov_b32_e32 v3, s5
	s_cbranch_execz .LBB65_5
	s_branch .LBB65_29
.LBB65_4:
	s_mov_b32 s19, 0
                                        ; implicit-def: $sgpr5
	v_mov_b32_e32 v3, s5
	s_and_not1_b32 vcc_lo, exec_lo, s3
	s_cbranch_vccnz .LBB65_29
.LBB65_5:
	v_mbcnt_lo_u32_b32 v1, -1, 0
	s_clause 0x1
	s_load_b64 s[12:13], s[0:1], 0x40
	s_load_b32 s31, s[0:1], 0x48
	v_lshrrev_b32_e32 v2, 2, v0
	s_mul_i32 s18, s15, s25
	v_cmp_gt_i32_e64 s3, s24, v0
	v_dual_mov_b32 v4, 0x7c :: v_dual_and_b32 v3, 7, v1
	s_delay_alu instid0(VALU_DEP_3) | instskip(SKIP_2) | instid1(VALU_DEP_4)
	v_and_b32_e32 v5, 56, v2
	v_cmp_eq_u32_e64 s4, 0, v1
	v_cmp_gt_u32_e64 s5, 32, v0
	v_cmp_gt_u32_e32 vcc_lo, 6, v3
	v_cmp_eq_u32_e64 s6, 0, v0
	s_mul_i32 s33, s15, s24
	s_mov_b32 s34, 0
	s_mov_b32 s36, 0
	v_cndmask_b32_e64 v2, 0, 1, vcc_lo
	v_cmp_gt_u32_e32 vcc_lo, 4, v3
	s_waitcnt lgkmcnt(0)
	s_cmp_lg_u64 s[12:13], 0
	v_cndmask_b32_e64 v6, 0, 1, vcc_lo
	v_cmp_ne_u32_e32 vcc_lo, 7, v3
	v_lshlrev_b32_e32 v2, 1, v2
	s_cselect_b32 s35, -1, 0
	s_ashr_i32 s19, s18, 31
	v_lshlrev_b32_e32 v9, 2, v6
	v_add_co_ci_u32_e32 v7, vcc_lo, 0, v1, vcc_lo
	v_dual_mov_b32 v3, 0 :: v_dual_lshlrev_b32 v6, 3, v3
	v_add_lshl_u32 v8, v2, v1, 2
	s_delay_alu instid0(VALU_DEP_3)
	v_lshlrev_b32_e32 v7, 2, v7
	v_add_lshl_u32 v9, v9, v1, 2
	s_lshl_b64 s[8:9], s[18:19], 3
	v_mov_b32_e32 v2, 0
	s_add_u32 s28, s22, s8
	s_addc_u32 s29, s23, s9
                                        ; implicit-def: $sgpr19
	s_branch .LBB65_7
.LBB65_6:                               ;   in Loop: Header=BB65_7 Depth=1
	s_or_b32 exec_lo, exec_lo, s8
	s_xor_b32 s7, s7, -1
	s_and_b32 s8, exec_lo, s37
	s_delay_alu instid0(SALU_CYCLE_1) | instskip(SKIP_2) | instid1(SALU_CYCLE_1)
	s_or_b32 s34, s8, s34
	s_and_not1_b32 s8, s19, exec_lo
	s_and_b32 s7, s7, exec_lo
	s_or_b32 s19, s8, s7
	s_and_not1_b32 exec_lo, exec_lo, s34
	s_cbranch_execz .LBB65_28
.LBB65_7:                               ; =>This Loop Header: Depth=1
                                        ;     Child Loop BB65_10 Depth 2
                                        ;       Child Loop BB65_14 Depth 3
	s_delay_alu instid0(VALU_DEP_1)
	v_dual_mov_b32 v10, -1.0 :: v_dual_mov_b32 v11, v2
	s_and_saveexec_b32 s37, s3
	s_cbranch_execz .LBB65_18
; %bb.8:                                ;   in Loop: Header=BB65_7 Depth=1
	v_dual_mov_b32 v10, -1.0 :: v_dual_mov_b32 v11, 0
	v_mov_b32_e32 v1, v0
	s_cmp_lg_u32 s36, 0
	s_mov_b32 s39, 0
	s_cselect_b32 s38, -1, 0
	s_branch .LBB65_10
.LBB65_9:                               ;   in Loop: Header=BB65_10 Depth=2
	s_or_b32 exec_lo, exec_lo, s8
	v_add_nc_u32_e32 v1, 0x100, v1
	s_delay_alu instid0(VALU_DEP_1) | instskip(SKIP_1) | instid1(SALU_CYCLE_1)
	v_cmp_le_i32_e32 vcc_lo, s24, v1
	s_or_b32 s39, vcc_lo, s39
	s_and_not1_b32 exec_lo, exec_lo, s39
	s_cbranch_execz .LBB65_17
.LBB65_10:                              ;   Parent Loop BB65_7 Depth=1
                                        ; =>  This Loop Header: Depth=2
                                        ;       Child Loop BB65_14 Depth 3
	v_add_nc_u32_e32 v12, s33, v1
	s_delay_alu instid0(VALU_DEP_1) | instskip(NEXT) | instid1(VALU_DEP_1)
	v_ashrrev_i32_e32 v13, 31, v12
	v_lshlrev_b64 v[12:13], 2, v[12:13]
	s_delay_alu instid0(VALU_DEP_1) | instskip(NEXT) | instid1(VALU_DEP_2)
	v_add_co_u32 v12, vcc_lo, s16, v12
	v_add_co_ci_u32_e32 v13, vcc_lo, s17, v13, vcc_lo
	s_and_not1_b32 vcc_lo, exec_lo, s35
	global_load_b32 v12, v[12:13], off
	s_cbranch_vccnz .LBB65_12
; %bb.11:                               ;   in Loop: Header=BB65_10 Depth=2
	v_lshlrev_b64 v[13:14], 2, v[1:2]
	s_delay_alu instid0(VALU_DEP_1) | instskip(NEXT) | instid1(VALU_DEP_2)
	v_add_co_u32 v13, vcc_lo, s12, v13
	v_add_co_ci_u32_e32 v14, vcc_lo, s13, v14, vcc_lo
	global_load_b32 v13, v[13:14], off
	s_waitcnt vmcnt(0)
	v_add_f32_e32 v12, v12, v13
.LBB65_12:                              ;   in Loop: Header=BB65_10 Depth=2
	v_mov_b32_e32 v13, v1
	s_and_not1_b32 vcc_lo, exec_lo, s38
	s_cbranch_vccnz .LBB65_15
; %bb.13:                               ;   in Loop: Header=BB65_10 Depth=2
	s_mov_b32 s7, 0
	s_mov_b64 s[8:9], s[28:29]
.LBB65_14:                              ;   Parent Loop BB65_7 Depth=1
                                        ;     Parent Loop BB65_10 Depth=2
                                        ; =>    This Inner Loop Header: Depth=3
	global_load_b32 v14, v2, s[8:9]
	s_add_i32 s7, s7, 1
	s_add_u32 s8, s8, 8
	s_addc_u32 s9, s9, 0
	s_cmp_ge_u32 s7, s36
	s_waitcnt vmcnt(0)
	v_cmp_eq_u32_e32 vcc_lo, v1, v14
	v_dual_cndmask_b32 v13, v13, v11 :: v_dual_cndmask_b32 v12, v12, v10
	s_cbranch_scc0 .LBB65_14
.LBB65_15:                              ;   in Loop: Header=BB65_10 Depth=2
	s_mov_b32 s8, exec_lo
	s_waitcnt vmcnt(0)
	s_delay_alu instid0(VALU_DEP_1)
	v_cmpx_ngt_f32_e32 v10, v12
	s_cbranch_execz .LBB65_9
; %bb.16:                               ;   in Loop: Header=BB65_10 Depth=2
	v_cmp_eq_f32_e32 vcc_lo, v12, v10
	v_cmp_lt_i32_e64 s7, v11, v13
	s_delay_alu instid0(VALU_DEP_1)
	s_and_b32 vcc_lo, vcc_lo, s7
	v_dual_cndmask_b32 v10, v12, v10 :: v_dual_cndmask_b32 v11, v13, v11
	s_branch .LBB65_9
.LBB65_17:                              ;   in Loop: Header=BB65_7 Depth=1
	s_or_b32 exec_lo, exec_lo, s39
.LBB65_18:                              ;   in Loop: Header=BB65_7 Depth=1
	s_delay_alu instid0(SALU_CYCLE_1) | instskip(NEXT) | instid1(VALU_DEP_1)
	s_or_b32 exec_lo, exec_lo, s37
	v_mov_b32_dpp v1, v10 quad_perm:[1,0,3,2] row_mask:0xf bank_mask:0xf
	v_mov_b32_dpp v12, v11 quad_perm:[1,0,3,2] row_mask:0xf bank_mask:0xf
	s_delay_alu instid0(VALU_DEP_2) | instskip(NEXT) | instid1(VALU_DEP_2)
	v_cmp_eq_f32_e32 vcc_lo, v10, v1
	v_cmp_lt_i32_e64 s7, v11, v12
	s_delay_alu instid0(VALU_DEP_1) | instskip(SKIP_2) | instid1(VALU_DEP_2)
	s_and_b32 vcc_lo, vcc_lo, s7
	v_cmp_gt_f32_e64 s7, v10, v1
	v_cndmask_b32_e32 v13, v1, v10, vcc_lo
	s_or_b32 vcc_lo, s7, vcc_lo
	s_delay_alu instid0(VALU_DEP_1) | instskip(SKIP_1) | instid1(VALU_DEP_2)
	v_cndmask_b32_e64 v1, v13, v10, s7
	v_cndmask_b32_e32 v10, v12, v11, vcc_lo
	v_mov_b32_dpp v11, v1 quad_perm:[2,3,0,1] row_mask:0xf bank_mask:0xf
	s_delay_alu instid0(VALU_DEP_2) | instskip(NEXT) | instid1(VALU_DEP_2)
	v_mov_b32_dpp v12, v10 quad_perm:[2,3,0,1] row_mask:0xf bank_mask:0xf
	v_cmp_eq_f32_e32 vcc_lo, v1, v11
	s_delay_alu instid0(VALU_DEP_2) | instskip(NEXT) | instid1(VALU_DEP_1)
	v_cmp_lt_i32_e64 s7, v10, v12
	s_and_b32 vcc_lo, vcc_lo, s7
	v_cmp_gt_f32_e64 s7, v1, v11
	v_cndmask_b32_e32 v13, v11, v1, vcc_lo
	s_delay_alu instid0(VALU_DEP_2) | instskip(SKIP_1) | instid1(VALU_DEP_2)
	s_or_b32 vcc_lo, s7, vcc_lo
	v_cndmask_b32_e32 v10, v12, v10, vcc_lo
	v_cndmask_b32_e64 v1, v13, v1, s7
	s_delay_alu instid0(VALU_DEP_2) | instskip(NEXT) | instid1(VALU_DEP_2)
	v_mov_b32_dpp v12, v10 row_ror:4 row_mask:0xf bank_mask:0xf
	v_mov_b32_dpp v11, v1 row_ror:4 row_mask:0xf bank_mask:0xf
	s_delay_alu instid0(VALU_DEP_2) | instskip(NEXT) | instid1(VALU_DEP_2)
	v_cmp_lt_i32_e64 s7, v10, v12
	v_cmp_eq_f32_e32 vcc_lo, v1, v11
	s_delay_alu instid0(VALU_DEP_2) | instskip(SKIP_2) | instid1(VALU_DEP_2)
	s_and_b32 vcc_lo, vcc_lo, s7
	v_cmp_gt_f32_e64 s7, v1, v11
	v_cndmask_b32_e32 v13, v11, v1, vcc_lo
	s_or_b32 vcc_lo, s7, vcc_lo
	v_cndmask_b32_e32 v10, v12, v10, vcc_lo
	s_delay_alu instid0(VALU_DEP_2) | instskip(NEXT) | instid1(VALU_DEP_2)
	v_cndmask_b32_e64 v1, v13, v1, s7
	v_mov_b32_dpp v12, v10 row_ror:8 row_mask:0xf bank_mask:0xf
	s_delay_alu instid0(VALU_DEP_2) | instskip(NEXT) | instid1(VALU_DEP_2)
	v_mov_b32_dpp v11, v1 row_ror:8 row_mask:0xf bank_mask:0xf
	v_cmp_lt_i32_e64 s7, v10, v12
	s_delay_alu instid0(VALU_DEP_2) | instskip(NEXT) | instid1(VALU_DEP_2)
	v_cmp_eq_f32_e32 vcc_lo, v1, v11
	s_and_b32 vcc_lo, vcc_lo, s7
	v_cmp_gt_f32_e64 s7, v1, v11
	v_cndmask_b32_e32 v13, v11, v1, vcc_lo
	s_delay_alu instid0(VALU_DEP_2) | instskip(SKIP_1) | instid1(VALU_DEP_2)
	s_or_b32 vcc_lo, s7, vcc_lo
	v_cndmask_b32_e32 v10, v12, v10, vcc_lo
	v_cndmask_b32_e64 v1, v13, v1, s7
	ds_swizzle_b32 v12, v10 offset:swizzle(BROADCAST,32,15)
	ds_swizzle_b32 v11, v1 offset:swizzle(BROADCAST,32,15)
	s_waitcnt lgkmcnt(1)
	v_cmp_lt_i32_e64 s7, v10, v12
	s_waitcnt lgkmcnt(0)
	v_cmp_eq_f32_e32 vcc_lo, v1, v11
	s_delay_alu instid0(VALU_DEP_2) | instskip(SKIP_2) | instid1(VALU_DEP_2)
	s_and_b32 vcc_lo, vcc_lo, s7
	v_cmp_gt_f32_e64 s7, v1, v11
	v_cndmask_b32_e32 v13, v11, v1, vcc_lo
	s_or_b32 vcc_lo, s7, vcc_lo
	s_delay_alu instid0(VALU_DEP_1)
	v_cndmask_b32_e64 v11, v13, v1, s7
	v_cndmask_b32_e32 v1, v12, v10, vcc_lo
	ds_bpermute_b32 v10, v4, v11
	ds_bpermute_b32 v1, v4, v1
	s_and_saveexec_b32 s7, s4
	s_cbranch_execz .LBB65_20
; %bb.19:                               ;   in Loop: Header=BB65_7 Depth=1
	s_waitcnt lgkmcnt(0)
	ds_store_2addr_b32 v5, v1, v10 offset1:1
.LBB65_20:                              ;   in Loop: Header=BB65_7 Depth=1
	s_or_b32 exec_lo, exec_lo, s7
	s_waitcnt lgkmcnt(0)
	s_waitcnt_vscnt null, 0x0
	s_barrier
	buffer_gl0_inv
	s_and_saveexec_b32 s9, s5
	s_cbranch_execz .LBB65_22
; %bb.21:                               ;   in Loop: Header=BB65_7 Depth=1
	ds_load_2addr_b32 v[10:11], v6 offset1:1
	s_waitcnt lgkmcnt(0)
	ds_bpermute_b32 v1, v7, v11
	ds_bpermute_b32 v12, v7, v10
	s_waitcnt lgkmcnt(1)
	v_cmp_eq_f32_e32 vcc_lo, v11, v1
	s_waitcnt lgkmcnt(0)
	v_cmp_lt_i32_e64 s7, v12, v10
	v_cmp_lt_f32_e64 s8, v11, v1
	s_delay_alu instid0(VALU_DEP_2)
	s_and_b32 s7, vcc_lo, s7
	s_delay_alu instid0(VALU_DEP_1) | instid1(SALU_CYCLE_1)
	s_or_b32 vcc_lo, s8, s7
	v_dual_cndmask_b32 v1, v11, v1 :: v_dual_cndmask_b32 v10, v10, v12
	ds_bpermute_b32 v11, v8, v1
	ds_bpermute_b32 v12, v8, v10
	s_waitcnt lgkmcnt(1)
	v_cmp_eq_f32_e32 vcc_lo, v1, v11
	s_waitcnt lgkmcnt(0)
	v_cmp_lt_i32_e64 s7, v12, v10
	v_cmp_lt_f32_e64 s8, v1, v11
	s_delay_alu instid0(VALU_DEP_2)
	s_and_b32 s7, vcc_lo, s7
	s_delay_alu instid0(VALU_DEP_1) | instid1(SALU_CYCLE_1)
	s_or_b32 vcc_lo, s8, s7
	v_dual_cndmask_b32 v1, v1, v11 :: v_dual_cndmask_b32 v10, v10, v12
	ds_bpermute_b32 v11, v9, v1
	ds_bpermute_b32 v12, v9, v10
	s_waitcnt lgkmcnt(1)
	v_cmp_eq_f32_e32 vcc_lo, v1, v11
	s_waitcnt lgkmcnt(0)
	v_cmp_lt_i32_e64 s7, v12, v10
	v_cmp_lt_f32_e64 s8, v1, v11
	s_delay_alu instid0(VALU_DEP_2)
	s_and_b32 s7, vcc_lo, s7
	s_delay_alu instid0(VALU_DEP_1) | instid1(SALU_CYCLE_1)
	s_or_b32 vcc_lo, s8, s7
	v_cndmask_b32_e32 v1, v10, v12, vcc_lo
.LBB65_22:                              ;   in Loop: Header=BB65_7 Depth=1
	s_or_b32 exec_lo, exec_lo, s9
	s_mov_b32 s37, -1
	s_mov_b32 s9, -1
                                        ; implicit-def: $sgpr7
	s_and_saveexec_b32 s38, s6
	s_cbranch_execz .LBB65_26
; %bb.23:                               ;   in Loop: Header=BB65_7 Depth=1
	v_add_nc_u32_e32 v10, s33, v1
	v_cmp_gt_i32_e64 s7, s27, v1
	s_add_i32 s40, s36, s18
	s_mov_b32 s39, 0
	s_ashr_i32 s41, s40, 31
	v_ashrrev_i32_e32 v11, 31, v10
	s_lshl_b64 s[8:9], s[40:41], 2
	s_delay_alu instid0(VALU_DEP_1) | instskip(NEXT) | instid1(VALU_DEP_1)
	v_lshlrev_b64 v[10:11], 2, v[10:11]
	v_add_co_u32 v10, vcc_lo, s16, v10
	s_delay_alu instid0(VALU_DEP_2) | instskip(SKIP_4) | instid1(SALU_CYCLE_1)
	v_add_co_ci_u32_e32 v11, vcc_lo, s17, v11, vcc_lo
	v_cmp_le_i32_e32 vcc_lo, s26, v1
	v_subrev_nc_u32_e32 v1, s26, v1
	global_load_b32 v10, v[10:11], off
	s_and_b32 s7, vcc_lo, s7
	s_and_b32 vcc_lo, s30, s7
	s_add_u32 s42, s20, s8
	v_cndmask_b32_e32 v11, s24, v1, vcc_lo
	s_addc_u32 s43, s21, s9
	s_lshl_b64 s[40:41], s[40:41], 3
	s_mov_b32 s7, exec_lo
	s_add_u32 s40, s22, s40
	v_ashrrev_i32_e32 v12, 31, v11
	s_addc_u32 s41, s23, s41
	s_waitcnt vmcnt(0)
	s_clause 0x1
	global_store_b32 v2, v10, s[42:43]
	global_store_b64 v2, v[11:12], s[40:41]
	v_cmpx_lt_i32_e32 -1, v11
	s_cbranch_execz .LBB65_25
; %bb.24:                               ;   in Loop: Header=BB65_7 Depth=1
	s_mul_i32 s40, s36, s31
	s_mov_b32 s39, exec_lo
	s_add_i32 s40, s40, s15
	s_delay_alu instid0(SALU_CYCLE_1) | instskip(SKIP_2) | instid1(VALU_DEP_1)
	v_dual_add_f32 v1, v3, v10 :: v_dual_mov_b32 v10, s40
	s_add_u32 s8, s10, s8
	s_addc_u32 s9, s11, s9
	v_cndmask_b32_e64 v3, v3, v1, s2
	global_store_b32 v2, v10, s[8:9]
.LBB65_25:                              ;   in Loop: Header=BB65_7 Depth=1
	s_or_b32 exec_lo, exec_lo, s7
	s_mov_b32 s7, -1
	s_or_not1_b32 s9, s39, exec_lo
.LBB65_26:                              ;   in Loop: Header=BB65_7 Depth=1
	s_or_b32 exec_lo, exec_lo, s38
	s_and_saveexec_b32 s8, s9
	s_cbranch_execz .LBB65_6
; %bb.27:                               ;   in Loop: Header=BB65_7 Depth=1
	s_add_i32 s36, s36, 1
	s_waitcnt_vscnt null, 0x0
	s_cmp_eq_u32 s36, s25
	s_barrier
	s_cselect_b32 s9, -1, 0
	s_and_not1_b32 s7, s7, exec_lo
	s_or_not1_b32 s37, s9, exec_lo
	buffer_gl0_inv
	s_branch .LBB65_6
.LBB65_28:
	s_or_b32 exec_lo, exec_lo, s34
	s_mov_b32 s4, -1
.LBB65_29:
	s_and_saveexec_b32 s5, s19
	s_cbranch_execnz .LBB65_32
; %bb.30:
	s_or_b32 exec_lo, exec_lo, s5
	s_and_saveexec_b32 s2, s4
	s_cbranch_execnz .LBB65_37
.LBB65_31:
	s_nop 0
	s_sendmsg sendmsg(MSG_DEALLOC_VGPRS)
	s_endpgm
.LBB65_32:
	v_cmp_eq_u32_e32 vcc_lo, 0, v0
	s_and_b32 s2, vcc_lo, s2
	s_delay_alu instid0(SALU_CYCLE_1)
	s_and_saveexec_b32 s6, s2
	s_cbranch_execz .LBB65_36
; %bb.33:
	s_and_not1_b32 vcc_lo, exec_lo, s14
	s_cbranch_vccnz .LBB65_36
; %bb.34:
	v_cmp_lt_f32_e32 vcc_lo, 0, v3
	s_mul_i32 s2, s15, s25
	v_mov_b32_e32 v1, 0
	s_ashr_i32 s3, s2, 31
	v_cndmask_b32_e32 v0, 1.0, v3, vcc_lo
	s_lshl_b64 s[2:3], s[2:3], 2
	s_delay_alu instid0(SALU_CYCLE_1)
	s_add_u32 s2, s20, s2
	s_addc_u32 s3, s21, s3
	.p2align	6
.LBB65_35:                              ; =>This Inner Loop Header: Depth=1
	global_load_b32 v2, v1, s[2:3]
	s_add_i32 s25, s25, -1
	s_waitcnt vmcnt(0)
	v_div_scale_f32 v3, null, v0, v0, v2
	v_div_scale_f32 v6, vcc_lo, v2, v0, v2
	s_delay_alu instid0(VALU_DEP_2) | instskip(SKIP_2) | instid1(VALU_DEP_1)
	v_rcp_f32_e32 v4, v3
	s_waitcnt_depctr 0xfff
	v_fma_f32 v5, -v3, v4, 1.0
	v_fmac_f32_e32 v4, v5, v4
	s_delay_alu instid0(VALU_DEP_1) | instskip(NEXT) | instid1(VALU_DEP_1)
	v_mul_f32_e32 v5, v6, v4
	v_fma_f32 v7, -v3, v5, v6
	s_delay_alu instid0(VALU_DEP_1) | instskip(NEXT) | instid1(VALU_DEP_1)
	v_fmac_f32_e32 v5, v7, v4
	v_fma_f32 v3, -v3, v5, v6
	s_delay_alu instid0(VALU_DEP_1) | instskip(NEXT) | instid1(VALU_DEP_1)
	v_div_fmas_f32 v3, v3, v4, v5
	v_div_fixup_f32 v2, v3, v0, v2
	global_store_b32 v1, v2, s[2:3]
	s_add_u32 s2, s2, 4
	s_addc_u32 s3, s3, 0
	s_cmp_lg_u32 s25, 0
	s_cbranch_scc1 .LBB65_35
.LBB65_36:
	s_or_b32 exec_lo, exec_lo, s6
	s_delay_alu instid0(SALU_CYCLE_1)
	s_and_not1_b32 s4, s4, exec_lo
	s_or_b32 exec_lo, exec_lo, s5
	s_and_saveexec_b32 s2, s4
	s_cbranch_execz .LBB65_31
.LBB65_37:
	s_add_u32 s8, s0, 0x48
	s_addc_u32 s9, s1, 0
	s_getpc_b64 s[0:1]
	s_add_u32 s0, s0, __PRETTY_FUNCTION__._ZN4vllm3moe7moeTopKILi256ElEEvPKfPKbPfPT0_PiiiiibS3_@rel32@lo+4
	s_addc_u32 s1, s1, __PRETTY_FUNCTION__._ZN4vllm3moe7moeTopKILi256ElEEvPKfPKbPfPT0_PiiiiibS3_@rel32@hi+12
	s_delay_alu instid0(SALU_CYCLE_1) | instskip(SKIP_3) | instid1(SALU_CYCLE_1)
	v_dual_mov_b32 v0, s0 :: v_dual_mov_b32 v1, s1
	s_getpc_b64 s[2:3]
	s_add_u32 s2, s2, __assert_fail@rel32@lo+4
	s_addc_u32 s3, s3, __assert_fail@rel32@hi+12
	s_swappc_b64 s[30:31], s[2:3]
	; divergent unreachable
	s_endpgm
	.section	.rodata,"a",@progbits
	.p2align	6, 0x0
	.amdhsa_kernel _ZN4vllm3moe7moeTopKILi256ElEEvPKfPKbPfPT0_PiiiiibS3_
		.amdhsa_group_segment_fixed_size 64
		.amdhsa_private_segment_fixed_size 64
		.amdhsa_kernarg_size 328
		.amdhsa_user_sgpr_count 15
		.amdhsa_user_sgpr_dispatch_ptr 0
		.amdhsa_user_sgpr_queue_ptr 0
		.amdhsa_user_sgpr_kernarg_segment_ptr 1
		.amdhsa_user_sgpr_dispatch_id 0
		.amdhsa_user_sgpr_private_segment_size 0
		.amdhsa_wavefront_size32 1
		.amdhsa_uses_dynamic_stack 0
		.amdhsa_enable_private_segment 1
		.amdhsa_system_sgpr_workgroup_id_x 1
		.amdhsa_system_sgpr_workgroup_id_y 0
		.amdhsa_system_sgpr_workgroup_id_z 0
		.amdhsa_system_sgpr_workgroup_info 0
		.amdhsa_system_vgpr_workitem_id 0
		.amdhsa_next_free_vgpr 41
		.amdhsa_next_free_sgpr 44
		.amdhsa_reserve_vcc 1
		.amdhsa_float_round_mode_32 0
		.amdhsa_float_round_mode_16_64 0
		.amdhsa_float_denorm_mode_32 3
		.amdhsa_float_denorm_mode_16_64 3
		.amdhsa_dx10_clamp 1
		.amdhsa_ieee_mode 1
		.amdhsa_fp16_overflow 0
		.amdhsa_workgroup_processor_mode 1
		.amdhsa_memory_ordered 1
		.amdhsa_forward_progress 0
		.amdhsa_shared_vgpr_count 0
		.amdhsa_exception_fp_ieee_invalid_op 0
		.amdhsa_exception_fp_denorm_src 0
		.amdhsa_exception_fp_ieee_div_zero 0
		.amdhsa_exception_fp_ieee_overflow 0
		.amdhsa_exception_fp_ieee_underflow 0
		.amdhsa_exception_fp_ieee_inexact 0
		.amdhsa_exception_int_div_zero 0
	.end_amdhsa_kernel
	.section	.text._ZN4vllm3moe7moeTopKILi256ElEEvPKfPKbPfPT0_PiiiiibS3_,"axG",@progbits,_ZN4vllm3moe7moeTopKILi256ElEEvPKfPKbPfPT0_PiiiiibS3_,comdat
.Lfunc_end65:
	.size	_ZN4vllm3moe7moeTopKILi256ElEEvPKfPKbPfPT0_PiiiiibS3_, .Lfunc_end65-_ZN4vllm3moe7moeTopKILi256ElEEvPKfPKbPfPT0_PiiiiibS3_
                                        ; -- End function
	.section	.AMDGPU.csdata,"",@progbits
; Kernel info:
; codeLenInByte = 1996
; NumSgprs: 46
; NumVgprs: 41
; ScratchSize: 64
; MemoryBound: 0
; FloatMode: 240
; IeeeMode: 1
; LDSByteSize: 64 bytes/workgroup (compile time only)
; SGPRBlocks: 5
; VGPRBlocks: 5
; NumSGPRsForWavesPerEU: 46
; NumVGPRsForWavesPerEU: 41
; Occupancy: 16
; WaveLimiterHint : 1
; COMPUTE_PGM_RSRC2:SCRATCH_EN: 1
; COMPUTE_PGM_RSRC2:USER_SGPR: 15
; COMPUTE_PGM_RSRC2:TRAP_HANDLER: 0
; COMPUTE_PGM_RSRC2:TGID_X_EN: 1
; COMPUTE_PGM_RSRC2:TGID_Y_EN: 0
; COMPUTE_PGM_RSRC2:TGID_Z_EN: 0
; COMPUTE_PGM_RSRC2:TIDIG_COMP_CNT: 0
	.section	.text._ZN4vllm3moe10topkGatingILi1ELi1ELi4ELi2ELi64Ei6__halfLNS0_11ScoringFuncE0EEEvPKT5_PKbPfiPT4_PiiiibPKf,"axG",@progbits,_ZN4vllm3moe10topkGatingILi1ELi1ELi4ELi2ELi64Ei6__halfLNS0_11ScoringFuncE0EEEvPKT5_PKbPfiPT4_PiiiibPKf,comdat
	.protected	_ZN4vllm3moe10topkGatingILi1ELi1ELi4ELi2ELi64Ei6__halfLNS0_11ScoringFuncE0EEEvPKT5_PKbPfiPT4_PiiiibPKf ; -- Begin function _ZN4vllm3moe10topkGatingILi1ELi1ELi4ELi2ELi64Ei6__halfLNS0_11ScoringFuncE0EEEvPKT5_PKbPfiPT4_PiiiibPKf
	.globl	_ZN4vllm3moe10topkGatingILi1ELi1ELi4ELi2ELi64Ei6__halfLNS0_11ScoringFuncE0EEEvPKT5_PKbPfiPT4_PiiiibPKf
	.p2align	8
	.type	_ZN4vllm3moe10topkGatingILi1ELi1ELi4ELi2ELi64Ei6__halfLNS0_11ScoringFuncE0EEEvPKT5_PKbPfiPT4_PiiiibPKf,@function
_ZN4vllm3moe10topkGatingILi1ELi1ELi4ELi2ELi64Ei6__halfLNS0_11ScoringFuncE0EEEvPKT5_PKbPfiPT4_PiiiibPKf: ; @_ZN4vllm3moe10topkGatingILi1ELi1ELi4ELi2ELi64Ei6__halfLNS0_11ScoringFuncE0EEEvPKT5_PKbPfiPT4_PiiiibPKf
; %bb.0:
	s_load_b32 s3, s[0:1], 0x18
	v_bfe_u32 v1, v0, 10, 10
	v_and_b32_e32 v0, 0x3ff, v0
	s_lshl_b32 s2, s15, 8
	s_delay_alu instid0(VALU_DEP_2) | instskip(NEXT) | instid1(VALU_DEP_1)
	v_lshlrev_b32_e32 v1, 6, v1
	v_add3_u32 v0, v1, v0, s2
	s_mov_b32 s2, exec_lo
	s_waitcnt lgkmcnt(0)
	s_delay_alu instid0(VALU_DEP_1)
	v_cmpx_gt_i32_e64 s3, v0
	s_cbranch_execz .LBB66_12
; %bb.1:
	s_clause 0x1
	s_load_b128 s[8:11], s[0:1], 0x0
	s_load_b64 s[12:13], s[0:1], 0x10
	v_ashrrev_i32_e32 v1, 31, v0
	s_waitcnt lgkmcnt(0)
	s_cmp_eq_u64 s[10:11], 0
	s_cbranch_scc1 .LBB66_3
; %bb.2:
	v_add_co_u32 v2, vcc_lo, s10, v0
	v_add_co_ci_u32_e32 v3, vcc_lo, s11, v1, vcc_lo
	global_load_u8 v2, v[2:3], off
	s_waitcnt vmcnt(0)
	v_and_b32_e32 v2, 1, v2
	s_delay_alu instid0(VALU_DEP_1) | instskip(SKIP_1) | instid1(SALU_CYCLE_1)
	v_cmp_eq_u32_e32 vcc_lo, 1, v2
	s_xor_b32 s2, vcc_lo, -1
	s_or_not1_b32 s10, s2, exec_lo
	s_branch .LBB66_4
.LBB66_3:
	s_mov_b32 s10, -1
.LBB66_4:
	s_load_b128 s[4:7], s[0:1], 0x30
	s_waitcnt lgkmcnt(0)
	s_bitcmp1_b32 s7, 0
	s_cselect_b32 s2, -1, 0
	s_cmp_gt_i32 s4, 0
	s_cselect_b32 s7, -1, 0
	s_cmp_lt_i32 s4, 1
	s_cbranch_scc1 .LBB66_8
; %bb.5:
	v_lshlrev_b64 v[1:2], 1, v[0:1]
	s_load_b128 s[16:19], s[0:1], 0x20
	s_cmp_lt_i32 s5, 1
	v_mov_b32_e32 v7, 0
	s_cselect_b32 s0, -1, 0
	s_cmp_gt_i32 s6, 0
	v_add_co_u32 v1, vcc_lo, s8, v1
	v_add_co_ci_u32_e32 v2, vcc_lo, s9, v2, vcc_lo
	s_cselect_b32 s1, -1, 0
	s_sub_i32 s5, 0, s5
	s_and_b32 s0, s0, s1
	global_load_u16 v1, v[1:2], off
	s_and_b32 s0, s10, s0
	s_waitcnt vmcnt(0)
	v_cvt_f32_f16_e32 v1, v1
	s_delay_alu instid0(VALU_DEP_1) | instskip(NEXT) | instid1(VALU_DEP_1)
	v_sub_f32_e32 v1, v1, v1
	v_mul_f32_e32 v2, 0x3fb8aa3b, v1
	s_delay_alu instid0(VALU_DEP_1) | instskip(SKIP_1) | instid1(VALU_DEP_1)
	v_fma_f32 v3, 0x3fb8aa3b, v1, -v2
	v_rndne_f32_e32 v4, v2
	v_sub_f32_e32 v2, v2, v4
	v_cmp_ngt_f32_e32 vcc_lo, 0xc2ce8ed0, v1
	s_delay_alu instid0(VALU_DEP_4) | instskip(NEXT) | instid1(VALU_DEP_1)
	v_fmamk_f32 v3, v1, 0x32a5705f, v3
	v_add_f32_e32 v2, v2, v3
	v_cvt_i32_f32_e32 v3, v4
	s_delay_alu instid0(VALU_DEP_2) | instskip(SKIP_2) | instid1(VALU_DEP_1)
	v_exp_f32_e32 v2, v2
	s_waitcnt_depctr 0xfff
	v_ldexp_f32 v2, v2, v3
	v_cndmask_b32_e32 v2, 0, v2, vcc_lo
	v_cmp_nlt_f32_e32 vcc_lo, 0x42b17218, v1
	s_delay_alu instid0(VALU_DEP_2) | instskip(NEXT) | instid1(VALU_DEP_1)
	v_cndmask_b32_e32 v9, 0x7f800000, v2, vcc_lo
	v_div_scale_f32 v3, null, v9, v9, 1.0
	s_delay_alu instid0(VALU_DEP_1) | instskip(SKIP_2) | instid1(VALU_DEP_1)
	v_rcp_f32_e32 v4, v3
	s_waitcnt_depctr 0xfff
	v_fma_f32 v1, -v3, v4, 1.0
	v_fmac_f32_e32 v4, v1, v4
	v_div_scale_f32 v8, vcc_lo, 1.0, v9, 1.0
	v_mul_lo_u32 v1, v0, s4
	s_delay_alu instid0(VALU_DEP_2) | instskip(NEXT) | instid1(VALU_DEP_1)
	v_mul_f32_e32 v10, v8, v4
	v_fma_f32 v5, -v3, v10, v8
	s_delay_alu instid0(VALU_DEP_3) | instskip(NEXT) | instid1(VALU_DEP_2)
	v_ashrrev_i32_e32 v2, 31, v1
	v_fmac_f32_e32 v10, v5, v4
	s_delay_alu instid0(VALU_DEP_2) | instskip(NEXT) | instid1(VALU_DEP_2)
	v_lshlrev_b64 v[5:6], 2, v[1:2]
	v_fma_f32 v1, -v3, v10, v8
	v_cndmask_b32_e64 v8, 1, s5, s0
	s_mov_b32 s0, s4
	s_delay_alu instid0(VALU_DEP_2) | instskip(NEXT) | instid1(VALU_DEP_4)
	v_div_fmas_f32 v3, v1, v4, v10
	v_add_co_u32 v1, vcc_lo, s12, v5
	v_add_co_ci_u32_e32 v2, vcc_lo, s13, v6, vcc_lo
	s_delay_alu instid0(VALU_DEP_3) | instskip(SKIP_3) | instid1(VALU_DEP_3)
	v_div_fixup_f32 v10, v3, v9, 1.0
	s_waitcnt lgkmcnt(0)
	v_add_co_u32 v3, vcc_lo, s16, v5
	v_add_co_ci_u32_e32 v4, vcc_lo, s17, v6, vcc_lo
	v_mul_f32_e32 v9, v9, v10
	v_add_co_u32 v5, vcc_lo, s18, v5
	v_add_co_ci_u32_e32 v6, vcc_lo, s19, v6, vcc_lo
	s_delay_alu instid0(VALU_DEP_3)
	v_cmp_class_f32_e64 vcc_lo, v9, 0x1f8
	v_dual_mov_b32 v10, v0 :: v_dual_cndmask_b32 v9, 0, v9
	.p2align	6
.LBB66_6:                               ; =>This Inner Loop Header: Depth=1
	global_store_b32 v[1:2], v9, off
	global_store_b32 v[3:4], v8, off
	;; [unrolled: 1-line block ×3, first 2 shown]
	v_add_co_u32 v1, vcc_lo, v1, 4
	v_add_co_ci_u32_e32 v2, vcc_lo, 0, v2, vcc_lo
	v_dual_add_f32 v11, v7, v9 :: v_dual_add_nc_u32 v10, s3, v10
	v_add_co_u32 v3, vcc_lo, v3, 4
	v_add_co_ci_u32_e32 v4, vcc_lo, 0, v4, vcc_lo
	v_add_co_u32 v5, vcc_lo, v5, 4
	s_delay_alu instid0(VALU_DEP_4) | instskip(SKIP_2) | instid1(SALU_CYCLE_1)
	v_cndmask_b32_e64 v7, v7, v11, s2
	v_add_co_ci_u32_e32 v6, vcc_lo, 0, v6, vcc_lo
	s_add_i32 s0, s0, -1
	s_cmp_lg_u32 s0, 0
	s_cbranch_scc1 .LBB66_6
; %bb.7:
	s_and_not1_b32 vcc_lo, exec_lo, s2
	s_cbranch_vccz .LBB66_9
	s_branch .LBB66_12
.LBB66_8:
	v_mov_b32_e32 v7, 0
	s_and_not1_b32 vcc_lo, exec_lo, s2
	s_cbranch_vccnz .LBB66_12
.LBB66_9:
	s_and_not1_b32 vcc_lo, exec_lo, s7
	s_cbranch_vccnz .LBB66_12
; %bb.10:
	v_mul_lo_u32 v0, v0, s4
	v_cmp_lt_f32_e32 vcc_lo, 0, v7
	v_cndmask_b32_e32 v2, 1.0, v7, vcc_lo
	s_delay_alu instid0(VALU_DEP_3) | instskip(NEXT) | instid1(VALU_DEP_1)
	v_ashrrev_i32_e32 v1, 31, v0
	v_lshlrev_b64 v[0:1], 2, v[0:1]
	s_delay_alu instid0(VALU_DEP_1) | instskip(NEXT) | instid1(VALU_DEP_2)
	v_add_co_u32 v0, vcc_lo, s12, v0
	v_add_co_ci_u32_e32 v1, vcc_lo, s13, v1, vcc_lo
	.p2align	6
.LBB66_11:                              ; =>This Inner Loop Header: Depth=1
	global_load_b32 v3, v[0:1], off
	s_add_i32 s4, s4, -1
	s_delay_alu instid0(SALU_CYCLE_1) | instskip(SKIP_3) | instid1(VALU_DEP_2)
	s_cmp_lg_u32 s4, 0
	s_waitcnt vmcnt(0)
	v_div_scale_f32 v4, null, v2, v2, v3
	v_div_scale_f32 v7, vcc_lo, v3, v2, v3
	v_rcp_f32_e32 v5, v4
	s_waitcnt_depctr 0xfff
	v_fma_f32 v6, -v4, v5, 1.0
	s_delay_alu instid0(VALU_DEP_1) | instskip(NEXT) | instid1(VALU_DEP_1)
	v_fmac_f32_e32 v5, v6, v5
	v_mul_f32_e32 v6, v7, v5
	s_delay_alu instid0(VALU_DEP_1) | instskip(NEXT) | instid1(VALU_DEP_1)
	v_fma_f32 v8, -v4, v6, v7
	v_fmac_f32_e32 v6, v8, v5
	s_delay_alu instid0(VALU_DEP_1) | instskip(NEXT) | instid1(VALU_DEP_1)
	v_fma_f32 v4, -v4, v6, v7
	v_div_fmas_f32 v4, v4, v5, v6
	s_delay_alu instid0(VALU_DEP_1)
	v_div_fixup_f32 v3, v4, v2, v3
	global_store_b32 v[0:1], v3, off
	v_add_co_u32 v0, vcc_lo, v0, 4
	v_add_co_ci_u32_e32 v1, vcc_lo, 0, v1, vcc_lo
	s_cbranch_scc1 .LBB66_11
.LBB66_12:
	s_nop 0
	s_sendmsg sendmsg(MSG_DEALLOC_VGPRS)
	s_endpgm
	.section	.rodata,"a",@progbits
	.p2align	6, 0x0
	.amdhsa_kernel _ZN4vllm3moe10topkGatingILi1ELi1ELi4ELi2ELi64Ei6__halfLNS0_11ScoringFuncE0EEEvPKT5_PKbPfiPT4_PiiiibPKf
		.amdhsa_group_segment_fixed_size 0
		.amdhsa_private_segment_fixed_size 0
		.amdhsa_kernarg_size 72
		.amdhsa_user_sgpr_count 15
		.amdhsa_user_sgpr_dispatch_ptr 0
		.amdhsa_user_sgpr_queue_ptr 0
		.amdhsa_user_sgpr_kernarg_segment_ptr 1
		.amdhsa_user_sgpr_dispatch_id 0
		.amdhsa_user_sgpr_private_segment_size 0
		.amdhsa_wavefront_size32 1
		.amdhsa_uses_dynamic_stack 0
		.amdhsa_enable_private_segment 0
		.amdhsa_system_sgpr_workgroup_id_x 1
		.amdhsa_system_sgpr_workgroup_id_y 0
		.amdhsa_system_sgpr_workgroup_id_z 0
		.amdhsa_system_sgpr_workgroup_info 0
		.amdhsa_system_vgpr_workitem_id 1
		.amdhsa_next_free_vgpr 12
		.amdhsa_next_free_sgpr 20
		.amdhsa_reserve_vcc 1
		.amdhsa_float_round_mode_32 0
		.amdhsa_float_round_mode_16_64 0
		.amdhsa_float_denorm_mode_32 3
		.amdhsa_float_denorm_mode_16_64 3
		.amdhsa_dx10_clamp 1
		.amdhsa_ieee_mode 1
		.amdhsa_fp16_overflow 0
		.amdhsa_workgroup_processor_mode 1
		.amdhsa_memory_ordered 1
		.amdhsa_forward_progress 0
		.amdhsa_shared_vgpr_count 0
		.amdhsa_exception_fp_ieee_invalid_op 0
		.amdhsa_exception_fp_denorm_src 0
		.amdhsa_exception_fp_ieee_div_zero 0
		.amdhsa_exception_fp_ieee_overflow 0
		.amdhsa_exception_fp_ieee_underflow 0
		.amdhsa_exception_fp_ieee_inexact 0
		.amdhsa_exception_int_div_zero 0
	.end_amdhsa_kernel
	.section	.text._ZN4vllm3moe10topkGatingILi1ELi1ELi4ELi2ELi64Ei6__halfLNS0_11ScoringFuncE0EEEvPKT5_PKbPfiPT4_PiiiibPKf,"axG",@progbits,_ZN4vllm3moe10topkGatingILi1ELi1ELi4ELi2ELi64Ei6__halfLNS0_11ScoringFuncE0EEEvPKT5_PKbPfiPT4_PiiiibPKf,comdat
.Lfunc_end66:
	.size	_ZN4vllm3moe10topkGatingILi1ELi1ELi4ELi2ELi64Ei6__halfLNS0_11ScoringFuncE0EEEvPKT5_PKbPfiPT4_PiiiibPKf, .Lfunc_end66-_ZN4vllm3moe10topkGatingILi1ELi1ELi4ELi2ELi64Ei6__halfLNS0_11ScoringFuncE0EEEvPKT5_PKbPfiPT4_PiiiibPKf
                                        ; -- End function
	.section	.AMDGPU.csdata,"",@progbits
; Kernel info:
; codeLenInByte = 904
; NumSgprs: 22
; NumVgprs: 12
; ScratchSize: 0
; MemoryBound: 0
; FloatMode: 240
; IeeeMode: 1
; LDSByteSize: 0 bytes/workgroup (compile time only)
; SGPRBlocks: 2
; VGPRBlocks: 1
; NumSGPRsForWavesPerEU: 22
; NumVGPRsForWavesPerEU: 12
; Occupancy: 16
; WaveLimiterHint : 0
; COMPUTE_PGM_RSRC2:SCRATCH_EN: 0
; COMPUTE_PGM_RSRC2:USER_SGPR: 15
; COMPUTE_PGM_RSRC2:TRAP_HANDLER: 0
; COMPUTE_PGM_RSRC2:TGID_X_EN: 1
; COMPUTE_PGM_RSRC2:TGID_Y_EN: 0
; COMPUTE_PGM_RSRC2:TGID_Z_EN: 0
; COMPUTE_PGM_RSRC2:TIDIG_COMP_CNT: 1
	.section	.text._ZN4vllm3moe10topkGatingILi1ELi1ELi4ELi2ELi32Ei6__halfLNS0_11ScoringFuncE0EEEvPKT5_PKbPfiPT4_PiiiibPKf,"axG",@progbits,_ZN4vllm3moe10topkGatingILi1ELi1ELi4ELi2ELi32Ei6__halfLNS0_11ScoringFuncE0EEEvPKT5_PKbPfiPT4_PiiiibPKf,comdat
	.protected	_ZN4vllm3moe10topkGatingILi1ELi1ELi4ELi2ELi32Ei6__halfLNS0_11ScoringFuncE0EEEvPKT5_PKbPfiPT4_PiiiibPKf ; -- Begin function _ZN4vllm3moe10topkGatingILi1ELi1ELi4ELi2ELi32Ei6__halfLNS0_11ScoringFuncE0EEEvPKT5_PKbPfiPT4_PiiiibPKf
	.globl	_ZN4vllm3moe10topkGatingILi1ELi1ELi4ELi2ELi32Ei6__halfLNS0_11ScoringFuncE0EEEvPKT5_PKbPfiPT4_PiiiibPKf
	.p2align	8
	.type	_ZN4vllm3moe10topkGatingILi1ELi1ELi4ELi2ELi32Ei6__halfLNS0_11ScoringFuncE0EEEvPKT5_PKbPfiPT4_PiiiibPKf,@function
_ZN4vllm3moe10topkGatingILi1ELi1ELi4ELi2ELi32Ei6__halfLNS0_11ScoringFuncE0EEEvPKT5_PKbPfiPT4_PiiiibPKf: ; @_ZN4vllm3moe10topkGatingILi1ELi1ELi4ELi2ELi32Ei6__halfLNS0_11ScoringFuncE0EEEvPKT5_PKbPfiPT4_PiiiibPKf
; %bb.0:
	s_load_b32 s3, s[0:1], 0x18
	v_bfe_u32 v1, v0, 10, 10
	v_and_b32_e32 v0, 0x3ff, v0
	s_lshl_b32 s2, s15, 7
	s_delay_alu instid0(VALU_DEP_2) | instskip(NEXT) | instid1(VALU_DEP_1)
	v_lshlrev_b32_e32 v1, 5, v1
	v_add3_u32 v0, v1, v0, s2
	s_mov_b32 s2, exec_lo
	s_waitcnt lgkmcnt(0)
	s_delay_alu instid0(VALU_DEP_1)
	v_cmpx_gt_i32_e64 s3, v0
	s_cbranch_execz .LBB67_12
; %bb.1:
	s_clause 0x1
	s_load_b128 s[8:11], s[0:1], 0x0
	s_load_b64 s[12:13], s[0:1], 0x10
	v_ashrrev_i32_e32 v1, 31, v0
	s_waitcnt lgkmcnt(0)
	s_cmp_eq_u64 s[10:11], 0
	s_cbranch_scc1 .LBB67_3
; %bb.2:
	v_add_co_u32 v2, vcc_lo, s10, v0
	v_add_co_ci_u32_e32 v3, vcc_lo, s11, v1, vcc_lo
	global_load_u8 v2, v[2:3], off
	s_waitcnt vmcnt(0)
	v_and_b32_e32 v2, 1, v2
	s_delay_alu instid0(VALU_DEP_1) | instskip(SKIP_1) | instid1(SALU_CYCLE_1)
	v_cmp_eq_u32_e32 vcc_lo, 1, v2
	s_xor_b32 s2, vcc_lo, -1
	s_or_not1_b32 s10, s2, exec_lo
	s_branch .LBB67_4
.LBB67_3:
	s_mov_b32 s10, -1
.LBB67_4:
	s_load_b128 s[4:7], s[0:1], 0x30
	s_waitcnt lgkmcnt(0)
	s_bitcmp1_b32 s7, 0
	s_cselect_b32 s2, -1, 0
	s_cmp_gt_i32 s4, 0
	s_cselect_b32 s7, -1, 0
	s_cmp_lt_i32 s4, 1
	s_cbranch_scc1 .LBB67_8
; %bb.5:
	v_lshlrev_b64 v[1:2], 1, v[0:1]
	s_load_b128 s[16:19], s[0:1], 0x20
	s_cmp_lt_i32 s5, 1
	v_mov_b32_e32 v7, 0
	s_cselect_b32 s0, -1, 0
	s_cmp_gt_i32 s6, 0
	v_add_co_u32 v1, vcc_lo, s8, v1
	v_add_co_ci_u32_e32 v2, vcc_lo, s9, v2, vcc_lo
	s_cselect_b32 s1, -1, 0
	s_sub_i32 s5, 0, s5
	s_and_b32 s0, s0, s1
	global_load_u16 v1, v[1:2], off
	s_and_b32 s0, s10, s0
	s_waitcnt vmcnt(0)
	v_cvt_f32_f16_e32 v1, v1
	s_delay_alu instid0(VALU_DEP_1) | instskip(NEXT) | instid1(VALU_DEP_1)
	v_sub_f32_e32 v1, v1, v1
	v_mul_f32_e32 v2, 0x3fb8aa3b, v1
	s_delay_alu instid0(VALU_DEP_1) | instskip(SKIP_1) | instid1(VALU_DEP_1)
	v_fma_f32 v3, 0x3fb8aa3b, v1, -v2
	v_rndne_f32_e32 v4, v2
	v_sub_f32_e32 v2, v2, v4
	v_cmp_ngt_f32_e32 vcc_lo, 0xc2ce8ed0, v1
	s_delay_alu instid0(VALU_DEP_4) | instskip(NEXT) | instid1(VALU_DEP_1)
	v_fmamk_f32 v3, v1, 0x32a5705f, v3
	v_add_f32_e32 v2, v2, v3
	v_cvt_i32_f32_e32 v3, v4
	s_delay_alu instid0(VALU_DEP_2) | instskip(SKIP_2) | instid1(VALU_DEP_1)
	v_exp_f32_e32 v2, v2
	s_waitcnt_depctr 0xfff
	v_ldexp_f32 v2, v2, v3
	v_cndmask_b32_e32 v2, 0, v2, vcc_lo
	v_cmp_nlt_f32_e32 vcc_lo, 0x42b17218, v1
	s_delay_alu instid0(VALU_DEP_2) | instskip(NEXT) | instid1(VALU_DEP_1)
	v_cndmask_b32_e32 v9, 0x7f800000, v2, vcc_lo
	v_div_scale_f32 v3, null, v9, v9, 1.0
	s_delay_alu instid0(VALU_DEP_1) | instskip(SKIP_2) | instid1(VALU_DEP_1)
	v_rcp_f32_e32 v4, v3
	s_waitcnt_depctr 0xfff
	v_fma_f32 v1, -v3, v4, 1.0
	v_fmac_f32_e32 v4, v1, v4
	v_div_scale_f32 v8, vcc_lo, 1.0, v9, 1.0
	v_mul_lo_u32 v1, v0, s4
	s_delay_alu instid0(VALU_DEP_2) | instskip(NEXT) | instid1(VALU_DEP_1)
	v_mul_f32_e32 v10, v8, v4
	v_fma_f32 v5, -v3, v10, v8
	s_delay_alu instid0(VALU_DEP_3) | instskip(NEXT) | instid1(VALU_DEP_2)
	v_ashrrev_i32_e32 v2, 31, v1
	v_fmac_f32_e32 v10, v5, v4
	s_delay_alu instid0(VALU_DEP_2) | instskip(NEXT) | instid1(VALU_DEP_2)
	v_lshlrev_b64 v[5:6], 2, v[1:2]
	v_fma_f32 v1, -v3, v10, v8
	v_cndmask_b32_e64 v8, 1, s5, s0
	s_mov_b32 s0, s4
	s_delay_alu instid0(VALU_DEP_2) | instskip(NEXT) | instid1(VALU_DEP_4)
	v_div_fmas_f32 v3, v1, v4, v10
	v_add_co_u32 v1, vcc_lo, s12, v5
	v_add_co_ci_u32_e32 v2, vcc_lo, s13, v6, vcc_lo
	s_delay_alu instid0(VALU_DEP_3) | instskip(SKIP_3) | instid1(VALU_DEP_3)
	v_div_fixup_f32 v10, v3, v9, 1.0
	s_waitcnt lgkmcnt(0)
	v_add_co_u32 v3, vcc_lo, s16, v5
	v_add_co_ci_u32_e32 v4, vcc_lo, s17, v6, vcc_lo
	v_mul_f32_e32 v9, v9, v10
	v_add_co_u32 v5, vcc_lo, s18, v5
	v_add_co_ci_u32_e32 v6, vcc_lo, s19, v6, vcc_lo
	s_delay_alu instid0(VALU_DEP_3)
	v_cmp_class_f32_e64 vcc_lo, v9, 0x1f8
	v_dual_mov_b32 v10, v0 :: v_dual_cndmask_b32 v9, 0, v9
	.p2align	6
.LBB67_6:                               ; =>This Inner Loop Header: Depth=1
	global_store_b32 v[1:2], v9, off
	global_store_b32 v[3:4], v8, off
	global_store_b32 v[5:6], v10, off
	v_add_co_u32 v1, vcc_lo, v1, 4
	v_add_co_ci_u32_e32 v2, vcc_lo, 0, v2, vcc_lo
	v_dual_add_f32 v11, v7, v9 :: v_dual_add_nc_u32 v10, s3, v10
	v_add_co_u32 v3, vcc_lo, v3, 4
	v_add_co_ci_u32_e32 v4, vcc_lo, 0, v4, vcc_lo
	v_add_co_u32 v5, vcc_lo, v5, 4
	s_delay_alu instid0(VALU_DEP_4) | instskip(SKIP_2) | instid1(SALU_CYCLE_1)
	v_cndmask_b32_e64 v7, v7, v11, s2
	v_add_co_ci_u32_e32 v6, vcc_lo, 0, v6, vcc_lo
	s_add_i32 s0, s0, -1
	s_cmp_lg_u32 s0, 0
	s_cbranch_scc1 .LBB67_6
; %bb.7:
	s_and_not1_b32 vcc_lo, exec_lo, s2
	s_cbranch_vccz .LBB67_9
	s_branch .LBB67_12
.LBB67_8:
	v_mov_b32_e32 v7, 0
	s_and_not1_b32 vcc_lo, exec_lo, s2
	s_cbranch_vccnz .LBB67_12
.LBB67_9:
	s_and_not1_b32 vcc_lo, exec_lo, s7
	s_cbranch_vccnz .LBB67_12
; %bb.10:
	v_mul_lo_u32 v0, v0, s4
	v_cmp_lt_f32_e32 vcc_lo, 0, v7
	v_cndmask_b32_e32 v2, 1.0, v7, vcc_lo
	s_delay_alu instid0(VALU_DEP_3) | instskip(NEXT) | instid1(VALU_DEP_1)
	v_ashrrev_i32_e32 v1, 31, v0
	v_lshlrev_b64 v[0:1], 2, v[0:1]
	s_delay_alu instid0(VALU_DEP_1) | instskip(NEXT) | instid1(VALU_DEP_2)
	v_add_co_u32 v0, vcc_lo, s12, v0
	v_add_co_ci_u32_e32 v1, vcc_lo, s13, v1, vcc_lo
	.p2align	6
.LBB67_11:                              ; =>This Inner Loop Header: Depth=1
	global_load_b32 v3, v[0:1], off
	s_add_i32 s4, s4, -1
	s_delay_alu instid0(SALU_CYCLE_1) | instskip(SKIP_3) | instid1(VALU_DEP_2)
	s_cmp_lg_u32 s4, 0
	s_waitcnt vmcnt(0)
	v_div_scale_f32 v4, null, v2, v2, v3
	v_div_scale_f32 v7, vcc_lo, v3, v2, v3
	v_rcp_f32_e32 v5, v4
	s_waitcnt_depctr 0xfff
	v_fma_f32 v6, -v4, v5, 1.0
	s_delay_alu instid0(VALU_DEP_1) | instskip(NEXT) | instid1(VALU_DEP_1)
	v_fmac_f32_e32 v5, v6, v5
	v_mul_f32_e32 v6, v7, v5
	s_delay_alu instid0(VALU_DEP_1) | instskip(NEXT) | instid1(VALU_DEP_1)
	v_fma_f32 v8, -v4, v6, v7
	v_fmac_f32_e32 v6, v8, v5
	s_delay_alu instid0(VALU_DEP_1) | instskip(NEXT) | instid1(VALU_DEP_1)
	v_fma_f32 v4, -v4, v6, v7
	v_div_fmas_f32 v4, v4, v5, v6
	s_delay_alu instid0(VALU_DEP_1)
	v_div_fixup_f32 v3, v4, v2, v3
	global_store_b32 v[0:1], v3, off
	v_add_co_u32 v0, vcc_lo, v0, 4
	v_add_co_ci_u32_e32 v1, vcc_lo, 0, v1, vcc_lo
	s_cbranch_scc1 .LBB67_11
.LBB67_12:
	s_nop 0
	s_sendmsg sendmsg(MSG_DEALLOC_VGPRS)
	s_endpgm
	.section	.rodata,"a",@progbits
	.p2align	6, 0x0
	.amdhsa_kernel _ZN4vllm3moe10topkGatingILi1ELi1ELi4ELi2ELi32Ei6__halfLNS0_11ScoringFuncE0EEEvPKT5_PKbPfiPT4_PiiiibPKf
		.amdhsa_group_segment_fixed_size 0
		.amdhsa_private_segment_fixed_size 0
		.amdhsa_kernarg_size 72
		.amdhsa_user_sgpr_count 15
		.amdhsa_user_sgpr_dispatch_ptr 0
		.amdhsa_user_sgpr_queue_ptr 0
		.amdhsa_user_sgpr_kernarg_segment_ptr 1
		.amdhsa_user_sgpr_dispatch_id 0
		.amdhsa_user_sgpr_private_segment_size 0
		.amdhsa_wavefront_size32 1
		.amdhsa_uses_dynamic_stack 0
		.amdhsa_enable_private_segment 0
		.amdhsa_system_sgpr_workgroup_id_x 1
		.amdhsa_system_sgpr_workgroup_id_y 0
		.amdhsa_system_sgpr_workgroup_id_z 0
		.amdhsa_system_sgpr_workgroup_info 0
		.amdhsa_system_vgpr_workitem_id 1
		.amdhsa_next_free_vgpr 12
		.amdhsa_next_free_sgpr 20
		.amdhsa_reserve_vcc 1
		.amdhsa_float_round_mode_32 0
		.amdhsa_float_round_mode_16_64 0
		.amdhsa_float_denorm_mode_32 3
		.amdhsa_float_denorm_mode_16_64 3
		.amdhsa_dx10_clamp 1
		.amdhsa_ieee_mode 1
		.amdhsa_fp16_overflow 0
		.amdhsa_workgroup_processor_mode 1
		.amdhsa_memory_ordered 1
		.amdhsa_forward_progress 0
		.amdhsa_shared_vgpr_count 0
		.amdhsa_exception_fp_ieee_invalid_op 0
		.amdhsa_exception_fp_denorm_src 0
		.amdhsa_exception_fp_ieee_div_zero 0
		.amdhsa_exception_fp_ieee_overflow 0
		.amdhsa_exception_fp_ieee_underflow 0
		.amdhsa_exception_fp_ieee_inexact 0
		.amdhsa_exception_int_div_zero 0
	.end_amdhsa_kernel
	.section	.text._ZN4vllm3moe10topkGatingILi1ELi1ELi4ELi2ELi32Ei6__halfLNS0_11ScoringFuncE0EEEvPKT5_PKbPfiPT4_PiiiibPKf,"axG",@progbits,_ZN4vllm3moe10topkGatingILi1ELi1ELi4ELi2ELi32Ei6__halfLNS0_11ScoringFuncE0EEEvPKT5_PKbPfiPT4_PiiiibPKf,comdat
.Lfunc_end67:
	.size	_ZN4vllm3moe10topkGatingILi1ELi1ELi4ELi2ELi32Ei6__halfLNS0_11ScoringFuncE0EEEvPKT5_PKbPfiPT4_PiiiibPKf, .Lfunc_end67-_ZN4vllm3moe10topkGatingILi1ELi1ELi4ELi2ELi32Ei6__halfLNS0_11ScoringFuncE0EEEvPKT5_PKbPfiPT4_PiiiibPKf
                                        ; -- End function
	.section	.AMDGPU.csdata,"",@progbits
; Kernel info:
; codeLenInByte = 904
; NumSgprs: 22
; NumVgprs: 12
; ScratchSize: 0
; MemoryBound: 0
; FloatMode: 240
; IeeeMode: 1
; LDSByteSize: 0 bytes/workgroup (compile time only)
; SGPRBlocks: 2
; VGPRBlocks: 1
; NumSGPRsForWavesPerEU: 22
; NumVGPRsForWavesPerEU: 12
; Occupancy: 16
; WaveLimiterHint : 0
; COMPUTE_PGM_RSRC2:SCRATCH_EN: 0
; COMPUTE_PGM_RSRC2:USER_SGPR: 15
; COMPUTE_PGM_RSRC2:TRAP_HANDLER: 0
; COMPUTE_PGM_RSRC2:TGID_X_EN: 1
; COMPUTE_PGM_RSRC2:TGID_Y_EN: 0
; COMPUTE_PGM_RSRC2:TGID_Z_EN: 0
; COMPUTE_PGM_RSRC2:TIDIG_COMP_CNT: 1
	.section	.text._ZN4vllm3moe10topkGatingILi2ELi2ELi4ELi4ELi64Ei6__halfLNS0_11ScoringFuncE0EEEvPKT5_PKbPfiPT4_PiiiibPKf,"axG",@progbits,_ZN4vllm3moe10topkGatingILi2ELi2ELi4ELi4ELi64Ei6__halfLNS0_11ScoringFuncE0EEEvPKT5_PKbPfiPT4_PiiiibPKf,comdat
	.protected	_ZN4vllm3moe10topkGatingILi2ELi2ELi4ELi4ELi64Ei6__halfLNS0_11ScoringFuncE0EEEvPKT5_PKbPfiPT4_PiiiibPKf ; -- Begin function _ZN4vllm3moe10topkGatingILi2ELi2ELi4ELi4ELi64Ei6__halfLNS0_11ScoringFuncE0EEEvPKT5_PKbPfiPT4_PiiiibPKf
	.globl	_ZN4vllm3moe10topkGatingILi2ELi2ELi4ELi4ELi64Ei6__halfLNS0_11ScoringFuncE0EEEvPKT5_PKbPfiPT4_PiiiibPKf
	.p2align	8
	.type	_ZN4vllm3moe10topkGatingILi2ELi2ELi4ELi4ELi64Ei6__halfLNS0_11ScoringFuncE0EEEvPKT5_PKbPfiPT4_PiiiibPKf,@function
_ZN4vllm3moe10topkGatingILi2ELi2ELi4ELi4ELi64Ei6__halfLNS0_11ScoringFuncE0EEEvPKT5_PKbPfiPT4_PiiiibPKf: ; @_ZN4vllm3moe10topkGatingILi2ELi2ELi4ELi4ELi64Ei6__halfLNS0_11ScoringFuncE0EEEvPKT5_PKbPfiPT4_PiiiibPKf
; %bb.0:
	s_load_b32 s10, s[0:1], 0x18
	v_bfe_u32 v1, v0, 10, 10
	v_and_b32_e32 v0, 0x3ff, v0
	s_lshl_b32 s2, s15, 8
	s_delay_alu instid0(VALU_DEP_2) | instskip(NEXT) | instid1(VALU_DEP_1)
	v_lshlrev_b32_e32 v1, 6, v1
	v_add3_u32 v10, v1, v0, s2
	s_mov_b32 s2, exec_lo
	s_waitcnt lgkmcnt(0)
	s_delay_alu instid0(VALU_DEP_1)
	v_cmpx_gt_i32_e64 s10, v10
	s_cbranch_execz .LBB68_14
; %bb.1:
	s_clause 0x1
	s_load_b128 s[4:7], s[0:1], 0x0
	s_load_b64 s[8:9], s[0:1], 0x10
	s_waitcnt lgkmcnt(0)
	s_cmp_eq_u64 s[6:7], 0
	s_cbranch_scc1 .LBB68_3
; %bb.2:
	v_ashrrev_i32_e32 v1, 31, v10
	v_add_co_u32 v0, vcc_lo, s6, v10
	s_delay_alu instid0(VALU_DEP_2) | instskip(SKIP_3) | instid1(VALU_DEP_1)
	v_add_co_ci_u32_e32 v1, vcc_lo, s7, v1, vcc_lo
	global_load_u8 v0, v[0:1], off
	s_waitcnt vmcnt(0)
	v_and_b32_e32 v0, 1, v0
	v_cmp_eq_u32_e32 vcc_lo, 1, v0
	s_xor_b32 s2, vcc_lo, -1
	s_delay_alu instid0(SALU_CYCLE_1)
	s_or_not1_b32 s11, s2, exec_lo
	s_branch .LBB68_4
.LBB68_3:
	s_mov_b32 s11, -1
.LBB68_4:
	v_lshlrev_b32_e32 v0, 1, v10
	s_load_b64 s[2:3], s[0:1], 0x40
	s_delay_alu instid0(VALU_DEP_1) | instskip(NEXT) | instid1(VALU_DEP_1)
	v_ashrrev_i32_e32 v1, 31, v0
	v_lshlrev_b64 v[0:1], 1, v[0:1]
	s_delay_alu instid0(VALU_DEP_1) | instskip(NEXT) | instid1(VALU_DEP_2)
	v_add_co_u32 v0, vcc_lo, s4, v0
	v_add_co_ci_u32_e32 v1, vcc_lo, s5, v1, vcc_lo
	s_waitcnt lgkmcnt(0)
	s_cmp_eq_u64 s[2:3], 0
	global_load_b32 v0, v[0:1], off
	s_waitcnt vmcnt(0)
	v_lshrrev_b32_e32 v1, 16, v0
	v_cvt_f32_f16_e32 v0, v0
	s_delay_alu instid0(VALU_DEP_2) | instskip(NEXT) | instid1(VALU_DEP_1)
	v_cvt_f32_f16_e32 v1, v1
	v_max_f32_e32 v2, v0, v1
	s_delay_alu instid0(VALU_DEP_1) | instskip(NEXT) | instid1(VALU_DEP_1)
	v_sub_f32_e32 v1, v1, v2
	v_mul_f32_e32 v3, 0x3fb8aa3b, v1
	s_delay_alu instid0(VALU_DEP_1) | instskip(SKIP_1) | instid1(VALU_DEP_2)
	v_rndne_f32_e32 v7, v3
	v_fma_f32 v6, 0x3fb8aa3b, v1, -v3
	v_dual_sub_f32 v3, v3, v7 :: v_dual_sub_f32 v0, v0, v2
	s_delay_alu instid0(VALU_DEP_1) | instskip(NEXT) | instid1(VALU_DEP_3)
	v_mul_f32_e32 v2, 0x3fb8aa3b, v0
	v_fmac_f32_e32 v6, 0x32a5705f, v1
	v_cmp_ngt_f32_e32 vcc_lo, 0xc2ce8ed0, v0
	s_delay_alu instid0(VALU_DEP_3) | instskip(SKIP_1) | instid1(VALU_DEP_2)
	v_fma_f32 v4, 0x3fb8aa3b, v0, -v2
	v_rndne_f32_e32 v5, v2
	v_dual_add_f32 v3, v3, v6 :: v_dual_fmac_f32 v4, 0x32a5705f, v0
	s_delay_alu instid0(VALU_DEP_2) | instskip(NEXT) | instid1(VALU_DEP_2)
	v_sub_f32_e32 v2, v2, v5
	v_exp_f32_e32 v3, v3
	s_delay_alu instid0(VALU_DEP_1) | instskip(SKIP_2) | instid1(VALU_DEP_3)
	v_add_f32_e32 v2, v2, v4
	v_cvt_i32_f32_e32 v4, v5
	v_cvt_i32_f32_e32 v5, v7
	v_exp_f32_e32 v2, v2
	s_waitcnt_depctr 0xfff
	v_ldexp_f32 v3, v3, v5
	v_ldexp_f32 v2, v2, v4
	s_delay_alu instid0(VALU_DEP_1) | instskip(SKIP_1) | instid1(VALU_DEP_4)
	v_cndmask_b32_e32 v2, 0, v2, vcc_lo
	v_cmp_ngt_f32_e32 vcc_lo, 0xc2ce8ed0, v1
	v_cndmask_b32_e32 v3, 0, v3, vcc_lo
	v_cmp_nlt_f32_e32 vcc_lo, 0x42b17218, v0
	s_delay_alu instid0(VALU_DEP_4) | instskip(SKIP_1) | instid1(VALU_DEP_4)
	v_cndmask_b32_e32 v0, 0x7f800000, v2, vcc_lo
	v_cmp_nlt_f32_e32 vcc_lo, 0x42b17218, v1
	v_cndmask_b32_e32 v1, 0x7f800000, v3, vcc_lo
	s_delay_alu instid0(VALU_DEP_1) | instskip(NEXT) | instid1(VALU_DEP_1)
	v_add_f32_e32 v2, v0, v1
	v_div_scale_f32 v3, null, v2, v2, 1.0
	v_div_scale_f32 v6, vcc_lo, 1.0, v2, 1.0
	s_delay_alu instid0(VALU_DEP_2) | instskip(SKIP_2) | instid1(VALU_DEP_1)
	v_rcp_f32_e32 v4, v3
	s_waitcnt_depctr 0xfff
	v_fma_f32 v5, -v3, v4, 1.0
	v_fmac_f32_e32 v4, v5, v4
	s_delay_alu instid0(VALU_DEP_1) | instskip(NEXT) | instid1(VALU_DEP_1)
	v_mul_f32_e32 v5, v6, v4
	v_fma_f32 v7, -v3, v5, v6
	s_delay_alu instid0(VALU_DEP_1) | instskip(NEXT) | instid1(VALU_DEP_1)
	v_fmac_f32_e32 v5, v7, v4
	v_fma_f32 v3, -v3, v5, v6
	s_delay_alu instid0(VALU_DEP_1) | instskip(NEXT) | instid1(VALU_DEP_1)
	v_div_fmas_f32 v3, v3, v4, v5
	v_div_fixup_f32 v2, v3, v2, 1.0
	s_delay_alu instid0(VALU_DEP_1) | instskip(SKIP_1) | instid1(VALU_DEP_1)
	v_mul_f32_e32 v1, v2, v1
	v_mul_f32_e32 v0, v2, v0
	v_cmp_class_f32_e64 vcc_lo, v0, 0x1f8
	v_cndmask_b32_e32 v0, 0, v0, vcc_lo
	s_delay_alu instid0(VALU_DEP_4) | instskip(SKIP_1) | instid1(VALU_DEP_1)
	v_cmp_class_f32_e64 vcc_lo, v1, 0x1f8
	v_cndmask_b32_e32 v1, 0, v1, vcc_lo
	v_dual_mov_b32 v3, v1 :: v_dual_mov_b32 v2, v0
	s_cbranch_scc1 .LBB68_6
; %bb.5:
	s_load_b64 s[2:3], s[2:3], 0x0
	s_waitcnt lgkmcnt(0)
	v_dual_add_f32 v2, s2, v0 :: v_dual_add_f32 v3, s3, v1
.LBB68_6:
	s_load_b128 s[4:7], s[0:1], 0x30
	s_waitcnt lgkmcnt(0)
	s_bitcmp1_b32 s7, 0
	s_cselect_b32 vcc_lo, -1, 0
	s_cmp_gt_i32 s4, 0
	s_cselect_b32 s3, -1, 0
	s_cmp_lt_i32 s4, 1
	s_cbranch_scc1 .LBB68_10
; %bb.7:
	v_mul_lo_u32 v4, v10, s4
	s_load_b128 s[12:15], s[0:1], 0x20
	v_dual_mov_b32 v11, 0 :: v_dual_mov_b32 v12, v10
	s_mov_b32 s7, 0
	s_delay_alu instid0(VALU_DEP_2) | instskip(NEXT) | instid1(VALU_DEP_1)
	v_ashrrev_i32_e32 v5, 31, v4
	v_lshlrev_b64 v[8:9], 2, v[4:5]
	s_delay_alu instid0(VALU_DEP_1) | instskip(NEXT) | instid1(VALU_DEP_1)
	v_add_co_u32 v4, s0, s8, v8
	v_add_co_ci_u32_e64 v5, s0, s9, v9, s0
	s_waitcnt lgkmcnt(0)
	v_add_co_u32 v6, s0, s12, v8
	s_delay_alu instid0(VALU_DEP_1) | instskip(SKIP_1) | instid1(VALU_DEP_1)
	v_add_co_ci_u32_e64 v7, s0, s13, v9, s0
	v_add_co_u32 v8, s0, s14, v8
	v_add_co_ci_u32_e64 v9, s0, s15, v9, s0
.LBB68_8:                               ; =>This Inner Loop Header: Depth=1
	v_cmp_gt_f32_e64 s0, v3, v2
	s_add_i32 s7, s7, 1
	s_delay_alu instid0(VALU_DEP_1) | instskip(SKIP_3) | instid1(VALU_DEP_4)
	v_cndmask_b32_e64 v14, 0, 1, s0
	v_cndmask_b32_e64 v13, v0, v1, s0
	;; [unrolled: 1-line block ×4, first 2 shown]
	v_cmp_le_i32_e64 s1, s5, v14
	v_cmp_gt_i32_e64 s2, s6, v14
	v_subrev_nc_u32_e32 v14, s5, v14
	global_store_b32 v[4:5], v13, off
	v_add_f32_e32 v13, v11, v13
	s_and_b32 s1, s1, s2
	s_delay_alu instid0(SALU_CYCLE_1)
	s_and_b32 s0, s11, s1
	s_cmp_lt_i32 s7, s4
	v_cndmask_b32_e64 v14, 2, v14, s0
	s_cselect_b32 s0, -1, 0
	s_cmp_eq_u32 s4, s7
	v_cndmask_b32_e64 v3, v3, v16, s0
	v_cndmask_b32_e64 v2, v2, v15, s0
	v_add_co_u32 v4, s0, v4, 4
	s_delay_alu instid0(VALU_DEP_1) | instskip(SKIP_4) | instid1(VALU_DEP_1)
	v_add_co_ci_u32_e64 v5, s0, 0, v5, s0
	global_store_b32 v[6:7], v14, off
	global_store_b32 v[8:9], v12, off
	v_add_nc_u32_e32 v12, s10, v12
	v_add_co_u32 v6, s0, v6, 4
	v_add_co_ci_u32_e64 v7, s0, 0, v7, s0
	v_add_co_u32 v8, s0, v8, 4
	v_cndmask_b32_e32 v11, v11, v13, vcc_lo
	v_add_co_ci_u32_e64 v9, s0, 0, v9, s0
	s_cbranch_scc0 .LBB68_8
; %bb.9:
	s_and_b32 vcc_lo, exec_lo, vcc_lo
	s_cbranch_vccnz .LBB68_11
	s_branch .LBB68_14
.LBB68_10:
	v_mov_b32_e32 v11, 0
	s_and_b32 vcc_lo, exec_lo, vcc_lo
	s_cbranch_vccz .LBB68_14
.LBB68_11:
	s_and_not1_b32 vcc_lo, exec_lo, s3
	s_cbranch_vccnz .LBB68_14
; %bb.12:
	v_mul_lo_u32 v0, v10, s4
	v_cmp_lt_f32_e32 vcc_lo, 0, v11
	v_cndmask_b32_e32 v2, 1.0, v11, vcc_lo
	s_delay_alu instid0(VALU_DEP_3) | instskip(NEXT) | instid1(VALU_DEP_1)
	v_ashrrev_i32_e32 v1, 31, v0
	v_lshlrev_b64 v[0:1], 2, v[0:1]
	s_delay_alu instid0(VALU_DEP_1) | instskip(NEXT) | instid1(VALU_DEP_2)
	v_add_co_u32 v0, vcc_lo, s8, v0
	v_add_co_ci_u32_e32 v1, vcc_lo, s9, v1, vcc_lo
	.p2align	6
.LBB68_13:                              ; =>This Inner Loop Header: Depth=1
	global_load_b32 v3, v[0:1], off
	s_add_i32 s4, s4, -1
	s_delay_alu instid0(SALU_CYCLE_1) | instskip(SKIP_3) | instid1(VALU_DEP_2)
	s_cmp_lg_u32 s4, 0
	s_waitcnt vmcnt(0)
	v_div_scale_f32 v4, null, v2, v2, v3
	v_div_scale_f32 v7, vcc_lo, v3, v2, v3
	v_rcp_f32_e32 v5, v4
	s_waitcnt_depctr 0xfff
	v_fma_f32 v6, -v4, v5, 1.0
	s_delay_alu instid0(VALU_DEP_1) | instskip(NEXT) | instid1(VALU_DEP_1)
	v_fmac_f32_e32 v5, v6, v5
	v_mul_f32_e32 v6, v7, v5
	s_delay_alu instid0(VALU_DEP_1) | instskip(NEXT) | instid1(VALU_DEP_1)
	v_fma_f32 v8, -v4, v6, v7
	v_fmac_f32_e32 v6, v8, v5
	s_delay_alu instid0(VALU_DEP_1) | instskip(NEXT) | instid1(VALU_DEP_1)
	v_fma_f32 v4, -v4, v6, v7
	v_div_fmas_f32 v4, v4, v5, v6
	s_delay_alu instid0(VALU_DEP_1)
	v_div_fixup_f32 v3, v4, v2, v3
	global_store_b32 v[0:1], v3, off
	v_add_co_u32 v0, vcc_lo, v0, 4
	v_add_co_ci_u32_e32 v1, vcc_lo, 0, v1, vcc_lo
	s_cbranch_scc1 .LBB68_13
.LBB68_14:
	s_nop 0
	s_sendmsg sendmsg(MSG_DEALLOC_VGPRS)
	s_endpgm
	.section	.rodata,"a",@progbits
	.p2align	6, 0x0
	.amdhsa_kernel _ZN4vllm3moe10topkGatingILi2ELi2ELi4ELi4ELi64Ei6__halfLNS0_11ScoringFuncE0EEEvPKT5_PKbPfiPT4_PiiiibPKf
		.amdhsa_group_segment_fixed_size 0
		.amdhsa_private_segment_fixed_size 0
		.amdhsa_kernarg_size 72
		.amdhsa_user_sgpr_count 15
		.amdhsa_user_sgpr_dispatch_ptr 0
		.amdhsa_user_sgpr_queue_ptr 0
		.amdhsa_user_sgpr_kernarg_segment_ptr 1
		.amdhsa_user_sgpr_dispatch_id 0
		.amdhsa_user_sgpr_private_segment_size 0
		.amdhsa_wavefront_size32 1
		.amdhsa_uses_dynamic_stack 0
		.amdhsa_enable_private_segment 0
		.amdhsa_system_sgpr_workgroup_id_x 1
		.amdhsa_system_sgpr_workgroup_id_y 0
		.amdhsa_system_sgpr_workgroup_id_z 0
		.amdhsa_system_sgpr_workgroup_info 0
		.amdhsa_system_vgpr_workitem_id 1
		.amdhsa_next_free_vgpr 17
		.amdhsa_next_free_sgpr 16
		.amdhsa_reserve_vcc 1
		.amdhsa_float_round_mode_32 0
		.amdhsa_float_round_mode_16_64 0
		.amdhsa_float_denorm_mode_32 3
		.amdhsa_float_denorm_mode_16_64 3
		.amdhsa_dx10_clamp 1
		.amdhsa_ieee_mode 1
		.amdhsa_fp16_overflow 0
		.amdhsa_workgroup_processor_mode 1
		.amdhsa_memory_ordered 1
		.amdhsa_forward_progress 0
		.amdhsa_shared_vgpr_count 0
		.amdhsa_exception_fp_ieee_invalid_op 0
		.amdhsa_exception_fp_denorm_src 0
		.amdhsa_exception_fp_ieee_div_zero 0
		.amdhsa_exception_fp_ieee_overflow 0
		.amdhsa_exception_fp_ieee_underflow 0
		.amdhsa_exception_fp_ieee_inexact 0
		.amdhsa_exception_int_div_zero 0
	.end_amdhsa_kernel
	.section	.text._ZN4vllm3moe10topkGatingILi2ELi2ELi4ELi4ELi64Ei6__halfLNS0_11ScoringFuncE0EEEvPKT5_PKbPfiPT4_PiiiibPKf,"axG",@progbits,_ZN4vllm3moe10topkGatingILi2ELi2ELi4ELi4ELi64Ei6__halfLNS0_11ScoringFuncE0EEEvPKT5_PKbPfiPT4_PiiiibPKf,comdat
.Lfunc_end68:
	.size	_ZN4vllm3moe10topkGatingILi2ELi2ELi4ELi4ELi64Ei6__halfLNS0_11ScoringFuncE0EEEvPKT5_PKbPfiPT4_PiiiibPKf, .Lfunc_end68-_ZN4vllm3moe10topkGatingILi2ELi2ELi4ELi4ELi64Ei6__halfLNS0_11ScoringFuncE0EEEvPKT5_PKbPfiPT4_PiiiibPKf
                                        ; -- End function
	.section	.AMDGPU.csdata,"",@progbits
; Kernel info:
; codeLenInByte = 1224
; NumSgprs: 18
; NumVgprs: 17
; ScratchSize: 0
; MemoryBound: 0
; FloatMode: 240
; IeeeMode: 1
; LDSByteSize: 0 bytes/workgroup (compile time only)
; SGPRBlocks: 2
; VGPRBlocks: 2
; NumSGPRsForWavesPerEU: 18
; NumVGPRsForWavesPerEU: 17
; Occupancy: 16
; WaveLimiterHint : 0
; COMPUTE_PGM_RSRC2:SCRATCH_EN: 0
; COMPUTE_PGM_RSRC2:USER_SGPR: 15
; COMPUTE_PGM_RSRC2:TRAP_HANDLER: 0
; COMPUTE_PGM_RSRC2:TGID_X_EN: 1
; COMPUTE_PGM_RSRC2:TGID_Y_EN: 0
; COMPUTE_PGM_RSRC2:TGID_Z_EN: 0
; COMPUTE_PGM_RSRC2:TIDIG_COMP_CNT: 1
	.section	.text._ZN4vllm3moe10topkGatingILi2ELi2ELi4ELi4ELi32Ei6__halfLNS0_11ScoringFuncE0EEEvPKT5_PKbPfiPT4_PiiiibPKf,"axG",@progbits,_ZN4vllm3moe10topkGatingILi2ELi2ELi4ELi4ELi32Ei6__halfLNS0_11ScoringFuncE0EEEvPKT5_PKbPfiPT4_PiiiibPKf,comdat
	.protected	_ZN4vllm3moe10topkGatingILi2ELi2ELi4ELi4ELi32Ei6__halfLNS0_11ScoringFuncE0EEEvPKT5_PKbPfiPT4_PiiiibPKf ; -- Begin function _ZN4vllm3moe10topkGatingILi2ELi2ELi4ELi4ELi32Ei6__halfLNS0_11ScoringFuncE0EEEvPKT5_PKbPfiPT4_PiiiibPKf
	.globl	_ZN4vllm3moe10topkGatingILi2ELi2ELi4ELi4ELi32Ei6__halfLNS0_11ScoringFuncE0EEEvPKT5_PKbPfiPT4_PiiiibPKf
	.p2align	8
	.type	_ZN4vllm3moe10topkGatingILi2ELi2ELi4ELi4ELi32Ei6__halfLNS0_11ScoringFuncE0EEEvPKT5_PKbPfiPT4_PiiiibPKf,@function
_ZN4vllm3moe10topkGatingILi2ELi2ELi4ELi4ELi32Ei6__halfLNS0_11ScoringFuncE0EEEvPKT5_PKbPfiPT4_PiiiibPKf: ; @_ZN4vllm3moe10topkGatingILi2ELi2ELi4ELi4ELi32Ei6__halfLNS0_11ScoringFuncE0EEEvPKT5_PKbPfiPT4_PiiiibPKf
; %bb.0:
	s_load_b32 s10, s[0:1], 0x18
	v_bfe_u32 v1, v0, 10, 10
	v_and_b32_e32 v0, 0x3ff, v0
	s_lshl_b32 s2, s15, 7
	s_delay_alu instid0(VALU_DEP_2) | instskip(NEXT) | instid1(VALU_DEP_1)
	v_lshlrev_b32_e32 v1, 5, v1
	v_add3_u32 v10, v1, v0, s2
	s_mov_b32 s2, exec_lo
	s_waitcnt lgkmcnt(0)
	s_delay_alu instid0(VALU_DEP_1)
	v_cmpx_gt_i32_e64 s10, v10
	s_cbranch_execz .LBB69_14
; %bb.1:
	s_clause 0x1
	s_load_b128 s[4:7], s[0:1], 0x0
	s_load_b64 s[8:9], s[0:1], 0x10
	s_waitcnt lgkmcnt(0)
	s_cmp_eq_u64 s[6:7], 0
	s_cbranch_scc1 .LBB69_3
; %bb.2:
	v_ashrrev_i32_e32 v1, 31, v10
	v_add_co_u32 v0, vcc_lo, s6, v10
	s_delay_alu instid0(VALU_DEP_2) | instskip(SKIP_3) | instid1(VALU_DEP_1)
	v_add_co_ci_u32_e32 v1, vcc_lo, s7, v1, vcc_lo
	global_load_u8 v0, v[0:1], off
	s_waitcnt vmcnt(0)
	v_and_b32_e32 v0, 1, v0
	v_cmp_eq_u32_e32 vcc_lo, 1, v0
	s_xor_b32 s2, vcc_lo, -1
	s_delay_alu instid0(SALU_CYCLE_1)
	s_or_not1_b32 s11, s2, exec_lo
	s_branch .LBB69_4
.LBB69_3:
	s_mov_b32 s11, -1
.LBB69_4:
	v_lshlrev_b32_e32 v0, 1, v10
	s_load_b64 s[2:3], s[0:1], 0x40
	s_delay_alu instid0(VALU_DEP_1) | instskip(NEXT) | instid1(VALU_DEP_1)
	v_ashrrev_i32_e32 v1, 31, v0
	v_lshlrev_b64 v[0:1], 1, v[0:1]
	s_delay_alu instid0(VALU_DEP_1) | instskip(NEXT) | instid1(VALU_DEP_2)
	v_add_co_u32 v0, vcc_lo, s4, v0
	v_add_co_ci_u32_e32 v1, vcc_lo, s5, v1, vcc_lo
	s_waitcnt lgkmcnt(0)
	s_cmp_eq_u64 s[2:3], 0
	global_load_b32 v0, v[0:1], off
	s_waitcnt vmcnt(0)
	v_lshrrev_b32_e32 v1, 16, v0
	v_cvt_f32_f16_e32 v0, v0
	s_delay_alu instid0(VALU_DEP_2) | instskip(NEXT) | instid1(VALU_DEP_1)
	v_cvt_f32_f16_e32 v1, v1
	v_max_f32_e32 v2, v0, v1
	s_delay_alu instid0(VALU_DEP_1) | instskip(NEXT) | instid1(VALU_DEP_1)
	v_sub_f32_e32 v1, v1, v2
	v_mul_f32_e32 v3, 0x3fb8aa3b, v1
	s_delay_alu instid0(VALU_DEP_1) | instskip(SKIP_1) | instid1(VALU_DEP_2)
	v_rndne_f32_e32 v7, v3
	v_fma_f32 v6, 0x3fb8aa3b, v1, -v3
	v_dual_sub_f32 v3, v3, v7 :: v_dual_sub_f32 v0, v0, v2
	s_delay_alu instid0(VALU_DEP_1) | instskip(NEXT) | instid1(VALU_DEP_3)
	v_mul_f32_e32 v2, 0x3fb8aa3b, v0
	v_fmac_f32_e32 v6, 0x32a5705f, v1
	v_cmp_ngt_f32_e32 vcc_lo, 0xc2ce8ed0, v0
	s_delay_alu instid0(VALU_DEP_3) | instskip(SKIP_1) | instid1(VALU_DEP_2)
	v_fma_f32 v4, 0x3fb8aa3b, v0, -v2
	v_rndne_f32_e32 v5, v2
	v_dual_add_f32 v3, v3, v6 :: v_dual_fmac_f32 v4, 0x32a5705f, v0
	s_delay_alu instid0(VALU_DEP_2) | instskip(NEXT) | instid1(VALU_DEP_2)
	v_sub_f32_e32 v2, v2, v5
	v_exp_f32_e32 v3, v3
	s_delay_alu instid0(VALU_DEP_1) | instskip(SKIP_2) | instid1(VALU_DEP_3)
	v_add_f32_e32 v2, v2, v4
	v_cvt_i32_f32_e32 v4, v5
	v_cvt_i32_f32_e32 v5, v7
	v_exp_f32_e32 v2, v2
	s_waitcnt_depctr 0xfff
	v_ldexp_f32 v3, v3, v5
	v_ldexp_f32 v2, v2, v4
	s_delay_alu instid0(VALU_DEP_1) | instskip(SKIP_1) | instid1(VALU_DEP_4)
	v_cndmask_b32_e32 v2, 0, v2, vcc_lo
	v_cmp_ngt_f32_e32 vcc_lo, 0xc2ce8ed0, v1
	v_cndmask_b32_e32 v3, 0, v3, vcc_lo
	v_cmp_nlt_f32_e32 vcc_lo, 0x42b17218, v0
	s_delay_alu instid0(VALU_DEP_4) | instskip(SKIP_1) | instid1(VALU_DEP_4)
	v_cndmask_b32_e32 v0, 0x7f800000, v2, vcc_lo
	v_cmp_nlt_f32_e32 vcc_lo, 0x42b17218, v1
	v_cndmask_b32_e32 v1, 0x7f800000, v3, vcc_lo
	s_delay_alu instid0(VALU_DEP_1) | instskip(NEXT) | instid1(VALU_DEP_1)
	v_add_f32_e32 v2, v0, v1
	v_div_scale_f32 v3, null, v2, v2, 1.0
	v_div_scale_f32 v6, vcc_lo, 1.0, v2, 1.0
	s_delay_alu instid0(VALU_DEP_2) | instskip(SKIP_2) | instid1(VALU_DEP_1)
	v_rcp_f32_e32 v4, v3
	s_waitcnt_depctr 0xfff
	v_fma_f32 v5, -v3, v4, 1.0
	v_fmac_f32_e32 v4, v5, v4
	s_delay_alu instid0(VALU_DEP_1) | instskip(NEXT) | instid1(VALU_DEP_1)
	v_mul_f32_e32 v5, v6, v4
	v_fma_f32 v7, -v3, v5, v6
	s_delay_alu instid0(VALU_DEP_1) | instskip(NEXT) | instid1(VALU_DEP_1)
	v_fmac_f32_e32 v5, v7, v4
	v_fma_f32 v3, -v3, v5, v6
	s_delay_alu instid0(VALU_DEP_1) | instskip(NEXT) | instid1(VALU_DEP_1)
	v_div_fmas_f32 v3, v3, v4, v5
	v_div_fixup_f32 v2, v3, v2, 1.0
	s_delay_alu instid0(VALU_DEP_1) | instskip(SKIP_1) | instid1(VALU_DEP_1)
	v_mul_f32_e32 v1, v2, v1
	v_mul_f32_e32 v0, v2, v0
	v_cmp_class_f32_e64 vcc_lo, v0, 0x1f8
	v_cndmask_b32_e32 v0, 0, v0, vcc_lo
	s_delay_alu instid0(VALU_DEP_4) | instskip(SKIP_1) | instid1(VALU_DEP_1)
	v_cmp_class_f32_e64 vcc_lo, v1, 0x1f8
	v_cndmask_b32_e32 v1, 0, v1, vcc_lo
	v_dual_mov_b32 v3, v1 :: v_dual_mov_b32 v2, v0
	s_cbranch_scc1 .LBB69_6
; %bb.5:
	s_load_b64 s[2:3], s[2:3], 0x0
	s_waitcnt lgkmcnt(0)
	v_dual_add_f32 v2, s2, v0 :: v_dual_add_f32 v3, s3, v1
.LBB69_6:
	s_load_b128 s[4:7], s[0:1], 0x30
	s_waitcnt lgkmcnt(0)
	s_bitcmp1_b32 s7, 0
	s_cselect_b32 vcc_lo, -1, 0
	s_cmp_gt_i32 s4, 0
	s_cselect_b32 s3, -1, 0
	s_cmp_lt_i32 s4, 1
	s_cbranch_scc1 .LBB69_10
; %bb.7:
	v_mul_lo_u32 v4, v10, s4
	s_load_b128 s[12:15], s[0:1], 0x20
	v_dual_mov_b32 v11, 0 :: v_dual_mov_b32 v12, v10
	s_mov_b32 s7, 0
	s_delay_alu instid0(VALU_DEP_2) | instskip(NEXT) | instid1(VALU_DEP_1)
	v_ashrrev_i32_e32 v5, 31, v4
	v_lshlrev_b64 v[8:9], 2, v[4:5]
	s_delay_alu instid0(VALU_DEP_1) | instskip(NEXT) | instid1(VALU_DEP_1)
	v_add_co_u32 v4, s0, s8, v8
	v_add_co_ci_u32_e64 v5, s0, s9, v9, s0
	s_waitcnt lgkmcnt(0)
	v_add_co_u32 v6, s0, s12, v8
	s_delay_alu instid0(VALU_DEP_1) | instskip(SKIP_1) | instid1(VALU_DEP_1)
	v_add_co_ci_u32_e64 v7, s0, s13, v9, s0
	v_add_co_u32 v8, s0, s14, v8
	v_add_co_ci_u32_e64 v9, s0, s15, v9, s0
.LBB69_8:                               ; =>This Inner Loop Header: Depth=1
	v_cmp_gt_f32_e64 s0, v3, v2
	s_add_i32 s7, s7, 1
	s_delay_alu instid0(VALU_DEP_1) | instskip(SKIP_3) | instid1(VALU_DEP_4)
	v_cndmask_b32_e64 v14, 0, 1, s0
	v_cndmask_b32_e64 v13, v0, v1, s0
	;; [unrolled: 1-line block ×4, first 2 shown]
	v_cmp_le_i32_e64 s1, s5, v14
	v_cmp_gt_i32_e64 s2, s6, v14
	v_subrev_nc_u32_e32 v14, s5, v14
	global_store_b32 v[4:5], v13, off
	v_add_f32_e32 v13, v11, v13
	s_and_b32 s1, s1, s2
	s_delay_alu instid0(SALU_CYCLE_1)
	s_and_b32 s0, s11, s1
	s_cmp_lt_i32 s7, s4
	v_cndmask_b32_e64 v14, 2, v14, s0
	s_cselect_b32 s0, -1, 0
	s_cmp_eq_u32 s4, s7
	v_cndmask_b32_e64 v3, v3, v16, s0
	v_cndmask_b32_e64 v2, v2, v15, s0
	v_add_co_u32 v4, s0, v4, 4
	s_delay_alu instid0(VALU_DEP_1) | instskip(SKIP_4) | instid1(VALU_DEP_1)
	v_add_co_ci_u32_e64 v5, s0, 0, v5, s0
	global_store_b32 v[6:7], v14, off
	global_store_b32 v[8:9], v12, off
	v_add_nc_u32_e32 v12, s10, v12
	v_add_co_u32 v6, s0, v6, 4
	v_add_co_ci_u32_e64 v7, s0, 0, v7, s0
	v_add_co_u32 v8, s0, v8, 4
	v_cndmask_b32_e32 v11, v11, v13, vcc_lo
	v_add_co_ci_u32_e64 v9, s0, 0, v9, s0
	s_cbranch_scc0 .LBB69_8
; %bb.9:
	s_and_b32 vcc_lo, exec_lo, vcc_lo
	s_cbranch_vccnz .LBB69_11
	s_branch .LBB69_14
.LBB69_10:
	v_mov_b32_e32 v11, 0
	s_and_b32 vcc_lo, exec_lo, vcc_lo
	s_cbranch_vccz .LBB69_14
.LBB69_11:
	s_and_not1_b32 vcc_lo, exec_lo, s3
	s_cbranch_vccnz .LBB69_14
; %bb.12:
	v_mul_lo_u32 v0, v10, s4
	v_cmp_lt_f32_e32 vcc_lo, 0, v11
	v_cndmask_b32_e32 v2, 1.0, v11, vcc_lo
	s_delay_alu instid0(VALU_DEP_3) | instskip(NEXT) | instid1(VALU_DEP_1)
	v_ashrrev_i32_e32 v1, 31, v0
	v_lshlrev_b64 v[0:1], 2, v[0:1]
	s_delay_alu instid0(VALU_DEP_1) | instskip(NEXT) | instid1(VALU_DEP_2)
	v_add_co_u32 v0, vcc_lo, s8, v0
	v_add_co_ci_u32_e32 v1, vcc_lo, s9, v1, vcc_lo
	.p2align	6
.LBB69_13:                              ; =>This Inner Loop Header: Depth=1
	global_load_b32 v3, v[0:1], off
	s_add_i32 s4, s4, -1
	s_delay_alu instid0(SALU_CYCLE_1) | instskip(SKIP_3) | instid1(VALU_DEP_2)
	s_cmp_lg_u32 s4, 0
	s_waitcnt vmcnt(0)
	v_div_scale_f32 v4, null, v2, v2, v3
	v_div_scale_f32 v7, vcc_lo, v3, v2, v3
	v_rcp_f32_e32 v5, v4
	s_waitcnt_depctr 0xfff
	v_fma_f32 v6, -v4, v5, 1.0
	s_delay_alu instid0(VALU_DEP_1) | instskip(NEXT) | instid1(VALU_DEP_1)
	v_fmac_f32_e32 v5, v6, v5
	v_mul_f32_e32 v6, v7, v5
	s_delay_alu instid0(VALU_DEP_1) | instskip(NEXT) | instid1(VALU_DEP_1)
	v_fma_f32 v8, -v4, v6, v7
	v_fmac_f32_e32 v6, v8, v5
	s_delay_alu instid0(VALU_DEP_1) | instskip(NEXT) | instid1(VALU_DEP_1)
	v_fma_f32 v4, -v4, v6, v7
	v_div_fmas_f32 v4, v4, v5, v6
	s_delay_alu instid0(VALU_DEP_1)
	v_div_fixup_f32 v3, v4, v2, v3
	global_store_b32 v[0:1], v3, off
	v_add_co_u32 v0, vcc_lo, v0, 4
	v_add_co_ci_u32_e32 v1, vcc_lo, 0, v1, vcc_lo
	s_cbranch_scc1 .LBB69_13
.LBB69_14:
	s_nop 0
	s_sendmsg sendmsg(MSG_DEALLOC_VGPRS)
	s_endpgm
	.section	.rodata,"a",@progbits
	.p2align	6, 0x0
	.amdhsa_kernel _ZN4vllm3moe10topkGatingILi2ELi2ELi4ELi4ELi32Ei6__halfLNS0_11ScoringFuncE0EEEvPKT5_PKbPfiPT4_PiiiibPKf
		.amdhsa_group_segment_fixed_size 0
		.amdhsa_private_segment_fixed_size 0
		.amdhsa_kernarg_size 72
		.amdhsa_user_sgpr_count 15
		.amdhsa_user_sgpr_dispatch_ptr 0
		.amdhsa_user_sgpr_queue_ptr 0
		.amdhsa_user_sgpr_kernarg_segment_ptr 1
		.amdhsa_user_sgpr_dispatch_id 0
		.amdhsa_user_sgpr_private_segment_size 0
		.amdhsa_wavefront_size32 1
		.amdhsa_uses_dynamic_stack 0
		.amdhsa_enable_private_segment 0
		.amdhsa_system_sgpr_workgroup_id_x 1
		.amdhsa_system_sgpr_workgroup_id_y 0
		.amdhsa_system_sgpr_workgroup_id_z 0
		.amdhsa_system_sgpr_workgroup_info 0
		.amdhsa_system_vgpr_workitem_id 1
		.amdhsa_next_free_vgpr 17
		.amdhsa_next_free_sgpr 16
		.amdhsa_reserve_vcc 1
		.amdhsa_float_round_mode_32 0
		.amdhsa_float_round_mode_16_64 0
		.amdhsa_float_denorm_mode_32 3
		.amdhsa_float_denorm_mode_16_64 3
		.amdhsa_dx10_clamp 1
		.amdhsa_ieee_mode 1
		.amdhsa_fp16_overflow 0
		.amdhsa_workgroup_processor_mode 1
		.amdhsa_memory_ordered 1
		.amdhsa_forward_progress 0
		.amdhsa_shared_vgpr_count 0
		.amdhsa_exception_fp_ieee_invalid_op 0
		.amdhsa_exception_fp_denorm_src 0
		.amdhsa_exception_fp_ieee_div_zero 0
		.amdhsa_exception_fp_ieee_overflow 0
		.amdhsa_exception_fp_ieee_underflow 0
		.amdhsa_exception_fp_ieee_inexact 0
		.amdhsa_exception_int_div_zero 0
	.end_amdhsa_kernel
	.section	.text._ZN4vllm3moe10topkGatingILi2ELi2ELi4ELi4ELi32Ei6__halfLNS0_11ScoringFuncE0EEEvPKT5_PKbPfiPT4_PiiiibPKf,"axG",@progbits,_ZN4vllm3moe10topkGatingILi2ELi2ELi4ELi4ELi32Ei6__halfLNS0_11ScoringFuncE0EEEvPKT5_PKbPfiPT4_PiiiibPKf,comdat
.Lfunc_end69:
	.size	_ZN4vllm3moe10topkGatingILi2ELi2ELi4ELi4ELi32Ei6__halfLNS0_11ScoringFuncE0EEEvPKT5_PKbPfiPT4_PiiiibPKf, .Lfunc_end69-_ZN4vllm3moe10topkGatingILi2ELi2ELi4ELi4ELi32Ei6__halfLNS0_11ScoringFuncE0EEEvPKT5_PKbPfiPT4_PiiiibPKf
                                        ; -- End function
	.section	.AMDGPU.csdata,"",@progbits
; Kernel info:
; codeLenInByte = 1224
; NumSgprs: 18
; NumVgprs: 17
; ScratchSize: 0
; MemoryBound: 0
; FloatMode: 240
; IeeeMode: 1
; LDSByteSize: 0 bytes/workgroup (compile time only)
; SGPRBlocks: 2
; VGPRBlocks: 2
; NumSGPRsForWavesPerEU: 18
; NumVGPRsForWavesPerEU: 17
; Occupancy: 16
; WaveLimiterHint : 0
; COMPUTE_PGM_RSRC2:SCRATCH_EN: 0
; COMPUTE_PGM_RSRC2:USER_SGPR: 15
; COMPUTE_PGM_RSRC2:TRAP_HANDLER: 0
; COMPUTE_PGM_RSRC2:TGID_X_EN: 1
; COMPUTE_PGM_RSRC2:TGID_Y_EN: 0
; COMPUTE_PGM_RSRC2:TGID_Z_EN: 0
; COMPUTE_PGM_RSRC2:TIDIG_COMP_CNT: 1
	.section	.text._ZN4vllm3moe10topkGatingILi4ELi4ELi4ELi8ELi64Ei6__halfLNS0_11ScoringFuncE0EEEvPKT5_PKbPfiPT4_PiiiibPKf,"axG",@progbits,_ZN4vllm3moe10topkGatingILi4ELi4ELi4ELi8ELi64Ei6__halfLNS0_11ScoringFuncE0EEEvPKT5_PKbPfiPT4_PiiiibPKf,comdat
	.protected	_ZN4vllm3moe10topkGatingILi4ELi4ELi4ELi8ELi64Ei6__halfLNS0_11ScoringFuncE0EEEvPKT5_PKbPfiPT4_PiiiibPKf ; -- Begin function _ZN4vllm3moe10topkGatingILi4ELi4ELi4ELi8ELi64Ei6__halfLNS0_11ScoringFuncE0EEEvPKT5_PKbPfiPT4_PiiiibPKf
	.globl	_ZN4vllm3moe10topkGatingILi4ELi4ELi4ELi8ELi64Ei6__halfLNS0_11ScoringFuncE0EEEvPKT5_PKbPfiPT4_PiiiibPKf
	.p2align	8
	.type	_ZN4vllm3moe10topkGatingILi4ELi4ELi4ELi8ELi64Ei6__halfLNS0_11ScoringFuncE0EEEvPKT5_PKbPfiPT4_PiiiibPKf,@function
_ZN4vllm3moe10topkGatingILi4ELi4ELi4ELi8ELi64Ei6__halfLNS0_11ScoringFuncE0EEEvPKT5_PKbPfiPT4_PiiiibPKf: ; @_ZN4vllm3moe10topkGatingILi4ELi4ELi4ELi8ELi64Ei6__halfLNS0_11ScoringFuncE0EEEvPKT5_PKbPfiPT4_PiiiibPKf
; %bb.0:
	s_load_b32 s10, s[0:1], 0x18
	v_bfe_u32 v1, v0, 10, 10
	v_and_b32_e32 v0, 0x3ff, v0
	s_lshl_b32 s2, s15, 8
	s_delay_alu instid0(VALU_DEP_2) | instskip(NEXT) | instid1(VALU_DEP_1)
	v_lshlrev_b32_e32 v1, 6, v1
	v_add3_u32 v14, v1, v0, s2
	s_mov_b32 s2, exec_lo
	s_waitcnt lgkmcnt(0)
	s_delay_alu instid0(VALU_DEP_1)
	v_cmpx_gt_i32_e64 s10, v14
	s_cbranch_execz .LBB70_15
; %bb.1:
	s_clause 0x1
	s_load_b128 s[4:7], s[0:1], 0x0
	s_load_b64 s[8:9], s[0:1], 0x10
	s_mov_b32 s12, -1
	s_mov_b32 s11, -1
	s_waitcnt lgkmcnt(0)
	s_cmp_eq_u64 s[6:7], 0
	s_cbranch_scc1 .LBB70_3
; %bb.2:
	v_ashrrev_i32_e32 v1, 31, v14
	v_add_co_u32 v0, vcc_lo, s6, v14
	s_delay_alu instid0(VALU_DEP_2) | instskip(SKIP_3) | instid1(VALU_DEP_1)
	v_add_co_ci_u32_e32 v1, vcc_lo, s7, v1, vcc_lo
	global_load_u8 v0, v[0:1], off
	s_waitcnt vmcnt(0)
	v_and_b32_e32 v0, 1, v0
	v_cmp_eq_u32_e32 vcc_lo, 1, v0
	s_xor_b32 s2, vcc_lo, -1
	s_delay_alu instid0(SALU_CYCLE_1)
	s_or_not1_b32 s11, s2, exec_lo
.LBB70_3:
	v_lshlrev_b32_e32 v0, 2, v14
	s_load_b64 s[2:3], s[0:1], 0x40
	s_delay_alu instid0(VALU_DEP_1) | instskip(NEXT) | instid1(VALU_DEP_1)
	v_ashrrev_i32_e32 v1, 31, v0
	v_lshlrev_b64 v[0:1], 1, v[0:1]
	s_delay_alu instid0(VALU_DEP_1) | instskip(NEXT) | instid1(VALU_DEP_2)
	v_add_co_u32 v0, vcc_lo, s4, v0
	v_add_co_ci_u32_e32 v1, vcc_lo, s5, v1, vcc_lo
	s_waitcnt lgkmcnt(0)
	s_cmp_eq_u64 s[2:3], 0
	global_load_b64 v[0:1], v[0:1], off
	s_waitcnt vmcnt(0)
	v_lshrrev_b32_e32 v2, 16, v0
	v_cvt_f32_f16_e32 v0, v0
	v_lshrrev_b32_e32 v3, 16, v1
	v_cvt_f32_f16_e32 v1, v1
	s_delay_alu instid0(VALU_DEP_4) | instskip(NEXT) | instid1(VALU_DEP_3)
	v_cvt_f32_f16_e32 v2, v2
	v_cvt_f32_f16_e32 v3, v3
	s_delay_alu instid0(VALU_DEP_2) | instskip(NEXT) | instid1(VALU_DEP_1)
	v_max_f32_e32 v4, v0, v2
	v_max3_f32 v4, v4, v1, v3
	s_delay_alu instid0(VALU_DEP_1) | instskip(SKIP_3) | instid1(VALU_DEP_4)
	v_sub_f32_e32 v2, v2, v4
	v_sub_f32_e32 v0, v0, v4
	;; [unrolled: 1-line block ×4, first 2 shown]
	v_mul_f32_e32 v5, 0x3fb8aa3b, v2
	s_delay_alu instid0(VALU_DEP_4) | instskip(NEXT) | instid1(VALU_DEP_3)
	v_cmp_ngt_f32_e32 vcc_lo, 0xc2ce8ed0, v0
	v_dual_mul_f32 v6, 0x3fb8aa3b, v1 :: v_dual_mul_f32 v7, 0x3fb8aa3b, v3
	s_delay_alu instid0(VALU_DEP_3) | instskip(SKIP_1) | instid1(VALU_DEP_3)
	v_fma_f32 v10, 0x3fb8aa3b, v2, -v5
	v_rndne_f32_e32 v11, v5
	v_fma_f32 v12, 0x3fb8aa3b, v1, -v6
	s_delay_alu instid0(VALU_DEP_4)
	v_fma_f32 v15, 0x3fb8aa3b, v3, -v7
	v_rndne_f32_e32 v16, v7
	v_rndne_f32_e32 v13, v6
	v_dual_sub_f32 v5, v5, v11 :: v_dual_fmac_f32 v10, 0x32a5705f, v2
	v_mul_f32_e32 v4, 0x3fb8aa3b, v0
	v_fmac_f32_e32 v12, 0x32a5705f, v1
	s_delay_alu instid0(VALU_DEP_4) | instskip(NEXT) | instid1(VALU_DEP_4)
	v_dual_sub_f32 v6, v6, v13 :: v_dual_fmac_f32 v15, 0x32a5705f, v3
	v_add_f32_e32 v5, v5, v10
	s_delay_alu instid0(VALU_DEP_4)
	v_fma_f32 v8, 0x3fb8aa3b, v0, -v4
	v_rndne_f32_e32 v9, v4
	v_sub_f32_e32 v7, v7, v16
	v_add_f32_e32 v6, v6, v12
	v_exp_f32_e32 v5, v5
	v_fmac_f32_e32 v8, 0x32a5705f, v0
	v_sub_f32_e32 v4, v4, v9
	v_cvt_i32_f32_e32 v10, v13
	v_exp_f32_e32 v6, v6
	s_delay_alu instid0(VALU_DEP_2) | instskip(SKIP_2) | instid1(VALU_DEP_3)
	v_dual_add_f32 v7, v7, v15 :: v_dual_add_f32 v4, v4, v8
	v_cvt_i32_f32_e32 v8, v9
	v_cvt_i32_f32_e32 v9, v11
	v_exp_f32_e32 v7, v7
	v_cvt_i32_f32_e32 v11, v16
	v_exp_f32_e32 v4, v4
	s_delay_alu instid0(VALU_DEP_2) | instskip(NEXT) | instid1(TRANS32_DEP_3)
	v_ldexp_f32 v5, v5, v9
	v_ldexp_f32 v6, v6, v10
	s_waitcnt_depctr 0xfff
	v_ldexp_f32 v7, v7, v11
	v_ldexp_f32 v4, v4, v8
	s_delay_alu instid0(VALU_DEP_1)
	v_cndmask_b32_e32 v4, 0, v4, vcc_lo
	v_cmp_ngt_f32_e32 vcc_lo, 0xc2ce8ed0, v2
	v_cndmask_b32_e32 v5, 0, v5, vcc_lo
	v_cmp_ngt_f32_e32 vcc_lo, 0xc2ce8ed0, v1
	v_cndmask_b32_e32 v6, 0, v6, vcc_lo
	v_cmp_nlt_f32_e32 vcc_lo, 0x42b17218, v0
	v_cndmask_b32_e32 v0, 0x7f800000, v4, vcc_lo
	v_cmp_nlt_f32_e32 vcc_lo, 0x42b17218, v2
	v_cndmask_b32_e32 v2, 0x7f800000, v5, vcc_lo
	v_cmp_ngt_f32_e32 vcc_lo, 0xc2ce8ed0, v3
	s_delay_alu instid0(VALU_DEP_2) | instskip(SKIP_3) | instid1(VALU_DEP_2)
	v_dual_add_f32 v5, v0, v2 :: v_dual_cndmask_b32 v4, 0, v7
	v_cmp_nlt_f32_e32 vcc_lo, 0x42b17218, v1
	v_cndmask_b32_e32 v1, 0x7f800000, v6, vcc_lo
	v_cmp_nlt_f32_e32 vcc_lo, 0x42b17218, v3
	v_dual_cndmask_b32 v3, 0x7f800000, v4 :: v_dual_add_f32 v4, v5, v1
	s_delay_alu instid0(VALU_DEP_1) | instskip(NEXT) | instid1(VALU_DEP_1)
	v_add_f32_e32 v4, v4, v3
	v_div_scale_f32 v5, null, v4, v4, 1.0
	v_div_scale_f32 v8, vcc_lo, 1.0, v4, 1.0
	s_delay_alu instid0(VALU_DEP_2) | instskip(SKIP_2) | instid1(VALU_DEP_1)
	v_rcp_f32_e32 v6, v5
	s_waitcnt_depctr 0xfff
	v_fma_f32 v7, -v5, v6, 1.0
	v_fmac_f32_e32 v6, v7, v6
	s_delay_alu instid0(VALU_DEP_1) | instskip(NEXT) | instid1(VALU_DEP_1)
	v_mul_f32_e32 v7, v8, v6
	v_fma_f32 v9, -v5, v7, v8
	s_delay_alu instid0(VALU_DEP_1) | instskip(NEXT) | instid1(VALU_DEP_1)
	v_fmac_f32_e32 v7, v9, v6
	v_fma_f32 v5, -v5, v7, v8
	s_delay_alu instid0(VALU_DEP_1) | instskip(NEXT) | instid1(VALU_DEP_1)
	v_div_fmas_f32 v5, v5, v6, v7
	v_div_fixup_f32 v4, v5, v4, 1.0
	s_delay_alu instid0(VALU_DEP_1) | instskip(SKIP_3) | instid1(VALU_DEP_4)
	v_mul_f32_e32 v0, v4, v0
	v_mul_f32_e32 v2, v4, v2
	;; [unrolled: 1-line block ×4, first 2 shown]
	v_cmp_class_f32_e64 vcc_lo, v0, 0x1f8
	v_cndmask_b32_e32 v0, 0, v0, vcc_lo
	v_cmp_class_f32_e64 vcc_lo, v2, 0x1f8
	v_cndmask_b32_e32 v1, 0, v2, vcc_lo
	;; [unrolled: 2-line block ×4, first 2 shown]
	s_cbranch_scc1 .LBB70_10
; %bb.4:
	s_load_b128 s[4:7], s[2:3], 0x0
	s_waitcnt lgkmcnt(0)
	v_dual_add_f32 v4, s4, v0 :: v_dual_add_f32 v5, s5, v1
	v_dual_add_f32 v6, s6, v2 :: v_dual_add_f32 v7, s7, v3
	s_cbranch_execnz .LBB70_6
.LBB70_5:
	v_dual_mov_b32 v7, v3 :: v_dual_mov_b32 v6, v2
	v_dual_mov_b32 v5, v1 :: v_dual_mov_b32 v4, v0
.LBB70_6:
	s_load_b128 s[4:7], s[0:1], 0x30
	s_waitcnt lgkmcnt(0)
	s_bitcmp1_b32 s7, 0
	s_mov_b32 s7, 0
	s_cselect_b32 vcc_lo, -1, 0
	s_cmp_gt_i32 s4, 0
	s_cselect_b32 s3, -1, 0
	s_cmp_lt_i32 s4, 1
	s_cbranch_scc1 .LBB70_11
; %bb.7:
	v_mul_lo_u32 v8, v14, s4
	s_load_b128 s[12:15], s[0:1], 0x20
	v_dual_mov_b32 v15, 0 :: v_dual_mov_b32 v16, v14
	s_delay_alu instid0(VALU_DEP_2) | instskip(NEXT) | instid1(VALU_DEP_1)
	v_ashrrev_i32_e32 v9, 31, v8
	v_lshlrev_b64 v[12:13], 2, v[8:9]
	s_delay_alu instid0(VALU_DEP_1) | instskip(NEXT) | instid1(VALU_DEP_1)
	v_add_co_u32 v8, s0, s8, v12
	v_add_co_ci_u32_e64 v9, s0, s9, v13, s0
	s_waitcnt lgkmcnt(0)
	v_add_co_u32 v10, s0, s12, v12
	s_delay_alu instid0(VALU_DEP_1) | instskip(SKIP_1) | instid1(VALU_DEP_1)
	v_add_co_ci_u32_e64 v11, s0, s13, v13, s0
	v_add_co_u32 v12, s0, s14, v12
	v_add_co_ci_u32_e64 v13, s0, s15, v13, s0
.LBB70_8:                               ; =>This Inner Loop Header: Depth=1
	v_cmp_gt_f32_e64 s0, v5, v4
	s_add_i32 s7, s7, 1
	s_delay_alu instid0(VALU_DEP_1) | instskip(SKIP_2) | instid1(VALU_DEP_3)
	v_cndmask_b32_e64 v17, v4, v5, s0
	v_cndmask_b32_e64 v18, v0, v1, s0
	;; [unrolled: 1-line block ×3, first 2 shown]
	v_cmp_gt_f32_e64 s1, v6, v17
	s_delay_alu instid0(VALU_DEP_1) | instskip(NEXT) | instid1(VALU_DEP_4)
	v_cndmask_b32_e64 v17, v17, v6, s1
	v_cndmask_b32_e64 v18, v18, v2, s1
	s_delay_alu instid0(VALU_DEP_4) | instskip(NEXT) | instid1(VALU_DEP_3)
	v_cndmask_b32_e64 v19, v19, 2, s1
	v_cmp_gt_f32_e64 s0, v7, v17
	s_delay_alu instid0(VALU_DEP_1) | instskip(NEXT) | instid1(VALU_DEP_3)
	v_cndmask_b32_e64 v17, v18, v3, s0
	v_cndmask_b32_e64 v18, v19, 3, s0
	global_store_b32 v[8:9], v17, off
	v_cmp_le_i32_e64 s0, s5, v18
	v_cmp_gt_i32_e64 s1, s6, v18
	v_subrev_nc_u32_e32 v19, s5, v18
	v_cmp_ne_u32_e64 s2, 0, v18
	v_add_f32_e32 v17, v15, v17
	s_delay_alu instid0(VALU_DEP_4) | instskip(SKIP_1) | instid1(VALU_DEP_3)
	s_and_b32 s1, s0, s1
	v_cmp_ne_u32_e64 s0, 2, v18
	v_cndmask_b32_e64 v20, 0xc61c4000, v4, s2
	v_cmp_ne_u32_e64 s2, 1, v18
	s_delay_alu instid0(VALU_DEP_3) | instskip(SKIP_1) | instid1(VALU_DEP_2)
	v_cndmask_b32_e64 v22, 0xc61c4000, v6, s0
	s_and_b32 s0, s11, s1
	v_cndmask_b32_e64 v21, 0xc61c4000, v5, s2
	v_cndmask_b32_e64 v19, 4, v19, s0
	v_cmp_ne_u32_e64 s0, 3, v18
	s_cmp_lt_i32 s7, s4
	global_store_b32 v[10:11], v19, off
	global_store_b32 v[12:13], v16, off
	v_add_nc_u32_e32 v16, s10, v16
	v_cndmask_b32_e64 v18, 0xc61c4000, v7, s0
	s_cselect_b32 s0, -1, 0
	v_cndmask_b32_e32 v15, v15, v17, vcc_lo
	v_cndmask_b32_e64 v6, v6, v22, s0
	v_cndmask_b32_e64 v5, v5, v21, s0
	;; [unrolled: 1-line block ×4, first 2 shown]
	v_add_co_u32 v8, s0, v8, 4
	s_delay_alu instid0(VALU_DEP_1) | instskip(SKIP_1) | instid1(VALU_DEP_1)
	v_add_co_ci_u32_e64 v9, s0, 0, v9, s0
	v_add_co_u32 v10, s0, v10, 4
	v_add_co_ci_u32_e64 v11, s0, 0, v11, s0
	v_add_co_u32 v12, s0, v12, 4
	s_delay_alu instid0(VALU_DEP_1)
	v_add_co_ci_u32_e64 v13, s0, 0, v13, s0
	s_cmp_eq_u32 s4, s7
	s_cbranch_scc0 .LBB70_8
; %bb.9:
	s_and_b32 vcc_lo, exec_lo, vcc_lo
	s_cbranch_vccnz .LBB70_12
	s_branch .LBB70_15
.LBB70_10:
                                        ; implicit-def: $vgpr4_vgpr5_vgpr6_vgpr7
	s_and_not1_b32 vcc_lo, exec_lo, s12
	s_cbranch_vccz .LBB70_5
	s_branch .LBB70_6
.LBB70_11:
	v_mov_b32_e32 v15, 0
	s_and_b32 vcc_lo, exec_lo, vcc_lo
	s_cbranch_vccz .LBB70_15
.LBB70_12:
	s_and_not1_b32 vcc_lo, exec_lo, s3
	s_cbranch_vccnz .LBB70_15
; %bb.13:
	v_mul_lo_u32 v0, v14, s4
	v_cmp_lt_f32_e32 vcc_lo, 0, v15
	v_cndmask_b32_e32 v2, 1.0, v15, vcc_lo
	s_delay_alu instid0(VALU_DEP_3) | instskip(NEXT) | instid1(VALU_DEP_1)
	v_ashrrev_i32_e32 v1, 31, v0
	v_lshlrev_b64 v[0:1], 2, v[0:1]
	s_delay_alu instid0(VALU_DEP_1) | instskip(NEXT) | instid1(VALU_DEP_2)
	v_add_co_u32 v0, vcc_lo, s8, v0
	v_add_co_ci_u32_e32 v1, vcc_lo, s9, v1, vcc_lo
	.p2align	6
.LBB70_14:                              ; =>This Inner Loop Header: Depth=1
	global_load_b32 v3, v[0:1], off
	s_add_i32 s4, s4, -1
	s_delay_alu instid0(SALU_CYCLE_1) | instskip(SKIP_3) | instid1(VALU_DEP_2)
	s_cmp_lg_u32 s4, 0
	s_waitcnt vmcnt(0)
	v_div_scale_f32 v4, null, v2, v2, v3
	v_div_scale_f32 v7, vcc_lo, v3, v2, v3
	v_rcp_f32_e32 v5, v4
	s_waitcnt_depctr 0xfff
	v_fma_f32 v6, -v4, v5, 1.0
	s_delay_alu instid0(VALU_DEP_1) | instskip(NEXT) | instid1(VALU_DEP_1)
	v_fmac_f32_e32 v5, v6, v5
	v_mul_f32_e32 v6, v7, v5
	s_delay_alu instid0(VALU_DEP_1) | instskip(NEXT) | instid1(VALU_DEP_1)
	v_fma_f32 v8, -v4, v6, v7
	v_fmac_f32_e32 v6, v8, v5
	s_delay_alu instid0(VALU_DEP_1) | instskip(NEXT) | instid1(VALU_DEP_1)
	v_fma_f32 v4, -v4, v6, v7
	v_div_fmas_f32 v4, v4, v5, v6
	s_delay_alu instid0(VALU_DEP_1)
	v_div_fixup_f32 v3, v4, v2, v3
	global_store_b32 v[0:1], v3, off
	v_add_co_u32 v0, vcc_lo, v0, 4
	v_add_co_ci_u32_e32 v1, vcc_lo, 0, v1, vcc_lo
	s_cbranch_scc1 .LBB70_14
.LBB70_15:
	s_nop 0
	s_sendmsg sendmsg(MSG_DEALLOC_VGPRS)
	s_endpgm
	.section	.rodata,"a",@progbits
	.p2align	6, 0x0
	.amdhsa_kernel _ZN4vllm3moe10topkGatingILi4ELi4ELi4ELi8ELi64Ei6__halfLNS0_11ScoringFuncE0EEEvPKT5_PKbPfiPT4_PiiiibPKf
		.amdhsa_group_segment_fixed_size 0
		.amdhsa_private_segment_fixed_size 0
		.amdhsa_kernarg_size 72
		.amdhsa_user_sgpr_count 15
		.amdhsa_user_sgpr_dispatch_ptr 0
		.amdhsa_user_sgpr_queue_ptr 0
		.amdhsa_user_sgpr_kernarg_segment_ptr 1
		.amdhsa_user_sgpr_dispatch_id 0
		.amdhsa_user_sgpr_private_segment_size 0
		.amdhsa_wavefront_size32 1
		.amdhsa_uses_dynamic_stack 0
		.amdhsa_enable_private_segment 0
		.amdhsa_system_sgpr_workgroup_id_x 1
		.amdhsa_system_sgpr_workgroup_id_y 0
		.amdhsa_system_sgpr_workgroup_id_z 0
		.amdhsa_system_sgpr_workgroup_info 0
		.amdhsa_system_vgpr_workitem_id 1
		.amdhsa_next_free_vgpr 23
		.amdhsa_next_free_sgpr 16
		.amdhsa_reserve_vcc 1
		.amdhsa_float_round_mode_32 0
		.amdhsa_float_round_mode_16_64 0
		.amdhsa_float_denorm_mode_32 3
		.amdhsa_float_denorm_mode_16_64 3
		.amdhsa_dx10_clamp 1
		.amdhsa_ieee_mode 1
		.amdhsa_fp16_overflow 0
		.amdhsa_workgroup_processor_mode 1
		.amdhsa_memory_ordered 1
		.amdhsa_forward_progress 0
		.amdhsa_shared_vgpr_count 0
		.amdhsa_exception_fp_ieee_invalid_op 0
		.amdhsa_exception_fp_denorm_src 0
		.amdhsa_exception_fp_ieee_div_zero 0
		.amdhsa_exception_fp_ieee_overflow 0
		.amdhsa_exception_fp_ieee_underflow 0
		.amdhsa_exception_fp_ieee_inexact 0
		.amdhsa_exception_int_div_zero 0
	.end_amdhsa_kernel
	.section	.text._ZN4vllm3moe10topkGatingILi4ELi4ELi4ELi8ELi64Ei6__halfLNS0_11ScoringFuncE0EEEvPKT5_PKbPfiPT4_PiiiibPKf,"axG",@progbits,_ZN4vllm3moe10topkGatingILi4ELi4ELi4ELi8ELi64Ei6__halfLNS0_11ScoringFuncE0EEEvPKT5_PKbPfiPT4_PiiiibPKf,comdat
.Lfunc_end70:
	.size	_ZN4vllm3moe10topkGatingILi4ELi4ELi4ELi8ELi64Ei6__halfLNS0_11ScoringFuncE0EEEvPKT5_PKbPfiPT4_PiiiibPKf, .Lfunc_end70-_ZN4vllm3moe10topkGatingILi4ELi4ELi4ELi8ELi64Ei6__halfLNS0_11ScoringFuncE0EEEvPKT5_PKbPfiPT4_PiiiibPKf
                                        ; -- End function
	.section	.AMDGPU.csdata,"",@progbits
; Kernel info:
; codeLenInByte = 1660
; NumSgprs: 18
; NumVgprs: 23
; ScratchSize: 0
; MemoryBound: 0
; FloatMode: 240
; IeeeMode: 1
; LDSByteSize: 0 bytes/workgroup (compile time only)
; SGPRBlocks: 2
; VGPRBlocks: 2
; NumSGPRsForWavesPerEU: 18
; NumVGPRsForWavesPerEU: 23
; Occupancy: 16
; WaveLimiterHint : 0
; COMPUTE_PGM_RSRC2:SCRATCH_EN: 0
; COMPUTE_PGM_RSRC2:USER_SGPR: 15
; COMPUTE_PGM_RSRC2:TRAP_HANDLER: 0
; COMPUTE_PGM_RSRC2:TGID_X_EN: 1
; COMPUTE_PGM_RSRC2:TGID_Y_EN: 0
; COMPUTE_PGM_RSRC2:TGID_Z_EN: 0
; COMPUTE_PGM_RSRC2:TIDIG_COMP_CNT: 1
	.section	.text._ZN4vllm3moe10topkGatingILi4ELi4ELi4ELi8ELi32Ei6__halfLNS0_11ScoringFuncE0EEEvPKT5_PKbPfiPT4_PiiiibPKf,"axG",@progbits,_ZN4vllm3moe10topkGatingILi4ELi4ELi4ELi8ELi32Ei6__halfLNS0_11ScoringFuncE0EEEvPKT5_PKbPfiPT4_PiiiibPKf,comdat
	.protected	_ZN4vllm3moe10topkGatingILi4ELi4ELi4ELi8ELi32Ei6__halfLNS0_11ScoringFuncE0EEEvPKT5_PKbPfiPT4_PiiiibPKf ; -- Begin function _ZN4vllm3moe10topkGatingILi4ELi4ELi4ELi8ELi32Ei6__halfLNS0_11ScoringFuncE0EEEvPKT5_PKbPfiPT4_PiiiibPKf
	.globl	_ZN4vllm3moe10topkGatingILi4ELi4ELi4ELi8ELi32Ei6__halfLNS0_11ScoringFuncE0EEEvPKT5_PKbPfiPT4_PiiiibPKf
	.p2align	8
	.type	_ZN4vllm3moe10topkGatingILi4ELi4ELi4ELi8ELi32Ei6__halfLNS0_11ScoringFuncE0EEEvPKT5_PKbPfiPT4_PiiiibPKf,@function
_ZN4vllm3moe10topkGatingILi4ELi4ELi4ELi8ELi32Ei6__halfLNS0_11ScoringFuncE0EEEvPKT5_PKbPfiPT4_PiiiibPKf: ; @_ZN4vllm3moe10topkGatingILi4ELi4ELi4ELi8ELi32Ei6__halfLNS0_11ScoringFuncE0EEEvPKT5_PKbPfiPT4_PiiiibPKf
; %bb.0:
	s_load_b32 s10, s[0:1], 0x18
	v_bfe_u32 v1, v0, 10, 10
	v_and_b32_e32 v0, 0x3ff, v0
	s_lshl_b32 s2, s15, 7
	s_delay_alu instid0(VALU_DEP_2) | instskip(NEXT) | instid1(VALU_DEP_1)
	v_lshlrev_b32_e32 v1, 5, v1
	v_add3_u32 v14, v1, v0, s2
	s_mov_b32 s2, exec_lo
	s_waitcnt lgkmcnt(0)
	s_delay_alu instid0(VALU_DEP_1)
	v_cmpx_gt_i32_e64 s10, v14
	s_cbranch_execz .LBB71_15
; %bb.1:
	s_clause 0x1
	s_load_b128 s[4:7], s[0:1], 0x0
	s_load_b64 s[8:9], s[0:1], 0x10
	s_mov_b32 s12, -1
	s_mov_b32 s11, -1
	s_waitcnt lgkmcnt(0)
	s_cmp_eq_u64 s[6:7], 0
	s_cbranch_scc1 .LBB71_3
; %bb.2:
	v_ashrrev_i32_e32 v1, 31, v14
	v_add_co_u32 v0, vcc_lo, s6, v14
	s_delay_alu instid0(VALU_DEP_2) | instskip(SKIP_3) | instid1(VALU_DEP_1)
	v_add_co_ci_u32_e32 v1, vcc_lo, s7, v1, vcc_lo
	global_load_u8 v0, v[0:1], off
	s_waitcnt vmcnt(0)
	v_and_b32_e32 v0, 1, v0
	v_cmp_eq_u32_e32 vcc_lo, 1, v0
	s_xor_b32 s2, vcc_lo, -1
	s_delay_alu instid0(SALU_CYCLE_1)
	s_or_not1_b32 s11, s2, exec_lo
.LBB71_3:
	v_lshlrev_b32_e32 v0, 2, v14
	s_load_b64 s[2:3], s[0:1], 0x40
	s_delay_alu instid0(VALU_DEP_1) | instskip(NEXT) | instid1(VALU_DEP_1)
	v_ashrrev_i32_e32 v1, 31, v0
	v_lshlrev_b64 v[0:1], 1, v[0:1]
	s_delay_alu instid0(VALU_DEP_1) | instskip(NEXT) | instid1(VALU_DEP_2)
	v_add_co_u32 v0, vcc_lo, s4, v0
	v_add_co_ci_u32_e32 v1, vcc_lo, s5, v1, vcc_lo
	s_waitcnt lgkmcnt(0)
	s_cmp_eq_u64 s[2:3], 0
	global_load_b64 v[0:1], v[0:1], off
	s_waitcnt vmcnt(0)
	v_lshrrev_b32_e32 v2, 16, v0
	v_cvt_f32_f16_e32 v0, v0
	v_lshrrev_b32_e32 v3, 16, v1
	v_cvt_f32_f16_e32 v1, v1
	s_delay_alu instid0(VALU_DEP_4) | instskip(NEXT) | instid1(VALU_DEP_3)
	v_cvt_f32_f16_e32 v2, v2
	v_cvt_f32_f16_e32 v3, v3
	s_delay_alu instid0(VALU_DEP_2) | instskip(NEXT) | instid1(VALU_DEP_1)
	v_max_f32_e32 v4, v0, v2
	v_max3_f32 v4, v4, v1, v3
	s_delay_alu instid0(VALU_DEP_1) | instskip(SKIP_3) | instid1(VALU_DEP_4)
	v_sub_f32_e32 v2, v2, v4
	v_sub_f32_e32 v0, v0, v4
	;; [unrolled: 1-line block ×4, first 2 shown]
	v_mul_f32_e32 v5, 0x3fb8aa3b, v2
	s_delay_alu instid0(VALU_DEP_4) | instskip(NEXT) | instid1(VALU_DEP_3)
	v_cmp_ngt_f32_e32 vcc_lo, 0xc2ce8ed0, v0
	v_dual_mul_f32 v6, 0x3fb8aa3b, v1 :: v_dual_mul_f32 v7, 0x3fb8aa3b, v3
	s_delay_alu instid0(VALU_DEP_3) | instskip(SKIP_1) | instid1(VALU_DEP_3)
	v_fma_f32 v10, 0x3fb8aa3b, v2, -v5
	v_rndne_f32_e32 v11, v5
	v_fma_f32 v12, 0x3fb8aa3b, v1, -v6
	s_delay_alu instid0(VALU_DEP_4)
	v_fma_f32 v15, 0x3fb8aa3b, v3, -v7
	v_rndne_f32_e32 v16, v7
	v_rndne_f32_e32 v13, v6
	v_dual_sub_f32 v5, v5, v11 :: v_dual_fmac_f32 v10, 0x32a5705f, v2
	v_mul_f32_e32 v4, 0x3fb8aa3b, v0
	v_fmac_f32_e32 v12, 0x32a5705f, v1
	s_delay_alu instid0(VALU_DEP_4) | instskip(NEXT) | instid1(VALU_DEP_4)
	v_dual_sub_f32 v6, v6, v13 :: v_dual_fmac_f32 v15, 0x32a5705f, v3
	v_add_f32_e32 v5, v5, v10
	s_delay_alu instid0(VALU_DEP_4)
	v_fma_f32 v8, 0x3fb8aa3b, v0, -v4
	v_rndne_f32_e32 v9, v4
	v_sub_f32_e32 v7, v7, v16
	v_add_f32_e32 v6, v6, v12
	v_exp_f32_e32 v5, v5
	v_fmac_f32_e32 v8, 0x32a5705f, v0
	v_sub_f32_e32 v4, v4, v9
	v_cvt_i32_f32_e32 v10, v13
	v_exp_f32_e32 v6, v6
	s_delay_alu instid0(VALU_DEP_2) | instskip(SKIP_2) | instid1(VALU_DEP_3)
	v_dual_add_f32 v7, v7, v15 :: v_dual_add_f32 v4, v4, v8
	v_cvt_i32_f32_e32 v8, v9
	v_cvt_i32_f32_e32 v9, v11
	v_exp_f32_e32 v7, v7
	v_cvt_i32_f32_e32 v11, v16
	v_exp_f32_e32 v4, v4
	s_delay_alu instid0(VALU_DEP_2) | instskip(NEXT) | instid1(TRANS32_DEP_3)
	v_ldexp_f32 v5, v5, v9
	v_ldexp_f32 v6, v6, v10
	s_waitcnt_depctr 0xfff
	v_ldexp_f32 v7, v7, v11
	v_ldexp_f32 v4, v4, v8
	s_delay_alu instid0(VALU_DEP_1)
	v_cndmask_b32_e32 v4, 0, v4, vcc_lo
	v_cmp_ngt_f32_e32 vcc_lo, 0xc2ce8ed0, v2
	v_cndmask_b32_e32 v5, 0, v5, vcc_lo
	v_cmp_ngt_f32_e32 vcc_lo, 0xc2ce8ed0, v1
	v_cndmask_b32_e32 v6, 0, v6, vcc_lo
	v_cmp_nlt_f32_e32 vcc_lo, 0x42b17218, v0
	v_cndmask_b32_e32 v0, 0x7f800000, v4, vcc_lo
	v_cmp_nlt_f32_e32 vcc_lo, 0x42b17218, v2
	v_cndmask_b32_e32 v2, 0x7f800000, v5, vcc_lo
	v_cmp_ngt_f32_e32 vcc_lo, 0xc2ce8ed0, v3
	s_delay_alu instid0(VALU_DEP_2) | instskip(SKIP_3) | instid1(VALU_DEP_2)
	v_dual_add_f32 v5, v0, v2 :: v_dual_cndmask_b32 v4, 0, v7
	v_cmp_nlt_f32_e32 vcc_lo, 0x42b17218, v1
	v_cndmask_b32_e32 v1, 0x7f800000, v6, vcc_lo
	v_cmp_nlt_f32_e32 vcc_lo, 0x42b17218, v3
	v_dual_cndmask_b32 v3, 0x7f800000, v4 :: v_dual_add_f32 v4, v5, v1
	s_delay_alu instid0(VALU_DEP_1) | instskip(NEXT) | instid1(VALU_DEP_1)
	v_add_f32_e32 v4, v4, v3
	v_div_scale_f32 v5, null, v4, v4, 1.0
	v_div_scale_f32 v8, vcc_lo, 1.0, v4, 1.0
	s_delay_alu instid0(VALU_DEP_2) | instskip(SKIP_2) | instid1(VALU_DEP_1)
	v_rcp_f32_e32 v6, v5
	s_waitcnt_depctr 0xfff
	v_fma_f32 v7, -v5, v6, 1.0
	v_fmac_f32_e32 v6, v7, v6
	s_delay_alu instid0(VALU_DEP_1) | instskip(NEXT) | instid1(VALU_DEP_1)
	v_mul_f32_e32 v7, v8, v6
	v_fma_f32 v9, -v5, v7, v8
	s_delay_alu instid0(VALU_DEP_1) | instskip(NEXT) | instid1(VALU_DEP_1)
	v_fmac_f32_e32 v7, v9, v6
	v_fma_f32 v5, -v5, v7, v8
	s_delay_alu instid0(VALU_DEP_1) | instskip(NEXT) | instid1(VALU_DEP_1)
	v_div_fmas_f32 v5, v5, v6, v7
	v_div_fixup_f32 v4, v5, v4, 1.0
	s_delay_alu instid0(VALU_DEP_1) | instskip(SKIP_3) | instid1(VALU_DEP_4)
	v_mul_f32_e32 v0, v4, v0
	v_mul_f32_e32 v2, v4, v2
	;; [unrolled: 1-line block ×4, first 2 shown]
	v_cmp_class_f32_e64 vcc_lo, v0, 0x1f8
	v_cndmask_b32_e32 v0, 0, v0, vcc_lo
	v_cmp_class_f32_e64 vcc_lo, v2, 0x1f8
	v_cndmask_b32_e32 v1, 0, v2, vcc_lo
	;; [unrolled: 2-line block ×4, first 2 shown]
	s_cbranch_scc1 .LBB71_10
; %bb.4:
	s_load_b128 s[4:7], s[2:3], 0x0
	s_waitcnt lgkmcnt(0)
	v_dual_add_f32 v4, s4, v0 :: v_dual_add_f32 v5, s5, v1
	v_dual_add_f32 v6, s6, v2 :: v_dual_add_f32 v7, s7, v3
	s_cbranch_execnz .LBB71_6
.LBB71_5:
	v_dual_mov_b32 v7, v3 :: v_dual_mov_b32 v6, v2
	v_dual_mov_b32 v5, v1 :: v_dual_mov_b32 v4, v0
.LBB71_6:
	s_load_b128 s[4:7], s[0:1], 0x30
	s_waitcnt lgkmcnt(0)
	s_bitcmp1_b32 s7, 0
	s_mov_b32 s7, 0
	s_cselect_b32 vcc_lo, -1, 0
	s_cmp_gt_i32 s4, 0
	s_cselect_b32 s3, -1, 0
	s_cmp_lt_i32 s4, 1
	s_cbranch_scc1 .LBB71_11
; %bb.7:
	v_mul_lo_u32 v8, v14, s4
	s_load_b128 s[12:15], s[0:1], 0x20
	v_dual_mov_b32 v15, 0 :: v_dual_mov_b32 v16, v14
	s_delay_alu instid0(VALU_DEP_2) | instskip(NEXT) | instid1(VALU_DEP_1)
	v_ashrrev_i32_e32 v9, 31, v8
	v_lshlrev_b64 v[12:13], 2, v[8:9]
	s_delay_alu instid0(VALU_DEP_1) | instskip(NEXT) | instid1(VALU_DEP_1)
	v_add_co_u32 v8, s0, s8, v12
	v_add_co_ci_u32_e64 v9, s0, s9, v13, s0
	s_waitcnt lgkmcnt(0)
	v_add_co_u32 v10, s0, s12, v12
	s_delay_alu instid0(VALU_DEP_1) | instskip(SKIP_1) | instid1(VALU_DEP_1)
	v_add_co_ci_u32_e64 v11, s0, s13, v13, s0
	v_add_co_u32 v12, s0, s14, v12
	v_add_co_ci_u32_e64 v13, s0, s15, v13, s0
.LBB71_8:                               ; =>This Inner Loop Header: Depth=1
	v_cmp_gt_f32_e64 s0, v5, v4
	s_add_i32 s7, s7, 1
	s_delay_alu instid0(VALU_DEP_1) | instskip(SKIP_2) | instid1(VALU_DEP_3)
	v_cndmask_b32_e64 v17, v4, v5, s0
	v_cndmask_b32_e64 v18, v0, v1, s0
	;; [unrolled: 1-line block ×3, first 2 shown]
	v_cmp_gt_f32_e64 s1, v6, v17
	s_delay_alu instid0(VALU_DEP_1) | instskip(NEXT) | instid1(VALU_DEP_4)
	v_cndmask_b32_e64 v17, v17, v6, s1
	v_cndmask_b32_e64 v18, v18, v2, s1
	s_delay_alu instid0(VALU_DEP_4) | instskip(NEXT) | instid1(VALU_DEP_3)
	v_cndmask_b32_e64 v19, v19, 2, s1
	v_cmp_gt_f32_e64 s0, v7, v17
	s_delay_alu instid0(VALU_DEP_1) | instskip(NEXT) | instid1(VALU_DEP_3)
	v_cndmask_b32_e64 v17, v18, v3, s0
	v_cndmask_b32_e64 v18, v19, 3, s0
	global_store_b32 v[8:9], v17, off
	v_cmp_le_i32_e64 s0, s5, v18
	v_cmp_gt_i32_e64 s1, s6, v18
	v_subrev_nc_u32_e32 v19, s5, v18
	v_cmp_ne_u32_e64 s2, 0, v18
	v_add_f32_e32 v17, v15, v17
	s_delay_alu instid0(VALU_DEP_4) | instskip(SKIP_1) | instid1(VALU_DEP_3)
	s_and_b32 s1, s0, s1
	v_cmp_ne_u32_e64 s0, 2, v18
	v_cndmask_b32_e64 v20, 0xc61c4000, v4, s2
	v_cmp_ne_u32_e64 s2, 1, v18
	s_delay_alu instid0(VALU_DEP_3) | instskip(SKIP_1) | instid1(VALU_DEP_2)
	v_cndmask_b32_e64 v22, 0xc61c4000, v6, s0
	s_and_b32 s0, s11, s1
	v_cndmask_b32_e64 v21, 0xc61c4000, v5, s2
	v_cndmask_b32_e64 v19, 4, v19, s0
	v_cmp_ne_u32_e64 s0, 3, v18
	s_cmp_lt_i32 s7, s4
	global_store_b32 v[10:11], v19, off
	global_store_b32 v[12:13], v16, off
	v_add_nc_u32_e32 v16, s10, v16
	v_cndmask_b32_e64 v18, 0xc61c4000, v7, s0
	s_cselect_b32 s0, -1, 0
	v_cndmask_b32_e32 v15, v15, v17, vcc_lo
	v_cndmask_b32_e64 v6, v6, v22, s0
	v_cndmask_b32_e64 v5, v5, v21, s0
	;; [unrolled: 1-line block ×4, first 2 shown]
	v_add_co_u32 v8, s0, v8, 4
	s_delay_alu instid0(VALU_DEP_1) | instskip(SKIP_1) | instid1(VALU_DEP_1)
	v_add_co_ci_u32_e64 v9, s0, 0, v9, s0
	v_add_co_u32 v10, s0, v10, 4
	v_add_co_ci_u32_e64 v11, s0, 0, v11, s0
	v_add_co_u32 v12, s0, v12, 4
	s_delay_alu instid0(VALU_DEP_1)
	v_add_co_ci_u32_e64 v13, s0, 0, v13, s0
	s_cmp_eq_u32 s4, s7
	s_cbranch_scc0 .LBB71_8
; %bb.9:
	s_and_b32 vcc_lo, exec_lo, vcc_lo
	s_cbranch_vccnz .LBB71_12
	s_branch .LBB71_15
.LBB71_10:
                                        ; implicit-def: $vgpr4_vgpr5_vgpr6_vgpr7
	s_and_not1_b32 vcc_lo, exec_lo, s12
	s_cbranch_vccz .LBB71_5
	s_branch .LBB71_6
.LBB71_11:
	v_mov_b32_e32 v15, 0
	s_and_b32 vcc_lo, exec_lo, vcc_lo
	s_cbranch_vccz .LBB71_15
.LBB71_12:
	s_and_not1_b32 vcc_lo, exec_lo, s3
	s_cbranch_vccnz .LBB71_15
; %bb.13:
	v_mul_lo_u32 v0, v14, s4
	v_cmp_lt_f32_e32 vcc_lo, 0, v15
	v_cndmask_b32_e32 v2, 1.0, v15, vcc_lo
	s_delay_alu instid0(VALU_DEP_3) | instskip(NEXT) | instid1(VALU_DEP_1)
	v_ashrrev_i32_e32 v1, 31, v0
	v_lshlrev_b64 v[0:1], 2, v[0:1]
	s_delay_alu instid0(VALU_DEP_1) | instskip(NEXT) | instid1(VALU_DEP_2)
	v_add_co_u32 v0, vcc_lo, s8, v0
	v_add_co_ci_u32_e32 v1, vcc_lo, s9, v1, vcc_lo
	.p2align	6
.LBB71_14:                              ; =>This Inner Loop Header: Depth=1
	global_load_b32 v3, v[0:1], off
	s_add_i32 s4, s4, -1
	s_delay_alu instid0(SALU_CYCLE_1) | instskip(SKIP_3) | instid1(VALU_DEP_2)
	s_cmp_lg_u32 s4, 0
	s_waitcnt vmcnt(0)
	v_div_scale_f32 v4, null, v2, v2, v3
	v_div_scale_f32 v7, vcc_lo, v3, v2, v3
	v_rcp_f32_e32 v5, v4
	s_waitcnt_depctr 0xfff
	v_fma_f32 v6, -v4, v5, 1.0
	s_delay_alu instid0(VALU_DEP_1) | instskip(NEXT) | instid1(VALU_DEP_1)
	v_fmac_f32_e32 v5, v6, v5
	v_mul_f32_e32 v6, v7, v5
	s_delay_alu instid0(VALU_DEP_1) | instskip(NEXT) | instid1(VALU_DEP_1)
	v_fma_f32 v8, -v4, v6, v7
	v_fmac_f32_e32 v6, v8, v5
	s_delay_alu instid0(VALU_DEP_1) | instskip(NEXT) | instid1(VALU_DEP_1)
	v_fma_f32 v4, -v4, v6, v7
	v_div_fmas_f32 v4, v4, v5, v6
	s_delay_alu instid0(VALU_DEP_1)
	v_div_fixup_f32 v3, v4, v2, v3
	global_store_b32 v[0:1], v3, off
	v_add_co_u32 v0, vcc_lo, v0, 4
	v_add_co_ci_u32_e32 v1, vcc_lo, 0, v1, vcc_lo
	s_cbranch_scc1 .LBB71_14
.LBB71_15:
	s_nop 0
	s_sendmsg sendmsg(MSG_DEALLOC_VGPRS)
	s_endpgm
	.section	.rodata,"a",@progbits
	.p2align	6, 0x0
	.amdhsa_kernel _ZN4vllm3moe10topkGatingILi4ELi4ELi4ELi8ELi32Ei6__halfLNS0_11ScoringFuncE0EEEvPKT5_PKbPfiPT4_PiiiibPKf
		.amdhsa_group_segment_fixed_size 0
		.amdhsa_private_segment_fixed_size 0
		.amdhsa_kernarg_size 72
		.amdhsa_user_sgpr_count 15
		.amdhsa_user_sgpr_dispatch_ptr 0
		.amdhsa_user_sgpr_queue_ptr 0
		.amdhsa_user_sgpr_kernarg_segment_ptr 1
		.amdhsa_user_sgpr_dispatch_id 0
		.amdhsa_user_sgpr_private_segment_size 0
		.amdhsa_wavefront_size32 1
		.amdhsa_uses_dynamic_stack 0
		.amdhsa_enable_private_segment 0
		.amdhsa_system_sgpr_workgroup_id_x 1
		.amdhsa_system_sgpr_workgroup_id_y 0
		.amdhsa_system_sgpr_workgroup_id_z 0
		.amdhsa_system_sgpr_workgroup_info 0
		.amdhsa_system_vgpr_workitem_id 1
		.amdhsa_next_free_vgpr 23
		.amdhsa_next_free_sgpr 16
		.amdhsa_reserve_vcc 1
		.amdhsa_float_round_mode_32 0
		.amdhsa_float_round_mode_16_64 0
		.amdhsa_float_denorm_mode_32 3
		.amdhsa_float_denorm_mode_16_64 3
		.amdhsa_dx10_clamp 1
		.amdhsa_ieee_mode 1
		.amdhsa_fp16_overflow 0
		.amdhsa_workgroup_processor_mode 1
		.amdhsa_memory_ordered 1
		.amdhsa_forward_progress 0
		.amdhsa_shared_vgpr_count 0
		.amdhsa_exception_fp_ieee_invalid_op 0
		.amdhsa_exception_fp_denorm_src 0
		.amdhsa_exception_fp_ieee_div_zero 0
		.amdhsa_exception_fp_ieee_overflow 0
		.amdhsa_exception_fp_ieee_underflow 0
		.amdhsa_exception_fp_ieee_inexact 0
		.amdhsa_exception_int_div_zero 0
	.end_amdhsa_kernel
	.section	.text._ZN4vllm3moe10topkGatingILi4ELi4ELi4ELi8ELi32Ei6__halfLNS0_11ScoringFuncE0EEEvPKT5_PKbPfiPT4_PiiiibPKf,"axG",@progbits,_ZN4vllm3moe10topkGatingILi4ELi4ELi4ELi8ELi32Ei6__halfLNS0_11ScoringFuncE0EEEvPKT5_PKbPfiPT4_PiiiibPKf,comdat
.Lfunc_end71:
	.size	_ZN4vllm3moe10topkGatingILi4ELi4ELi4ELi8ELi32Ei6__halfLNS0_11ScoringFuncE0EEEvPKT5_PKbPfiPT4_PiiiibPKf, .Lfunc_end71-_ZN4vllm3moe10topkGatingILi4ELi4ELi4ELi8ELi32Ei6__halfLNS0_11ScoringFuncE0EEEvPKT5_PKbPfiPT4_PiiiibPKf
                                        ; -- End function
	.section	.AMDGPU.csdata,"",@progbits
; Kernel info:
; codeLenInByte = 1660
; NumSgprs: 18
; NumVgprs: 23
; ScratchSize: 0
; MemoryBound: 0
; FloatMode: 240
; IeeeMode: 1
; LDSByteSize: 0 bytes/workgroup (compile time only)
; SGPRBlocks: 2
; VGPRBlocks: 2
; NumSGPRsForWavesPerEU: 18
; NumVGPRsForWavesPerEU: 23
; Occupancy: 16
; WaveLimiterHint : 0
; COMPUTE_PGM_RSRC2:SCRATCH_EN: 0
; COMPUTE_PGM_RSRC2:USER_SGPR: 15
; COMPUTE_PGM_RSRC2:TRAP_HANDLER: 0
; COMPUTE_PGM_RSRC2:TGID_X_EN: 1
; COMPUTE_PGM_RSRC2:TGID_Y_EN: 0
; COMPUTE_PGM_RSRC2:TGID_Z_EN: 0
; COMPUTE_PGM_RSRC2:TIDIG_COMP_CNT: 1
	.section	.text._ZN4vllm3moe10topkGatingILi8ELi8ELi4ELi16ELi64Ei6__halfLNS0_11ScoringFuncE0EEEvPKT5_PKbPfiPT4_PiiiibPKf,"axG",@progbits,_ZN4vllm3moe10topkGatingILi8ELi8ELi4ELi16ELi64Ei6__halfLNS0_11ScoringFuncE0EEEvPKT5_PKbPfiPT4_PiiiibPKf,comdat
	.protected	_ZN4vllm3moe10topkGatingILi8ELi8ELi4ELi16ELi64Ei6__halfLNS0_11ScoringFuncE0EEEvPKT5_PKbPfiPT4_PiiiibPKf ; -- Begin function _ZN4vllm3moe10topkGatingILi8ELi8ELi4ELi16ELi64Ei6__halfLNS0_11ScoringFuncE0EEEvPKT5_PKbPfiPT4_PiiiibPKf
	.globl	_ZN4vllm3moe10topkGatingILi8ELi8ELi4ELi16ELi64Ei6__halfLNS0_11ScoringFuncE0EEEvPKT5_PKbPfiPT4_PiiiibPKf
	.p2align	8
	.type	_ZN4vllm3moe10topkGatingILi8ELi8ELi4ELi16ELi64Ei6__halfLNS0_11ScoringFuncE0EEEvPKT5_PKbPfiPT4_PiiiibPKf,@function
_ZN4vllm3moe10topkGatingILi8ELi8ELi4ELi16ELi64Ei6__halfLNS0_11ScoringFuncE0EEEvPKT5_PKbPfiPT4_PiiiibPKf: ; @_ZN4vllm3moe10topkGatingILi8ELi8ELi4ELi16ELi64Ei6__halfLNS0_11ScoringFuncE0EEEvPKT5_PKbPfiPT4_PiiiibPKf
; %bb.0:
	s_load_b32 s14, s[0:1], 0x18
	v_bfe_u32 v1, v0, 10, 10
	v_and_b32_e32 v0, 0x3ff, v0
	s_lshl_b32 s2, s15, 8
	s_delay_alu instid0(VALU_DEP_2) | instskip(NEXT) | instid1(VALU_DEP_1)
	v_lshlrev_b32_e32 v1, 6, v1
	v_add3_u32 v16, v1, v0, s2
	s_mov_b32 s2, exec_lo
	s_waitcnt lgkmcnt(0)
	s_delay_alu instid0(VALU_DEP_1)
	v_cmpx_gt_i32_e64 s14, v16
	s_cbranch_execz .LBB72_15
; %bb.1:
	s_clause 0x1
	s_load_b128 s[4:7], s[0:1], 0x0
	s_load_b64 s[12:13], s[0:1], 0x10
	s_mov_b32 s8, -1
	s_mov_b32 s15, -1
	s_waitcnt lgkmcnt(0)
	s_cmp_eq_u64 s[6:7], 0
	s_cbranch_scc1 .LBB72_3
; %bb.2:
	v_ashrrev_i32_e32 v1, 31, v16
	v_add_co_u32 v0, vcc_lo, s6, v16
	s_delay_alu instid0(VALU_DEP_2) | instskip(SKIP_3) | instid1(VALU_DEP_1)
	v_add_co_ci_u32_e32 v1, vcc_lo, s7, v1, vcc_lo
	global_load_u8 v0, v[0:1], off
	s_waitcnt vmcnt(0)
	v_and_b32_e32 v0, 1, v0
	v_cmp_eq_u32_e32 vcc_lo, 1, v0
	s_xor_b32 s2, vcc_lo, -1
	s_delay_alu instid0(SALU_CYCLE_1)
	s_or_not1_b32 s15, s2, exec_lo
.LBB72_3:
	v_lshlrev_b32_e32 v0, 3, v16
	s_load_b64 s[2:3], s[0:1], 0x40
	s_delay_alu instid0(VALU_DEP_1) | instskip(NEXT) | instid1(VALU_DEP_1)
	v_ashrrev_i32_e32 v1, 31, v0
	v_lshlrev_b64 v[0:1], 1, v[0:1]
	s_delay_alu instid0(VALU_DEP_1) | instskip(NEXT) | instid1(VALU_DEP_2)
	v_add_co_u32 v0, vcc_lo, s4, v0
	v_add_co_ci_u32_e32 v1, vcc_lo, s5, v1, vcc_lo
	s_waitcnt lgkmcnt(0)
	s_cmp_eq_u64 s[2:3], 0
	global_load_b128 v[0:3], v[0:1], off
	s_waitcnt vmcnt(0)
	v_lshrrev_b32_e32 v4, 16, v0
	v_cvt_f32_f16_e32 v0, v0
	v_lshrrev_b32_e32 v5, 16, v1
	v_cvt_f32_f16_e32 v1, v1
	;; [unrolled: 2-line block ×3, first 2 shown]
	v_cvt_f32_f16_e32 v2, v2
	v_cvt_f32_f16_e32 v5, v5
	v_lshrrev_b32_e32 v8, 16, v3
	v_cvt_f32_f16_e32 v6, v6
	v_max_f32_e32 v7, v0, v4
	v_cvt_f32_f16_e32 v3, v3
	s_delay_alu instid0(VALU_DEP_4) | instskip(NEXT) | instid1(VALU_DEP_3)
	v_cvt_f32_f16_e32 v8, v8
	v_max3_f32 v7, v7, v1, v5
	s_delay_alu instid0(VALU_DEP_1) | instskip(NEXT) | instid1(VALU_DEP_1)
	v_max3_f32 v7, v7, v2, v6
	v_max3_f32 v7, v7, v3, v8
	s_delay_alu instid0(VALU_DEP_1) | instskip(SKIP_2) | instid1(VALU_DEP_3)
	v_sub_f32_e32 v1, v1, v7
	v_sub_f32_e32 v5, v5, v7
	;; [unrolled: 1-line block ×3, first 2 shown]
	v_mul_f32_e32 v10, 0x3fb8aa3b, v1
	s_delay_alu instid0(VALU_DEP_3) | instskip(NEXT) | instid1(VALU_DEP_3)
	v_dual_mul_f32 v11, 0x3fb8aa3b, v5 :: v_dual_sub_f32 v0, v0, v7
	v_dual_mul_f32 v9, 0x3fb8aa3b, v4 :: v_dual_sub_f32 v6, v6, v7
	v_sub_f32_e32 v2, v2, v7
	v_sub_f32_e32 v3, v3, v7
	v_rndne_f32_e32 v22, v10
	v_dual_sub_f32 v7, v8, v7 :: v_dual_mul_f32 v8, 0x3fb8aa3b, v0
	v_fma_f32 v21, 0x3fb8aa3b, v1, -v10
	v_rndne_f32_e32 v24, v11
	s_delay_alu instid0(VALU_DEP_4)
	v_sub_f32_e32 v10, v10, v22
	v_fma_f32 v23, 0x3fb8aa3b, v5, -v11
	v_fma_f32 v17, 0x3fb8aa3b, v0, -v8
	v_rndne_f32_e32 v18, v8
	v_mul_f32_e32 v15, 0x3fb8aa3b, v7
	v_fma_f32 v19, 0x3fb8aa3b, v4, -v9
	v_rndne_f32_e32 v20, v9
	s_delay_alu instid0(VALU_DEP_4)
	v_dual_fmac_f32 v17, 0x32a5705f, v0 :: v_dual_sub_f32 v8, v8, v18
	v_sub_f32_e32 v11, v11, v24
	v_mul_f32_e32 v13, 0x3fb8aa3b, v6
	v_mul_f32_e32 v12, 0x3fb8aa3b, v2
	v_cvt_i32_f32_e32 v18, v18
	v_add_f32_e32 v8, v8, v17
	v_dual_mul_f32 v14, 0x3fb8aa3b, v3 :: v_dual_sub_f32 v9, v9, v20
	s_delay_alu instid0(VALU_DEP_4) | instskip(SKIP_1) | instid1(VALU_DEP_4)
	v_rndne_f32_e32 v26, v12
	v_fmac_f32_e32 v19, 0x32a5705f, v4
	v_exp_f32_e32 v8, v8
	v_cmp_ngt_f32_e32 vcc_lo, 0xc2ce8ed0, v0
	v_fma_f32 v25, 0x3fb8aa3b, v2, -v12
	v_sub_f32_e32 v12, v12, v26
	v_rndne_f32_e32 v30, v14
	v_fmac_f32_e32 v21, 0x32a5705f, v1
	v_fma_f32 v29, 0x3fb8aa3b, v3, -v14
	v_cvt_i32_f32_e32 v20, v20
	v_cvt_i32_f32_e32 v22, v22
	v_sub_f32_e32 v14, v14, v30
	v_ldexp_f32 v8, v8, v18
	v_fmac_f32_e32 v23, 0x32a5705f, v5
	v_dual_fmac_f32 v25, 0x32a5705f, v2 :: v_dual_add_f32 v10, v10, v21
	v_rndne_f32_e32 v28, v13
	s_delay_alu instid0(VALU_DEP_4) | instskip(SKIP_1) | instid1(VALU_DEP_4)
	v_dual_cndmask_b32 v8, 0, v8 :: v_dual_add_f32 v9, v9, v19
	v_cmp_ngt_f32_e32 vcc_lo, 0xc2ce8ed0, v4
	v_exp_f32_e32 v10, v10
	v_fma_f32 v27, 0x3fb8aa3b, v6, -v13
	v_rndne_f32_e32 v32, v15
	v_exp_f32_e32 v9, v9
	v_fma_f32 v31, 0x3fb8aa3b, v7, -v15
	v_cvt_i32_f32_e32 v17, v30
	v_cvt_i32_f32_e32 v24, v24
	v_dual_fmac_f32 v27, 0x32a5705f, v6 :: v_dual_add_f32 v12, v12, v25
	v_cvt_i32_f32_e32 v26, v26
	s_delay_alu instid0(TRANS32_DEP_2) | instskip(SKIP_1) | instid1(TRANS32_DEP_1)
	v_ldexp_f32 v10, v10, v22
	v_cvt_i32_f32_e32 v19, v32
	v_ldexp_f32 v9, v9, v20
	v_exp_f32_e32 v12, v12
	s_delay_alu instid0(VALU_DEP_1) | instskip(SKIP_2) | instid1(VALU_DEP_1)
	v_cndmask_b32_e32 v9, 0, v9, vcc_lo
	v_cmp_ngt_f32_e32 vcc_lo, 0xc2ce8ed0, v1
	v_dual_fmac_f32 v29, 0x32a5705f, v3 :: v_dual_cndmask_b32 v10, 0, v10
	v_dual_sub_f32 v13, v13, v28 :: v_dual_add_f32 v14, v14, v29
	v_cmp_nlt_f32_e32 vcc_lo, 0x42b17218, v0
	s_waitcnt_depctr 0xfff
	v_ldexp_f32 v12, v12, v26
	v_cvt_i32_f32_e32 v28, v28
	v_exp_f32_e32 v14, v14
	v_cndmask_b32_e32 v0, 0x7f800000, v8, vcc_lo
	v_cmp_nlt_f32_e32 vcc_lo, 0x42b17218, v4
	v_dual_sub_f32 v15, v15, v32 :: v_dual_cndmask_b32 v4, 0x7f800000, v9
	v_cmp_ngt_f32_e32 vcc_lo, 0xc2ce8ed0, v5
	s_waitcnt_depctr 0xfff
	v_ldexp_f32 v14, v14, v17
	v_add_f32_e32 v9, v0, v4
	v_add_f32_e32 v11, v11, v23
	s_delay_alu instid0(VALU_DEP_1) | instskip(SKIP_2) | instid1(VALU_DEP_1)
	v_exp_f32_e32 v11, v11
	s_waitcnt_depctr 0xfff
	v_ldexp_f32 v11, v11, v24
	v_cndmask_b32_e32 v8, 0, v11, vcc_lo
	v_cmp_nlt_f32_e32 vcc_lo, 0x42b17218, v1
	v_cndmask_b32_e32 v1, 0x7f800000, v10, vcc_lo
	v_cmp_ngt_f32_e32 vcc_lo, 0xc2ce8ed0, v2
	v_dual_fmac_f32 v31, 0x32a5705f, v7 :: v_dual_cndmask_b32 v10, 0, v12
	v_add_f32_e32 v13, v13, v27
	v_cmp_nlt_f32_e32 vcc_lo, 0x42b17218, v5
	s_delay_alu instid0(VALU_DEP_2) | instskip(SKIP_3) | instid1(VALU_DEP_1)
	v_exp_f32_e32 v13, v13
	v_cndmask_b32_e32 v5, 0x7f800000, v8, vcc_lo
	v_cmp_ngt_f32_e32 vcc_lo, 0xc2ce8ed0, v6
	v_dual_add_f32 v8, v9, v1 :: v_dual_add_f32 v15, v15, v31
	v_add_f32_e32 v8, v8, v5
	s_delay_alu instid0(VALU_DEP_2) | instskip(SKIP_2) | instid1(VALU_DEP_1)
	v_exp_f32_e32 v15, v15
	s_waitcnt_depctr 0xfff
	v_ldexp_f32 v13, v13, v28
	v_cndmask_b32_e32 v9, 0, v13, vcc_lo
	v_cmp_nlt_f32_e32 vcc_lo, 0x42b17218, v2
	v_ldexp_f32 v15, v15, v19
	v_cndmask_b32_e32 v2, 0x7f800000, v10, vcc_lo
	v_cmp_ngt_f32_e32 vcc_lo, 0xc2ce8ed0, v3
	s_delay_alu instid0(VALU_DEP_2) | instskip(SKIP_4) | instid1(VALU_DEP_2)
	v_add_f32_e32 v8, v8, v2
	v_cndmask_b32_e32 v10, 0, v14, vcc_lo
	v_cmp_nlt_f32_e32 vcc_lo, 0x42b17218, v6
	v_cndmask_b32_e32 v6, 0x7f800000, v9, vcc_lo
	v_cmp_ngt_f32_e32 vcc_lo, 0xc2ce8ed0, v7
	v_dual_add_f32 v8, v8, v6 :: v_dual_cndmask_b32 v9, 0, v15
	v_cmp_nlt_f32_e32 vcc_lo, 0x42b17218, v3
	v_cndmask_b32_e32 v3, 0x7f800000, v10, vcc_lo
	v_cmp_nlt_f32_e32 vcc_lo, 0x42b17218, v7
	s_delay_alu instid0(VALU_DEP_2) | instskip(NEXT) | instid1(VALU_DEP_1)
	v_dual_add_f32 v8, v8, v3 :: v_dual_cndmask_b32 v7, 0x7f800000, v9
	v_add_f32_e32 v8, v8, v7
	s_delay_alu instid0(VALU_DEP_1) | instskip(SKIP_1) | instid1(VALU_DEP_2)
	v_div_scale_f32 v9, null, v8, v8, 1.0
	v_div_scale_f32 v12, vcc_lo, 1.0, v8, 1.0
	v_rcp_f32_e32 v10, v9
	s_waitcnt_depctr 0xfff
	v_fma_f32 v11, -v9, v10, 1.0
	s_delay_alu instid0(VALU_DEP_1) | instskip(NEXT) | instid1(VALU_DEP_1)
	v_fmac_f32_e32 v10, v11, v10
	v_mul_f32_e32 v11, v12, v10
	s_delay_alu instid0(VALU_DEP_1) | instskip(NEXT) | instid1(VALU_DEP_1)
	v_fma_f32 v13, -v9, v11, v12
	v_fmac_f32_e32 v11, v13, v10
	s_delay_alu instid0(VALU_DEP_1) | instskip(NEXT) | instid1(VALU_DEP_1)
	v_fma_f32 v9, -v9, v11, v12
	v_div_fmas_f32 v9, v9, v10, v11
	s_delay_alu instid0(VALU_DEP_1) | instskip(NEXT) | instid1(VALU_DEP_1)
	v_div_fixup_f32 v8, v9, v8, 1.0
	v_mul_f32_e32 v4, v8, v4
	v_mul_f32_e32 v0, v8, v0
	;; [unrolled: 1-line block ×3, first 2 shown]
	s_delay_alu instid0(VALU_DEP_2) | instskip(SKIP_4) | instid1(VALU_DEP_4)
	v_cmp_class_f32_e64 vcc_lo, v0, 0x1f8
	v_dual_mul_f32 v9, v8, v1 :: v_dual_cndmask_b32 v0, 0, v0
	v_cmp_class_f32_e64 vcc_lo, v4, 0x1f8
	v_dual_mul_f32 v10, v8, v2 :: v_dual_cndmask_b32 v1, 0, v4
	v_mul_f32_e32 v5, v8, v5
	v_cmp_class_f32_e64 vcc_lo, v9, 0x1f8
	v_dual_mul_f32 v11, v8, v3 :: v_dual_cndmask_b32 v2, 0, v9
	s_delay_alu instid0(VALU_DEP_3) | instskip(SKIP_3) | instid1(VALU_DEP_3)
	v_cmp_class_f32_e64 vcc_lo, v5, 0x1f8
	v_dual_mul_f32 v6, v8, v6 :: v_dual_cndmask_b32 v3, 0, v5
	v_cmp_class_f32_e64 vcc_lo, v10, 0x1f8
	v_cndmask_b32_e32 v4, 0, v10, vcc_lo
	v_cmp_class_f32_e64 vcc_lo, v6, 0x1f8
	v_cndmask_b32_e32 v5, 0, v6, vcc_lo
	v_cmp_class_f32_e64 vcc_lo, v11, 0x1f8
	v_cndmask_b32_e32 v6, 0, v11, vcc_lo
	v_cmp_class_f32_e64 vcc_lo, v7, 0x1f8
	v_cndmask_b32_e32 v7, 0, v7, vcc_lo
	s_cbranch_scc1 .LBB72_10
; %bb.4:
	s_load_b256 s[4:11], s[2:3], 0x0
	s_waitcnt lgkmcnt(0)
	v_dual_add_f32 v8, s4, v0 :: v_dual_add_f32 v9, s5, v1
	v_dual_add_f32 v10, s6, v2 :: v_dual_add_f32 v11, s7, v3
	;; [unrolled: 1-line block ×4, first 2 shown]
	s_cbranch_execnz .LBB72_6
.LBB72_5:
	v_dual_mov_b32 v15, v7 :: v_dual_mov_b32 v14, v6
	v_dual_mov_b32 v13, v5 :: v_dual_mov_b32 v12, v4
	;; [unrolled: 1-line block ×4, first 2 shown]
.LBB72_6:
	s_load_b128 s[4:7], s[0:1], 0x30
	s_waitcnt lgkmcnt(0)
	s_bitcmp1_b32 s7, 0
	s_mov_b32 s7, 0
	s_cselect_b32 vcc_lo, -1, 0
	s_cmp_gt_i32 s4, 0
	s_cselect_b32 s3, -1, 0
	s_cmp_lt_i32 s4, 1
	s_cbranch_scc1 .LBB72_11
; %bb.7:
	s_load_b128 s[8:11], s[0:1], 0x20
	v_mul_lo_u32 v18, v16, s4
	v_mov_b32_e32 v17, 0
	v_mov_b32_e32 v19, v16
.LBB72_8:                               ; =>This Inner Loop Header: Depth=1
	s_delay_alu instid0(VALU_DEP_1) | instskip(NEXT) | instid1(VALU_DEP_1)
	v_cmp_gt_f32_e64 s0, v9, v8
	v_cndmask_b32_e64 v20, v8, v9, s0
	v_cndmask_b32_e64 v21, v0, v1, s0
	;; [unrolled: 1-line block ×3, first 2 shown]
	s_delay_alu instid0(VALU_DEP_3) | instskip(NEXT) | instid1(VALU_DEP_1)
	v_cmp_gt_f32_e64 s1, v10, v20
	v_cndmask_b32_e64 v20, v20, v10, s1
	s_delay_alu instid0(VALU_DEP_4) | instskip(NEXT) | instid1(VALU_DEP_4)
	v_cndmask_b32_e64 v21, v21, v2, s1
	v_cndmask_b32_e64 v22, v22, 2, s1
	s_delay_alu instid0(VALU_DEP_3) | instskip(NEXT) | instid1(VALU_DEP_1)
	v_cmp_gt_f32_e64 s0, v11, v20
	v_cndmask_b32_e64 v20, v20, v11, s0
	s_delay_alu instid0(VALU_DEP_4) | instskip(NEXT) | instid1(VALU_DEP_4)
	v_cndmask_b32_e64 v21, v21, v3, s0
	v_cndmask_b32_e64 v22, v22, 3, s0
	;; [unrolled: 6-line block ×5, first 2 shown]
	s_delay_alu instid0(VALU_DEP_3) | instskip(NEXT) | instid1(VALU_DEP_1)
	v_cmp_gt_f32_e64 s0, v15, v23
	v_cndmask_b32_e64 v26, v24, v7, s0
	s_delay_alu instid0(VALU_DEP_3) | instskip(NEXT) | instid1(VALU_DEP_2)
	v_cndmask_b32_e64 v27, v22, 7, s0
	v_add_f32_e32 v29, v17, v26
	v_add_nc_u32_e32 v20, s7, v18
	s_delay_alu instid0(VALU_DEP_3) | instskip(SKIP_4) | instid1(VALU_DEP_1)
	v_cmp_gt_i32_e64 s1, s6, v27
	v_subrev_nc_u32_e32 v28, s5, v27
	s_add_i32 s7, s7, 1
	v_cndmask_b32_e32 v17, v17, v29, vcc_lo
	v_ashrrev_i32_e32 v21, 31, v20
	v_lshlrev_b64 v[20:21], 2, v[20:21]
	s_waitcnt lgkmcnt(0)
	s_delay_alu instid0(VALU_DEP_1) | instskip(NEXT) | instid1(VALU_DEP_1)
	v_add_co_u32 v22, s0, s8, v20
	v_add_co_ci_u32_e64 v23, s0, s9, v21, s0
	v_cmp_le_i32_e64 s0, s5, v27
	v_add_co_u32 v24, s2, s10, v20
	s_delay_alu instid0(VALU_DEP_1) | instskip(NEXT) | instid1(VALU_DEP_3)
	v_add_co_ci_u32_e64 v25, s2, s11, v21, s2
	s_and_b32 s0, s0, s1
	s_delay_alu instid0(SALU_CYCLE_1) | instskip(SKIP_3) | instid1(VALU_DEP_1)
	s_and_b32 s0, s15, s0
	s_cmp_lt_i32 s7, s4
	v_cndmask_b32_e64 v28, 8, v28, s0
	v_add_co_u32 v20, s0, s12, v20
	v_add_co_ci_u32_e64 v21, s0, s13, v21, s0
	v_cmp_ne_u32_e64 s0, 0, v27
	global_store_b32 v[22:23], v28, off
	global_store_b32 v[24:25], v19, off
	v_add_nc_u32_e32 v19, s14, v19
	global_store_b32 v[20:21], v26, off
	v_cndmask_b32_e64 v22, 0xc61c4000, v8, s0
	v_cmp_ne_u32_e64 s0, 1, v27
	s_delay_alu instid0(VALU_DEP_1) | instskip(SKIP_1) | instid1(VALU_DEP_1)
	v_cndmask_b32_e64 v23, 0xc61c4000, v9, s0
	v_cmp_ne_u32_e64 s0, 2, v27
	v_cndmask_b32_e64 v24, 0xc61c4000, v10, s0
	v_cmp_ne_u32_e64 s0, 3, v27
	s_delay_alu instid0(VALU_DEP_1) | instskip(SKIP_1) | instid1(VALU_DEP_1)
	v_cndmask_b32_e64 v25, 0xc61c4000, v11, s0
	v_cmp_ne_u32_e64 s0, 5, v27
	v_cndmask_b32_e64 v28, 0xc61c4000, v13, s0
	v_cmp_ne_u32_e64 s0, 7, v27
	s_delay_alu instid0(VALU_DEP_1) | instskip(SKIP_1) | instid1(VALU_DEP_1)
	v_cndmask_b32_e64 v29, 0xc61c4000, v15, s0
	v_cmp_ne_u32_e64 s0, 6, v27
	v_cndmask_b32_e64 v30, 0xc61c4000, v14, s0
	v_cmp_ne_u32_e64 s0, 4, v27
	s_delay_alu instid0(VALU_DEP_1)
	v_cndmask_b32_e64 v27, 0xc61c4000, v12, s0
	s_cselect_b32 s0, -1, 0
	s_cmp_eq_u32 s4, s7
	v_cndmask_b32_e64 v15, v15, v29, s0
	v_cndmask_b32_e64 v14, v14, v30, s0
	;; [unrolled: 1-line block ×8, first 2 shown]
	s_cbranch_scc0 .LBB72_8
; %bb.9:
	s_and_b32 vcc_lo, exec_lo, vcc_lo
	s_cbranch_vccnz .LBB72_12
	s_branch .LBB72_15
.LBB72_10:
                                        ; implicit-def: $vgpr8_vgpr9_vgpr10_vgpr11_vgpr12_vgpr13_vgpr14_vgpr15
	s_and_not1_b32 vcc_lo, exec_lo, s8
	s_cbranch_vccz .LBB72_5
	s_branch .LBB72_6
.LBB72_11:
	v_mov_b32_e32 v17, 0
	s_and_b32 vcc_lo, exec_lo, vcc_lo
	s_cbranch_vccz .LBB72_15
.LBB72_12:
	s_and_not1_b32 vcc_lo, exec_lo, s3
	s_cbranch_vccnz .LBB72_15
; %bb.13:
	v_mul_lo_u32 v0, v16, s4
	v_cmp_lt_f32_e32 vcc_lo, 0, v17
	v_cndmask_b32_e32 v2, 1.0, v17, vcc_lo
	s_delay_alu instid0(VALU_DEP_3) | instskip(NEXT) | instid1(VALU_DEP_1)
	v_ashrrev_i32_e32 v1, 31, v0
	v_lshlrev_b64 v[0:1], 2, v[0:1]
	s_delay_alu instid0(VALU_DEP_1) | instskip(NEXT) | instid1(VALU_DEP_2)
	v_add_co_u32 v0, vcc_lo, s12, v0
	v_add_co_ci_u32_e32 v1, vcc_lo, s13, v1, vcc_lo
	.p2align	6
.LBB72_14:                              ; =>This Inner Loop Header: Depth=1
	global_load_b32 v3, v[0:1], off
	s_add_i32 s4, s4, -1
	s_delay_alu instid0(SALU_CYCLE_1) | instskip(SKIP_3) | instid1(VALU_DEP_2)
	s_cmp_lg_u32 s4, 0
	s_waitcnt vmcnt(0)
	v_div_scale_f32 v4, null, v2, v2, v3
	v_div_scale_f32 v7, vcc_lo, v3, v2, v3
	v_rcp_f32_e32 v5, v4
	s_waitcnt_depctr 0xfff
	v_fma_f32 v6, -v4, v5, 1.0
	s_delay_alu instid0(VALU_DEP_1) | instskip(NEXT) | instid1(VALU_DEP_1)
	v_fmac_f32_e32 v5, v6, v5
	v_mul_f32_e32 v6, v7, v5
	s_delay_alu instid0(VALU_DEP_1) | instskip(NEXT) | instid1(VALU_DEP_1)
	v_fma_f32 v8, -v4, v6, v7
	v_fmac_f32_e32 v6, v8, v5
	s_delay_alu instid0(VALU_DEP_1) | instskip(NEXT) | instid1(VALU_DEP_1)
	v_fma_f32 v4, -v4, v6, v7
	v_div_fmas_f32 v4, v4, v5, v6
	s_delay_alu instid0(VALU_DEP_1)
	v_div_fixup_f32 v3, v4, v2, v3
	global_store_b32 v[0:1], v3, off
	v_add_co_u32 v0, vcc_lo, v0, 4
	v_add_co_ci_u32_e32 v1, vcc_lo, 0, v1, vcc_lo
	s_cbranch_scc1 .LBB72_14
.LBB72_15:
	s_nop 0
	s_sendmsg sendmsg(MSG_DEALLOC_VGPRS)
	s_endpgm
	.section	.rodata,"a",@progbits
	.p2align	6, 0x0
	.amdhsa_kernel _ZN4vllm3moe10topkGatingILi8ELi8ELi4ELi16ELi64Ei6__halfLNS0_11ScoringFuncE0EEEvPKT5_PKbPfiPT4_PiiiibPKf
		.amdhsa_group_segment_fixed_size 0
		.amdhsa_private_segment_fixed_size 0
		.amdhsa_kernarg_size 72
		.amdhsa_user_sgpr_count 15
		.amdhsa_user_sgpr_dispatch_ptr 0
		.amdhsa_user_sgpr_queue_ptr 0
		.amdhsa_user_sgpr_kernarg_segment_ptr 1
		.amdhsa_user_sgpr_dispatch_id 0
		.amdhsa_user_sgpr_private_segment_size 0
		.amdhsa_wavefront_size32 1
		.amdhsa_uses_dynamic_stack 0
		.amdhsa_enable_private_segment 0
		.amdhsa_system_sgpr_workgroup_id_x 1
		.amdhsa_system_sgpr_workgroup_id_y 0
		.amdhsa_system_sgpr_workgroup_id_z 0
		.amdhsa_system_sgpr_workgroup_info 0
		.amdhsa_system_vgpr_workitem_id 1
		.amdhsa_next_free_vgpr 33
		.amdhsa_next_free_sgpr 16
		.amdhsa_reserve_vcc 1
		.amdhsa_float_round_mode_32 0
		.amdhsa_float_round_mode_16_64 0
		.amdhsa_float_denorm_mode_32 3
		.amdhsa_float_denorm_mode_16_64 3
		.amdhsa_dx10_clamp 1
		.amdhsa_ieee_mode 1
		.amdhsa_fp16_overflow 0
		.amdhsa_workgroup_processor_mode 1
		.amdhsa_memory_ordered 1
		.amdhsa_forward_progress 0
		.amdhsa_shared_vgpr_count 0
		.amdhsa_exception_fp_ieee_invalid_op 0
		.amdhsa_exception_fp_denorm_src 0
		.amdhsa_exception_fp_ieee_div_zero 0
		.amdhsa_exception_fp_ieee_overflow 0
		.amdhsa_exception_fp_ieee_underflow 0
		.amdhsa_exception_fp_ieee_inexact 0
		.amdhsa_exception_int_div_zero 0
	.end_amdhsa_kernel
	.section	.text._ZN4vllm3moe10topkGatingILi8ELi8ELi4ELi16ELi64Ei6__halfLNS0_11ScoringFuncE0EEEvPKT5_PKbPfiPT4_PiiiibPKf,"axG",@progbits,_ZN4vllm3moe10topkGatingILi8ELi8ELi4ELi16ELi64Ei6__halfLNS0_11ScoringFuncE0EEEvPKT5_PKbPfiPT4_PiiiibPKf,comdat
.Lfunc_end72:
	.size	_ZN4vllm3moe10topkGatingILi8ELi8ELi4ELi16ELi64Ei6__halfLNS0_11ScoringFuncE0EEEvPKT5_PKbPfiPT4_PiiiibPKf, .Lfunc_end72-_ZN4vllm3moe10topkGatingILi8ELi8ELi4ELi16ELi64Ei6__halfLNS0_11ScoringFuncE0EEEvPKT5_PKbPfiPT4_PiiiibPKf
                                        ; -- End function
	.section	.AMDGPU.csdata,"",@progbits
; Kernel info:
; codeLenInByte = 2448
; NumSgprs: 18
; NumVgprs: 33
; ScratchSize: 0
; MemoryBound: 0
; FloatMode: 240
; IeeeMode: 1
; LDSByteSize: 0 bytes/workgroup (compile time only)
; SGPRBlocks: 2
; VGPRBlocks: 4
; NumSGPRsForWavesPerEU: 18
; NumVGPRsForWavesPerEU: 33
; Occupancy: 16
; WaveLimiterHint : 0
; COMPUTE_PGM_RSRC2:SCRATCH_EN: 0
; COMPUTE_PGM_RSRC2:USER_SGPR: 15
; COMPUTE_PGM_RSRC2:TRAP_HANDLER: 0
; COMPUTE_PGM_RSRC2:TGID_X_EN: 1
; COMPUTE_PGM_RSRC2:TGID_Y_EN: 0
; COMPUTE_PGM_RSRC2:TGID_Z_EN: 0
; COMPUTE_PGM_RSRC2:TIDIG_COMP_CNT: 1
	.section	.text._ZN4vllm3moe10topkGatingILi8ELi8ELi4ELi16ELi32Ei6__halfLNS0_11ScoringFuncE0EEEvPKT5_PKbPfiPT4_PiiiibPKf,"axG",@progbits,_ZN4vllm3moe10topkGatingILi8ELi8ELi4ELi16ELi32Ei6__halfLNS0_11ScoringFuncE0EEEvPKT5_PKbPfiPT4_PiiiibPKf,comdat
	.protected	_ZN4vllm3moe10topkGatingILi8ELi8ELi4ELi16ELi32Ei6__halfLNS0_11ScoringFuncE0EEEvPKT5_PKbPfiPT4_PiiiibPKf ; -- Begin function _ZN4vllm3moe10topkGatingILi8ELi8ELi4ELi16ELi32Ei6__halfLNS0_11ScoringFuncE0EEEvPKT5_PKbPfiPT4_PiiiibPKf
	.globl	_ZN4vllm3moe10topkGatingILi8ELi8ELi4ELi16ELi32Ei6__halfLNS0_11ScoringFuncE0EEEvPKT5_PKbPfiPT4_PiiiibPKf
	.p2align	8
	.type	_ZN4vllm3moe10topkGatingILi8ELi8ELi4ELi16ELi32Ei6__halfLNS0_11ScoringFuncE0EEEvPKT5_PKbPfiPT4_PiiiibPKf,@function
_ZN4vllm3moe10topkGatingILi8ELi8ELi4ELi16ELi32Ei6__halfLNS0_11ScoringFuncE0EEEvPKT5_PKbPfiPT4_PiiiibPKf: ; @_ZN4vllm3moe10topkGatingILi8ELi8ELi4ELi16ELi32Ei6__halfLNS0_11ScoringFuncE0EEEvPKT5_PKbPfiPT4_PiiiibPKf
; %bb.0:
	s_load_b32 s14, s[0:1], 0x18
	v_bfe_u32 v1, v0, 10, 10
	v_and_b32_e32 v0, 0x3ff, v0
	s_lshl_b32 s2, s15, 7
	s_delay_alu instid0(VALU_DEP_2) | instskip(NEXT) | instid1(VALU_DEP_1)
	v_lshlrev_b32_e32 v1, 5, v1
	v_add3_u32 v16, v1, v0, s2
	s_mov_b32 s2, exec_lo
	s_waitcnt lgkmcnt(0)
	s_delay_alu instid0(VALU_DEP_1)
	v_cmpx_gt_i32_e64 s14, v16
	s_cbranch_execz .LBB73_15
; %bb.1:
	s_clause 0x1
	s_load_b128 s[4:7], s[0:1], 0x0
	s_load_b64 s[12:13], s[0:1], 0x10
	s_mov_b32 s8, -1
	s_mov_b32 s15, -1
	s_waitcnt lgkmcnt(0)
	s_cmp_eq_u64 s[6:7], 0
	s_cbranch_scc1 .LBB73_3
; %bb.2:
	v_ashrrev_i32_e32 v1, 31, v16
	v_add_co_u32 v0, vcc_lo, s6, v16
	s_delay_alu instid0(VALU_DEP_2) | instskip(SKIP_3) | instid1(VALU_DEP_1)
	v_add_co_ci_u32_e32 v1, vcc_lo, s7, v1, vcc_lo
	global_load_u8 v0, v[0:1], off
	s_waitcnt vmcnt(0)
	v_and_b32_e32 v0, 1, v0
	v_cmp_eq_u32_e32 vcc_lo, 1, v0
	s_xor_b32 s2, vcc_lo, -1
	s_delay_alu instid0(SALU_CYCLE_1)
	s_or_not1_b32 s15, s2, exec_lo
.LBB73_3:
	v_lshlrev_b32_e32 v0, 3, v16
	s_load_b64 s[2:3], s[0:1], 0x40
	s_delay_alu instid0(VALU_DEP_1) | instskip(NEXT) | instid1(VALU_DEP_1)
	v_ashrrev_i32_e32 v1, 31, v0
	v_lshlrev_b64 v[0:1], 1, v[0:1]
	s_delay_alu instid0(VALU_DEP_1) | instskip(NEXT) | instid1(VALU_DEP_2)
	v_add_co_u32 v0, vcc_lo, s4, v0
	v_add_co_ci_u32_e32 v1, vcc_lo, s5, v1, vcc_lo
	s_waitcnt lgkmcnt(0)
	s_cmp_eq_u64 s[2:3], 0
	global_load_b128 v[0:3], v[0:1], off
	s_waitcnt vmcnt(0)
	v_lshrrev_b32_e32 v4, 16, v0
	v_cvt_f32_f16_e32 v0, v0
	v_lshrrev_b32_e32 v5, 16, v1
	v_cvt_f32_f16_e32 v1, v1
	;; [unrolled: 2-line block ×3, first 2 shown]
	v_cvt_f32_f16_e32 v2, v2
	v_cvt_f32_f16_e32 v5, v5
	v_lshrrev_b32_e32 v8, 16, v3
	v_cvt_f32_f16_e32 v6, v6
	v_max_f32_e32 v7, v0, v4
	v_cvt_f32_f16_e32 v3, v3
	s_delay_alu instid0(VALU_DEP_4) | instskip(NEXT) | instid1(VALU_DEP_3)
	v_cvt_f32_f16_e32 v8, v8
	v_max3_f32 v7, v7, v1, v5
	s_delay_alu instid0(VALU_DEP_1) | instskip(NEXT) | instid1(VALU_DEP_1)
	v_max3_f32 v7, v7, v2, v6
	v_max3_f32 v7, v7, v3, v8
	s_delay_alu instid0(VALU_DEP_1) | instskip(SKIP_2) | instid1(VALU_DEP_3)
	v_sub_f32_e32 v1, v1, v7
	v_sub_f32_e32 v5, v5, v7
	v_sub_f32_e32 v4, v4, v7
	v_mul_f32_e32 v10, 0x3fb8aa3b, v1
	s_delay_alu instid0(VALU_DEP_3) | instskip(NEXT) | instid1(VALU_DEP_3)
	v_dual_mul_f32 v11, 0x3fb8aa3b, v5 :: v_dual_sub_f32 v0, v0, v7
	v_dual_mul_f32 v9, 0x3fb8aa3b, v4 :: v_dual_sub_f32 v6, v6, v7
	v_sub_f32_e32 v2, v2, v7
	v_sub_f32_e32 v3, v3, v7
	v_rndne_f32_e32 v22, v10
	v_dual_sub_f32 v7, v8, v7 :: v_dual_mul_f32 v8, 0x3fb8aa3b, v0
	v_fma_f32 v21, 0x3fb8aa3b, v1, -v10
	v_rndne_f32_e32 v24, v11
	s_delay_alu instid0(VALU_DEP_4)
	v_sub_f32_e32 v10, v10, v22
	v_fma_f32 v23, 0x3fb8aa3b, v5, -v11
	v_fma_f32 v17, 0x3fb8aa3b, v0, -v8
	v_rndne_f32_e32 v18, v8
	v_mul_f32_e32 v15, 0x3fb8aa3b, v7
	v_fma_f32 v19, 0x3fb8aa3b, v4, -v9
	v_rndne_f32_e32 v20, v9
	s_delay_alu instid0(VALU_DEP_4)
	v_dual_fmac_f32 v17, 0x32a5705f, v0 :: v_dual_sub_f32 v8, v8, v18
	v_sub_f32_e32 v11, v11, v24
	v_mul_f32_e32 v13, 0x3fb8aa3b, v6
	v_mul_f32_e32 v12, 0x3fb8aa3b, v2
	v_cvt_i32_f32_e32 v18, v18
	v_add_f32_e32 v8, v8, v17
	v_dual_mul_f32 v14, 0x3fb8aa3b, v3 :: v_dual_sub_f32 v9, v9, v20
	s_delay_alu instid0(VALU_DEP_4) | instskip(SKIP_1) | instid1(VALU_DEP_4)
	v_rndne_f32_e32 v26, v12
	v_fmac_f32_e32 v19, 0x32a5705f, v4
	v_exp_f32_e32 v8, v8
	v_cmp_ngt_f32_e32 vcc_lo, 0xc2ce8ed0, v0
	v_fma_f32 v25, 0x3fb8aa3b, v2, -v12
	v_sub_f32_e32 v12, v12, v26
	v_rndne_f32_e32 v30, v14
	v_fmac_f32_e32 v21, 0x32a5705f, v1
	v_fma_f32 v29, 0x3fb8aa3b, v3, -v14
	v_cvt_i32_f32_e32 v20, v20
	v_cvt_i32_f32_e32 v22, v22
	v_sub_f32_e32 v14, v14, v30
	v_ldexp_f32 v8, v8, v18
	v_fmac_f32_e32 v23, 0x32a5705f, v5
	v_dual_fmac_f32 v25, 0x32a5705f, v2 :: v_dual_add_f32 v10, v10, v21
	v_rndne_f32_e32 v28, v13
	s_delay_alu instid0(VALU_DEP_4) | instskip(SKIP_1) | instid1(VALU_DEP_4)
	v_dual_cndmask_b32 v8, 0, v8 :: v_dual_add_f32 v9, v9, v19
	v_cmp_ngt_f32_e32 vcc_lo, 0xc2ce8ed0, v4
	v_exp_f32_e32 v10, v10
	v_fma_f32 v27, 0x3fb8aa3b, v6, -v13
	v_rndne_f32_e32 v32, v15
	v_exp_f32_e32 v9, v9
	v_fma_f32 v31, 0x3fb8aa3b, v7, -v15
	v_cvt_i32_f32_e32 v17, v30
	v_cvt_i32_f32_e32 v24, v24
	v_dual_fmac_f32 v27, 0x32a5705f, v6 :: v_dual_add_f32 v12, v12, v25
	v_cvt_i32_f32_e32 v26, v26
	s_delay_alu instid0(TRANS32_DEP_2) | instskip(SKIP_1) | instid1(TRANS32_DEP_1)
	v_ldexp_f32 v10, v10, v22
	v_cvt_i32_f32_e32 v19, v32
	v_ldexp_f32 v9, v9, v20
	v_exp_f32_e32 v12, v12
	s_delay_alu instid0(VALU_DEP_1) | instskip(SKIP_2) | instid1(VALU_DEP_1)
	v_cndmask_b32_e32 v9, 0, v9, vcc_lo
	v_cmp_ngt_f32_e32 vcc_lo, 0xc2ce8ed0, v1
	v_dual_fmac_f32 v29, 0x32a5705f, v3 :: v_dual_cndmask_b32 v10, 0, v10
	v_dual_sub_f32 v13, v13, v28 :: v_dual_add_f32 v14, v14, v29
	v_cmp_nlt_f32_e32 vcc_lo, 0x42b17218, v0
	s_waitcnt_depctr 0xfff
	v_ldexp_f32 v12, v12, v26
	v_cvt_i32_f32_e32 v28, v28
	v_exp_f32_e32 v14, v14
	v_cndmask_b32_e32 v0, 0x7f800000, v8, vcc_lo
	v_cmp_nlt_f32_e32 vcc_lo, 0x42b17218, v4
	v_dual_sub_f32 v15, v15, v32 :: v_dual_cndmask_b32 v4, 0x7f800000, v9
	v_cmp_ngt_f32_e32 vcc_lo, 0xc2ce8ed0, v5
	s_waitcnt_depctr 0xfff
	v_ldexp_f32 v14, v14, v17
	v_add_f32_e32 v9, v0, v4
	v_add_f32_e32 v11, v11, v23
	s_delay_alu instid0(VALU_DEP_1) | instskip(SKIP_2) | instid1(VALU_DEP_1)
	v_exp_f32_e32 v11, v11
	s_waitcnt_depctr 0xfff
	v_ldexp_f32 v11, v11, v24
	v_cndmask_b32_e32 v8, 0, v11, vcc_lo
	v_cmp_nlt_f32_e32 vcc_lo, 0x42b17218, v1
	v_cndmask_b32_e32 v1, 0x7f800000, v10, vcc_lo
	v_cmp_ngt_f32_e32 vcc_lo, 0xc2ce8ed0, v2
	v_dual_fmac_f32 v31, 0x32a5705f, v7 :: v_dual_cndmask_b32 v10, 0, v12
	v_add_f32_e32 v13, v13, v27
	v_cmp_nlt_f32_e32 vcc_lo, 0x42b17218, v5
	s_delay_alu instid0(VALU_DEP_2) | instskip(SKIP_3) | instid1(VALU_DEP_1)
	v_exp_f32_e32 v13, v13
	v_cndmask_b32_e32 v5, 0x7f800000, v8, vcc_lo
	v_cmp_ngt_f32_e32 vcc_lo, 0xc2ce8ed0, v6
	v_dual_add_f32 v8, v9, v1 :: v_dual_add_f32 v15, v15, v31
	v_add_f32_e32 v8, v8, v5
	s_delay_alu instid0(VALU_DEP_2) | instskip(SKIP_2) | instid1(VALU_DEP_1)
	v_exp_f32_e32 v15, v15
	s_waitcnt_depctr 0xfff
	v_ldexp_f32 v13, v13, v28
	v_cndmask_b32_e32 v9, 0, v13, vcc_lo
	v_cmp_nlt_f32_e32 vcc_lo, 0x42b17218, v2
	v_ldexp_f32 v15, v15, v19
	v_cndmask_b32_e32 v2, 0x7f800000, v10, vcc_lo
	v_cmp_ngt_f32_e32 vcc_lo, 0xc2ce8ed0, v3
	s_delay_alu instid0(VALU_DEP_2) | instskip(SKIP_4) | instid1(VALU_DEP_2)
	v_add_f32_e32 v8, v8, v2
	v_cndmask_b32_e32 v10, 0, v14, vcc_lo
	v_cmp_nlt_f32_e32 vcc_lo, 0x42b17218, v6
	v_cndmask_b32_e32 v6, 0x7f800000, v9, vcc_lo
	v_cmp_ngt_f32_e32 vcc_lo, 0xc2ce8ed0, v7
	v_dual_add_f32 v8, v8, v6 :: v_dual_cndmask_b32 v9, 0, v15
	v_cmp_nlt_f32_e32 vcc_lo, 0x42b17218, v3
	v_cndmask_b32_e32 v3, 0x7f800000, v10, vcc_lo
	v_cmp_nlt_f32_e32 vcc_lo, 0x42b17218, v7
	s_delay_alu instid0(VALU_DEP_2) | instskip(NEXT) | instid1(VALU_DEP_1)
	v_dual_add_f32 v8, v8, v3 :: v_dual_cndmask_b32 v7, 0x7f800000, v9
	v_add_f32_e32 v8, v8, v7
	s_delay_alu instid0(VALU_DEP_1) | instskip(SKIP_1) | instid1(VALU_DEP_2)
	v_div_scale_f32 v9, null, v8, v8, 1.0
	v_div_scale_f32 v12, vcc_lo, 1.0, v8, 1.0
	v_rcp_f32_e32 v10, v9
	s_waitcnt_depctr 0xfff
	v_fma_f32 v11, -v9, v10, 1.0
	s_delay_alu instid0(VALU_DEP_1) | instskip(NEXT) | instid1(VALU_DEP_1)
	v_fmac_f32_e32 v10, v11, v10
	v_mul_f32_e32 v11, v12, v10
	s_delay_alu instid0(VALU_DEP_1) | instskip(NEXT) | instid1(VALU_DEP_1)
	v_fma_f32 v13, -v9, v11, v12
	v_fmac_f32_e32 v11, v13, v10
	s_delay_alu instid0(VALU_DEP_1) | instskip(NEXT) | instid1(VALU_DEP_1)
	v_fma_f32 v9, -v9, v11, v12
	v_div_fmas_f32 v9, v9, v10, v11
	s_delay_alu instid0(VALU_DEP_1) | instskip(NEXT) | instid1(VALU_DEP_1)
	v_div_fixup_f32 v8, v9, v8, 1.0
	v_mul_f32_e32 v4, v8, v4
	v_mul_f32_e32 v0, v8, v0
	v_mul_f32_e32 v7, v8, v7
	s_delay_alu instid0(VALU_DEP_2) | instskip(SKIP_4) | instid1(VALU_DEP_4)
	v_cmp_class_f32_e64 vcc_lo, v0, 0x1f8
	v_dual_mul_f32 v9, v8, v1 :: v_dual_cndmask_b32 v0, 0, v0
	v_cmp_class_f32_e64 vcc_lo, v4, 0x1f8
	v_dual_mul_f32 v10, v8, v2 :: v_dual_cndmask_b32 v1, 0, v4
	v_mul_f32_e32 v5, v8, v5
	v_cmp_class_f32_e64 vcc_lo, v9, 0x1f8
	v_dual_mul_f32 v11, v8, v3 :: v_dual_cndmask_b32 v2, 0, v9
	s_delay_alu instid0(VALU_DEP_3) | instskip(SKIP_3) | instid1(VALU_DEP_3)
	v_cmp_class_f32_e64 vcc_lo, v5, 0x1f8
	v_dual_mul_f32 v6, v8, v6 :: v_dual_cndmask_b32 v3, 0, v5
	v_cmp_class_f32_e64 vcc_lo, v10, 0x1f8
	v_cndmask_b32_e32 v4, 0, v10, vcc_lo
	v_cmp_class_f32_e64 vcc_lo, v6, 0x1f8
	v_cndmask_b32_e32 v5, 0, v6, vcc_lo
	;; [unrolled: 2-line block ×4, first 2 shown]
	s_cbranch_scc1 .LBB73_10
; %bb.4:
	s_load_b256 s[4:11], s[2:3], 0x0
	s_waitcnt lgkmcnt(0)
	v_dual_add_f32 v8, s4, v0 :: v_dual_add_f32 v9, s5, v1
	v_dual_add_f32 v10, s6, v2 :: v_dual_add_f32 v11, s7, v3
	;; [unrolled: 1-line block ×4, first 2 shown]
	s_cbranch_execnz .LBB73_6
.LBB73_5:
	v_dual_mov_b32 v15, v7 :: v_dual_mov_b32 v14, v6
	v_dual_mov_b32 v13, v5 :: v_dual_mov_b32 v12, v4
	;; [unrolled: 1-line block ×4, first 2 shown]
.LBB73_6:
	s_load_b128 s[4:7], s[0:1], 0x30
	s_waitcnt lgkmcnt(0)
	s_bitcmp1_b32 s7, 0
	s_mov_b32 s7, 0
	s_cselect_b32 vcc_lo, -1, 0
	s_cmp_gt_i32 s4, 0
	s_cselect_b32 s3, -1, 0
	s_cmp_lt_i32 s4, 1
	s_cbranch_scc1 .LBB73_11
; %bb.7:
	s_load_b128 s[8:11], s[0:1], 0x20
	v_mul_lo_u32 v18, v16, s4
	v_mov_b32_e32 v17, 0
	v_mov_b32_e32 v19, v16
.LBB73_8:                               ; =>This Inner Loop Header: Depth=1
	s_delay_alu instid0(VALU_DEP_1) | instskip(NEXT) | instid1(VALU_DEP_1)
	v_cmp_gt_f32_e64 s0, v9, v8
	v_cndmask_b32_e64 v20, v8, v9, s0
	v_cndmask_b32_e64 v21, v0, v1, s0
	;; [unrolled: 1-line block ×3, first 2 shown]
	s_delay_alu instid0(VALU_DEP_3) | instskip(NEXT) | instid1(VALU_DEP_1)
	v_cmp_gt_f32_e64 s1, v10, v20
	v_cndmask_b32_e64 v20, v20, v10, s1
	s_delay_alu instid0(VALU_DEP_4) | instskip(NEXT) | instid1(VALU_DEP_4)
	v_cndmask_b32_e64 v21, v21, v2, s1
	v_cndmask_b32_e64 v22, v22, 2, s1
	s_delay_alu instid0(VALU_DEP_3) | instskip(NEXT) | instid1(VALU_DEP_1)
	v_cmp_gt_f32_e64 s0, v11, v20
	v_cndmask_b32_e64 v20, v20, v11, s0
	s_delay_alu instid0(VALU_DEP_4) | instskip(NEXT) | instid1(VALU_DEP_4)
	v_cndmask_b32_e64 v21, v21, v3, s0
	v_cndmask_b32_e64 v22, v22, 3, s0
	;; [unrolled: 6-line block ×5, first 2 shown]
	s_delay_alu instid0(VALU_DEP_3) | instskip(NEXT) | instid1(VALU_DEP_1)
	v_cmp_gt_f32_e64 s0, v15, v23
	v_cndmask_b32_e64 v26, v24, v7, s0
	s_delay_alu instid0(VALU_DEP_3) | instskip(NEXT) | instid1(VALU_DEP_2)
	v_cndmask_b32_e64 v27, v22, 7, s0
	v_add_f32_e32 v29, v17, v26
	v_add_nc_u32_e32 v20, s7, v18
	s_delay_alu instid0(VALU_DEP_3) | instskip(SKIP_4) | instid1(VALU_DEP_1)
	v_cmp_gt_i32_e64 s1, s6, v27
	v_subrev_nc_u32_e32 v28, s5, v27
	s_add_i32 s7, s7, 1
	v_cndmask_b32_e32 v17, v17, v29, vcc_lo
	v_ashrrev_i32_e32 v21, 31, v20
	v_lshlrev_b64 v[20:21], 2, v[20:21]
	s_waitcnt lgkmcnt(0)
	s_delay_alu instid0(VALU_DEP_1) | instskip(NEXT) | instid1(VALU_DEP_1)
	v_add_co_u32 v22, s0, s8, v20
	v_add_co_ci_u32_e64 v23, s0, s9, v21, s0
	v_cmp_le_i32_e64 s0, s5, v27
	v_add_co_u32 v24, s2, s10, v20
	s_delay_alu instid0(VALU_DEP_1) | instskip(NEXT) | instid1(VALU_DEP_3)
	v_add_co_ci_u32_e64 v25, s2, s11, v21, s2
	s_and_b32 s0, s0, s1
	s_delay_alu instid0(SALU_CYCLE_1) | instskip(SKIP_3) | instid1(VALU_DEP_1)
	s_and_b32 s0, s15, s0
	s_cmp_lt_i32 s7, s4
	v_cndmask_b32_e64 v28, 8, v28, s0
	v_add_co_u32 v20, s0, s12, v20
	v_add_co_ci_u32_e64 v21, s0, s13, v21, s0
	v_cmp_ne_u32_e64 s0, 0, v27
	global_store_b32 v[22:23], v28, off
	global_store_b32 v[24:25], v19, off
	v_add_nc_u32_e32 v19, s14, v19
	global_store_b32 v[20:21], v26, off
	v_cndmask_b32_e64 v22, 0xc61c4000, v8, s0
	v_cmp_ne_u32_e64 s0, 1, v27
	s_delay_alu instid0(VALU_DEP_1) | instskip(SKIP_1) | instid1(VALU_DEP_1)
	v_cndmask_b32_e64 v23, 0xc61c4000, v9, s0
	v_cmp_ne_u32_e64 s0, 2, v27
	v_cndmask_b32_e64 v24, 0xc61c4000, v10, s0
	v_cmp_ne_u32_e64 s0, 3, v27
	s_delay_alu instid0(VALU_DEP_1) | instskip(SKIP_1) | instid1(VALU_DEP_1)
	v_cndmask_b32_e64 v25, 0xc61c4000, v11, s0
	v_cmp_ne_u32_e64 s0, 5, v27
	v_cndmask_b32_e64 v28, 0xc61c4000, v13, s0
	v_cmp_ne_u32_e64 s0, 7, v27
	s_delay_alu instid0(VALU_DEP_1) | instskip(SKIP_1) | instid1(VALU_DEP_1)
	v_cndmask_b32_e64 v29, 0xc61c4000, v15, s0
	v_cmp_ne_u32_e64 s0, 6, v27
	v_cndmask_b32_e64 v30, 0xc61c4000, v14, s0
	v_cmp_ne_u32_e64 s0, 4, v27
	s_delay_alu instid0(VALU_DEP_1)
	v_cndmask_b32_e64 v27, 0xc61c4000, v12, s0
	s_cselect_b32 s0, -1, 0
	s_cmp_eq_u32 s4, s7
	v_cndmask_b32_e64 v15, v15, v29, s0
	v_cndmask_b32_e64 v14, v14, v30, s0
	;; [unrolled: 1-line block ×8, first 2 shown]
	s_cbranch_scc0 .LBB73_8
; %bb.9:
	s_and_b32 vcc_lo, exec_lo, vcc_lo
	s_cbranch_vccnz .LBB73_12
	s_branch .LBB73_15
.LBB73_10:
                                        ; implicit-def: $vgpr8_vgpr9_vgpr10_vgpr11_vgpr12_vgpr13_vgpr14_vgpr15
	s_and_not1_b32 vcc_lo, exec_lo, s8
	s_cbranch_vccz .LBB73_5
	s_branch .LBB73_6
.LBB73_11:
	v_mov_b32_e32 v17, 0
	s_and_b32 vcc_lo, exec_lo, vcc_lo
	s_cbranch_vccz .LBB73_15
.LBB73_12:
	s_and_not1_b32 vcc_lo, exec_lo, s3
	s_cbranch_vccnz .LBB73_15
; %bb.13:
	v_mul_lo_u32 v0, v16, s4
	v_cmp_lt_f32_e32 vcc_lo, 0, v17
	v_cndmask_b32_e32 v2, 1.0, v17, vcc_lo
	s_delay_alu instid0(VALU_DEP_3) | instskip(NEXT) | instid1(VALU_DEP_1)
	v_ashrrev_i32_e32 v1, 31, v0
	v_lshlrev_b64 v[0:1], 2, v[0:1]
	s_delay_alu instid0(VALU_DEP_1) | instskip(NEXT) | instid1(VALU_DEP_2)
	v_add_co_u32 v0, vcc_lo, s12, v0
	v_add_co_ci_u32_e32 v1, vcc_lo, s13, v1, vcc_lo
	.p2align	6
.LBB73_14:                              ; =>This Inner Loop Header: Depth=1
	global_load_b32 v3, v[0:1], off
	s_add_i32 s4, s4, -1
	s_delay_alu instid0(SALU_CYCLE_1) | instskip(SKIP_3) | instid1(VALU_DEP_2)
	s_cmp_lg_u32 s4, 0
	s_waitcnt vmcnt(0)
	v_div_scale_f32 v4, null, v2, v2, v3
	v_div_scale_f32 v7, vcc_lo, v3, v2, v3
	v_rcp_f32_e32 v5, v4
	s_waitcnt_depctr 0xfff
	v_fma_f32 v6, -v4, v5, 1.0
	s_delay_alu instid0(VALU_DEP_1) | instskip(NEXT) | instid1(VALU_DEP_1)
	v_fmac_f32_e32 v5, v6, v5
	v_mul_f32_e32 v6, v7, v5
	s_delay_alu instid0(VALU_DEP_1) | instskip(NEXT) | instid1(VALU_DEP_1)
	v_fma_f32 v8, -v4, v6, v7
	v_fmac_f32_e32 v6, v8, v5
	s_delay_alu instid0(VALU_DEP_1) | instskip(NEXT) | instid1(VALU_DEP_1)
	v_fma_f32 v4, -v4, v6, v7
	v_div_fmas_f32 v4, v4, v5, v6
	s_delay_alu instid0(VALU_DEP_1)
	v_div_fixup_f32 v3, v4, v2, v3
	global_store_b32 v[0:1], v3, off
	v_add_co_u32 v0, vcc_lo, v0, 4
	v_add_co_ci_u32_e32 v1, vcc_lo, 0, v1, vcc_lo
	s_cbranch_scc1 .LBB73_14
.LBB73_15:
	s_nop 0
	s_sendmsg sendmsg(MSG_DEALLOC_VGPRS)
	s_endpgm
	.section	.rodata,"a",@progbits
	.p2align	6, 0x0
	.amdhsa_kernel _ZN4vllm3moe10topkGatingILi8ELi8ELi4ELi16ELi32Ei6__halfLNS0_11ScoringFuncE0EEEvPKT5_PKbPfiPT4_PiiiibPKf
		.amdhsa_group_segment_fixed_size 0
		.amdhsa_private_segment_fixed_size 0
		.amdhsa_kernarg_size 72
		.amdhsa_user_sgpr_count 15
		.amdhsa_user_sgpr_dispatch_ptr 0
		.amdhsa_user_sgpr_queue_ptr 0
		.amdhsa_user_sgpr_kernarg_segment_ptr 1
		.amdhsa_user_sgpr_dispatch_id 0
		.amdhsa_user_sgpr_private_segment_size 0
		.amdhsa_wavefront_size32 1
		.amdhsa_uses_dynamic_stack 0
		.amdhsa_enable_private_segment 0
		.amdhsa_system_sgpr_workgroup_id_x 1
		.amdhsa_system_sgpr_workgroup_id_y 0
		.amdhsa_system_sgpr_workgroup_id_z 0
		.amdhsa_system_sgpr_workgroup_info 0
		.amdhsa_system_vgpr_workitem_id 1
		.amdhsa_next_free_vgpr 33
		.amdhsa_next_free_sgpr 16
		.amdhsa_reserve_vcc 1
		.amdhsa_float_round_mode_32 0
		.amdhsa_float_round_mode_16_64 0
		.amdhsa_float_denorm_mode_32 3
		.amdhsa_float_denorm_mode_16_64 3
		.amdhsa_dx10_clamp 1
		.amdhsa_ieee_mode 1
		.amdhsa_fp16_overflow 0
		.amdhsa_workgroup_processor_mode 1
		.amdhsa_memory_ordered 1
		.amdhsa_forward_progress 0
		.amdhsa_shared_vgpr_count 0
		.amdhsa_exception_fp_ieee_invalid_op 0
		.amdhsa_exception_fp_denorm_src 0
		.amdhsa_exception_fp_ieee_div_zero 0
		.amdhsa_exception_fp_ieee_overflow 0
		.amdhsa_exception_fp_ieee_underflow 0
		.amdhsa_exception_fp_ieee_inexact 0
		.amdhsa_exception_int_div_zero 0
	.end_amdhsa_kernel
	.section	.text._ZN4vllm3moe10topkGatingILi8ELi8ELi4ELi16ELi32Ei6__halfLNS0_11ScoringFuncE0EEEvPKT5_PKbPfiPT4_PiiiibPKf,"axG",@progbits,_ZN4vllm3moe10topkGatingILi8ELi8ELi4ELi16ELi32Ei6__halfLNS0_11ScoringFuncE0EEEvPKT5_PKbPfiPT4_PiiiibPKf,comdat
.Lfunc_end73:
	.size	_ZN4vllm3moe10topkGatingILi8ELi8ELi4ELi16ELi32Ei6__halfLNS0_11ScoringFuncE0EEEvPKT5_PKbPfiPT4_PiiiibPKf, .Lfunc_end73-_ZN4vllm3moe10topkGatingILi8ELi8ELi4ELi16ELi32Ei6__halfLNS0_11ScoringFuncE0EEEvPKT5_PKbPfiPT4_PiiiibPKf
                                        ; -- End function
	.section	.AMDGPU.csdata,"",@progbits
; Kernel info:
; codeLenInByte = 2448
; NumSgprs: 18
; NumVgprs: 33
; ScratchSize: 0
; MemoryBound: 0
; FloatMode: 240
; IeeeMode: 1
; LDSByteSize: 0 bytes/workgroup (compile time only)
; SGPRBlocks: 2
; VGPRBlocks: 4
; NumSGPRsForWavesPerEU: 18
; NumVGPRsForWavesPerEU: 33
; Occupancy: 16
; WaveLimiterHint : 0
; COMPUTE_PGM_RSRC2:SCRATCH_EN: 0
; COMPUTE_PGM_RSRC2:USER_SGPR: 15
; COMPUTE_PGM_RSRC2:TRAP_HANDLER: 0
; COMPUTE_PGM_RSRC2:TGID_X_EN: 1
; COMPUTE_PGM_RSRC2:TGID_Y_EN: 0
; COMPUTE_PGM_RSRC2:TGID_Z_EN: 0
; COMPUTE_PGM_RSRC2:TIDIG_COMP_CNT: 1
	.section	.text._ZN4vllm3moe10topkGatingILi8ELi16ELi4ELi16ELi64Ei6__halfLNS0_11ScoringFuncE0EEEvPKT5_PKbPfiPT4_PiiiibPKf,"axG",@progbits,_ZN4vllm3moe10topkGatingILi8ELi16ELi4ELi16ELi64Ei6__halfLNS0_11ScoringFuncE0EEEvPKT5_PKbPfiPT4_PiiiibPKf,comdat
	.protected	_ZN4vllm3moe10topkGatingILi8ELi16ELi4ELi16ELi64Ei6__halfLNS0_11ScoringFuncE0EEEvPKT5_PKbPfiPT4_PiiiibPKf ; -- Begin function _ZN4vllm3moe10topkGatingILi8ELi16ELi4ELi16ELi64Ei6__halfLNS0_11ScoringFuncE0EEEvPKT5_PKbPfiPT4_PiiiibPKf
	.globl	_ZN4vllm3moe10topkGatingILi8ELi16ELi4ELi16ELi64Ei6__halfLNS0_11ScoringFuncE0EEEvPKT5_PKbPfiPT4_PiiiibPKf
	.p2align	8
	.type	_ZN4vllm3moe10topkGatingILi8ELi16ELi4ELi16ELi64Ei6__halfLNS0_11ScoringFuncE0EEEvPKT5_PKbPfiPT4_PiiiibPKf,@function
_ZN4vllm3moe10topkGatingILi8ELi16ELi4ELi16ELi64Ei6__halfLNS0_11ScoringFuncE0EEEvPKT5_PKbPfiPT4_PiiiibPKf: ; @_ZN4vllm3moe10topkGatingILi8ELi16ELi4ELi16ELi64Ei6__halfLNS0_11ScoringFuncE0EEEvPKT5_PKbPfiPT4_PiiiibPKf
; %bb.0:
	s_load_b32 s14, s[0:1], 0x18
	v_bfe_u32 v1, v0, 10, 10
	v_and_b32_e32 v0, 0x3ff, v0
	s_lshl_b32 s2, s15, 7
	s_delay_alu instid0(VALU_DEP_2) | instskip(NEXT) | instid1(VALU_DEP_2)
	v_lshlrev_b32_e32 v1, 5, v1
	v_lshrrev_b32_e32 v2, 1, v0
	s_delay_alu instid0(VALU_DEP_1) | instskip(SKIP_2) | instid1(VALU_DEP_1)
	v_add3_u32 v16, s2, v1, v2
	s_mov_b32 s2, exec_lo
	s_waitcnt lgkmcnt(0)
	v_cmpx_gt_i32_e64 s14, v16
	s_cbranch_execz .LBB74_25
; %bb.1:
	s_clause 0x1
	s_load_b128 s[4:7], s[0:1], 0x0
	s_load_b64 s[12:13], s[0:1], 0x10
	s_mov_b32 s8, -1
	s_mov_b32 s15, -1
	s_waitcnt lgkmcnt(0)
	s_cmp_eq_u64 s[6:7], 0
	s_cbranch_scc1 .LBB74_3
; %bb.2:
	v_ashrrev_i32_e32 v2, 31, v16
	v_add_co_u32 v1, vcc_lo, s6, v16
	s_delay_alu instid0(VALU_DEP_2) | instskip(SKIP_3) | instid1(VALU_DEP_1)
	v_add_co_ci_u32_e32 v2, vcc_lo, s7, v2, vcc_lo
	global_load_u8 v1, v[1:2], off
	s_waitcnt vmcnt(0)
	v_and_b32_e32 v1, 1, v1
	v_cmp_eq_u32_e32 vcc_lo, 1, v1
	s_xor_b32 s2, vcc_lo, -1
	s_delay_alu instid0(SALU_CYCLE_1)
	s_or_not1_b32 s15, s2, exec_lo
.LBB74_3:
	v_lshlrev_b32_e32 v1, 4, v16
	v_mbcnt_lo_u32_b32 v4, -1, 0
	s_load_b64 s[2:3], s[0:1], 0x40
	s_delay_alu instid0(VALU_DEP_2) | instskip(NEXT) | instid1(VALU_DEP_2)
	v_ashrrev_i32_e32 v2, 31, v1
	v_xor_b32_e32 v6, 1, v4
	v_and_b32_e32 v17, 1, v0
	v_and_b32_e32 v8, 30, v4
	s_delay_alu instid0(VALU_DEP_4) | instskip(NEXT) | instid1(VALU_DEP_3)
	v_lshlrev_b64 v[0:1], 1, v[1:2]
	v_lshlrev_b32_e32 v2, 4, v17
	s_delay_alu instid0(VALU_DEP_3) | instskip(NEXT) | instid1(VALU_DEP_3)
	v_add_nc_u32_e32 v8, 2, v8
	v_add_co_u32 v0, vcc_lo, s4, v0
	s_delay_alu instid0(VALU_DEP_4) | instskip(NEXT) | instid1(VALU_DEP_2)
	v_add_co_ci_u32_e32 v1, vcc_lo, s5, v1, vcc_lo
	v_add_co_u32 v0, vcc_lo, v0, v2
	s_delay_alu instid0(VALU_DEP_2)
	v_add_co_ci_u32_e32 v1, vcc_lo, 0, v1, vcc_lo
	v_cmp_lt_i32_e32 vcc_lo, v6, v8
	s_waitcnt lgkmcnt(0)
	s_cmp_eq_u64 s[2:3], 0
	global_load_b128 v[0:3], v[0:1], off
	v_cndmask_b32_e32 v4, v4, v6, vcc_lo
	s_delay_alu instid0(VALU_DEP_1)
	v_lshlrev_b32_e32 v18, 2, v4
	s_waitcnt vmcnt(0)
	v_lshrrev_b32_e32 v5, 16, v0
	v_cvt_f32_f16_e32 v0, v0
	v_lshrrev_b32_e32 v7, 16, v1
	v_cvt_f32_f16_e32 v1, v1
	;; [unrolled: 2-line block ×3, first 2 shown]
	v_cvt_f32_f16_e32 v2, v2
	v_cvt_f32_f16_e32 v7, v7
	v_lshrrev_b32_e32 v11, 16, v3
	v_cvt_f32_f16_e32 v9, v9
	v_max_f32_e32 v10, v0, v5
	v_cvt_f32_f16_e32 v3, v3
	s_delay_alu instid0(VALU_DEP_4) | instskip(NEXT) | instid1(VALU_DEP_3)
	v_cvt_f32_f16_e32 v6, v11
	v_max3_f32 v10, v10, v1, v7
	s_delay_alu instid0(VALU_DEP_1) | instskip(NEXT) | instid1(VALU_DEP_1)
	v_max3_f32 v8, v10, v2, v9
	v_max3_f32 v4, v8, v3, v6
	ds_bpermute_b32 v8, v18, v4
	s_waitcnt lgkmcnt(0)
	v_max_f32_e32 v8, v8, v8
	s_delay_alu instid0(VALU_DEP_1) | instskip(NEXT) | instid1(VALU_DEP_1)
	v_max_f32_e32 v4, v4, v8
	v_sub_f32_e32 v1, v1, v4
	s_delay_alu instid0(VALU_DEP_1) | instskip(NEXT) | instid1(VALU_DEP_1)
	v_mul_f32_e32 v10, 0x3fb8aa3b, v1
	v_fma_f32 v23, 0x3fb8aa3b, v1, -v10
	s_delay_alu instid0(VALU_DEP_1) | instskip(SKIP_2) | instid1(VALU_DEP_2)
	v_fmac_f32_e32 v23, 0x32a5705f, v1
	v_sub_f32_e32 v3, v3, v4
	v_sub_f32_e32 v7, v7, v4
	v_dual_sub_f32 v5, v5, v4 :: v_dual_mul_f32 v14, 0x3fb8aa3b, v3
	s_delay_alu instid0(VALU_DEP_2) | instskip(NEXT) | instid1(VALU_DEP_2)
	v_mul_f32_e32 v11, 0x3fb8aa3b, v7
	v_rndne_f32_e32 v32, v14
	s_delay_alu instid0(VALU_DEP_2) | instskip(SKIP_2) | instid1(VALU_DEP_3)
	v_rndne_f32_e32 v26, v11
	v_sub_f32_e32 v2, v2, v4
	v_fma_f32 v25, 0x3fb8aa3b, v7, -v11
	v_dual_sub_f32 v0, v0, v4 :: v_dual_sub_f32 v11, v11, v26
	s_delay_alu instid0(VALU_DEP_3) | instskip(NEXT) | instid1(VALU_DEP_3)
	v_mul_f32_e32 v12, 0x3fb8aa3b, v2
	v_fmac_f32_e32 v25, 0x32a5705f, v7
	s_delay_alu instid0(VALU_DEP_3) | instskip(SKIP_1) | instid1(VALU_DEP_4)
	v_cmp_ngt_f32_e32 vcc_lo, 0xc2ce8ed0, v0
	v_cvt_i32_f32_e32 v26, v26
	v_fma_f32 v27, 0x3fb8aa3b, v2, -v12
	v_dual_sub_f32 v8, v9, v4 :: v_dual_mul_f32 v9, 0x3fb8aa3b, v5
	v_rndne_f32_e32 v28, v12
	v_add_f32_e32 v11, v11, v25
	s_delay_alu instid0(VALU_DEP_4) | instskip(NEXT) | instid1(VALU_DEP_4)
	v_fmac_f32_e32 v27, 0x32a5705f, v2
	v_mul_f32_e32 v13, 0x3fb8aa3b, v8
	v_fma_f32 v21, 0x3fb8aa3b, v5, -v9
	v_rndne_f32_e32 v22, v9
	v_rndne_f32_e32 v24, v10
	v_sub_f32_e32 v12, v12, v28
	v_rndne_f32_e32 v30, v13
	v_dual_sub_f32 v4, v6, v4 :: v_dual_fmac_f32 v21, 0x32a5705f, v5
	v_sub_f32_e32 v9, v9, v22
	v_fma_f32 v29, 0x3fb8aa3b, v8, -v13
	s_delay_alu instid0(VALU_DEP_4) | instskip(SKIP_1) | instid1(VALU_DEP_4)
	v_dual_sub_f32 v13, v13, v30 :: v_dual_sub_f32 v10, v10, v24
	v_cvt_i32_f32_e32 v22, v22
	v_add_f32_e32 v9, v9, v21
	v_mul_f32_e32 v15, 0x3fb8aa3b, v4
	v_exp_f32_e32 v11, v11
	v_add_f32_e32 v10, v10, v23
	v_cvt_i32_f32_e32 v24, v24
	v_exp_f32_e32 v9, v9
	v_rndne_f32_e32 v34, v15
	v_mul_f32_e32 v6, 0x3fb8aa3b, v0
	v_fma_f32 v33, 0x3fb8aa3b, v4, -v15
	v_add_f32_e32 v12, v12, v27
	v_exp_f32_e32 v10, v10
	v_sub_f32_e32 v15, v15, v34
	v_fma_f32 v19, 0x3fb8aa3b, v0, -v6
	v_rndne_f32_e32 v20, v6
	v_ldexp_f32 v11, v11, v26
	v_ldexp_f32 v9, v9, v22
	v_exp_f32_e32 v12, v12
	v_fmac_f32_e32 v19, 0x32a5705f, v0
	v_sub_f32_e32 v6, v6, v20
	v_cvt_i32_f32_e32 v20, v20
	v_ldexp_f32 v10, v10, v24
	v_cvt_i32_f32_e32 v28, v28
	v_cvt_i32_f32_e32 v30, v30
	v_add_f32_e32 v6, v6, v19
	v_fma_f32 v31, 0x3fb8aa3b, v3, -v14
	v_sub_f32_e32 v14, v14, v32
	v_ldexp_f32 v12, v12, v28
	v_cvt_i32_f32_e32 v19, v32
	v_exp_f32_e32 v6, v6
	v_fmac_f32_e32 v31, 0x32a5705f, v3
	v_fmac_f32_e32 v29, 0x32a5705f, v8
	v_cvt_i32_f32_e32 v21, v34
	s_delay_alu instid0(VALU_DEP_2)
	v_dual_add_f32 v14, v14, v31 :: v_dual_add_f32 v13, v13, v29
	s_waitcnt_depctr 0xfff
	v_ldexp_f32 v6, v6, v20
	v_fmac_f32_e32 v33, 0x32a5705f, v4
	v_exp_f32_e32 v13, v13
	v_exp_f32_e32 v14, v14
	s_delay_alu instid0(VALU_DEP_2) | instskip(SKIP_4) | instid1(TRANS32_DEP_2)
	v_cndmask_b32_e32 v6, 0, v6, vcc_lo
	v_cmp_ngt_f32_e32 vcc_lo, 0xc2ce8ed0, v5
	v_cndmask_b32_e32 v9, 0, v9, vcc_lo
	v_cmp_ngt_f32_e32 vcc_lo, 0xc2ce8ed0, v1
	v_add_f32_e32 v15, v15, v33
	v_ldexp_f32 v13, v13, v30
	s_delay_alu instid0(TRANS32_DEP_1)
	v_ldexp_f32 v14, v14, v19
	v_cndmask_b32_e32 v10, 0, v10, vcc_lo
	v_cmp_nlt_f32_e32 vcc_lo, 0x42b17218, v0
	v_exp_f32_e32 v15, v15
	v_cndmask_b32_e32 v0, 0x7f800000, v6, vcc_lo
	v_cmp_nlt_f32_e32 vcc_lo, 0x42b17218, v5
	v_cndmask_b32_e32 v5, 0x7f800000, v9, vcc_lo
	v_cmp_ngt_f32_e32 vcc_lo, 0xc2ce8ed0, v7
	s_waitcnt_depctr 0xfff
	v_ldexp_f32 v15, v15, v21
	v_cndmask_b32_e32 v6, 0, v11, vcc_lo
	v_cmp_nlt_f32_e32 vcc_lo, 0x42b17218, v1
	v_cndmask_b32_e32 v1, 0x7f800000, v10, vcc_lo
	v_cmp_ngt_f32_e32 vcc_lo, 0xc2ce8ed0, v2
	v_dual_add_f32 v9, v0, v5 :: v_dual_cndmask_b32 v10, 0, v12
	v_cmp_nlt_f32_e32 vcc_lo, 0x42b17218, v7
	s_delay_alu instid0(VALU_DEP_2)
	v_dual_add_f32 v7, v9, v1 :: v_dual_cndmask_b32 v6, 0x7f800000, v6
	v_cmp_ngt_f32_e32 vcc_lo, 0xc2ce8ed0, v8
	v_cndmask_b32_e32 v9, 0, v13, vcc_lo
	v_cmp_nlt_f32_e32 vcc_lo, 0x42b17218, v2
	v_cndmask_b32_e32 v2, 0x7f800000, v10, vcc_lo
	v_cmp_ngt_f32_e32 vcc_lo, 0xc2ce8ed0, v3
	v_cndmask_b32_e32 v10, 0, v14, vcc_lo
	v_cmp_nlt_f32_e32 vcc_lo, 0x42b17218, v8
	v_dual_add_f32 v7, v7, v6 :: v_dual_cndmask_b32 v8, 0x7f800000, v9
	v_cmp_ngt_f32_e32 vcc_lo, 0xc2ce8ed0, v4
	v_cndmask_b32_e32 v9, 0, v15, vcc_lo
	v_cmp_nlt_f32_e32 vcc_lo, 0x42b17218, v3
	v_cndmask_b32_e32 v3, 0x7f800000, v10, vcc_lo
	v_cmp_nlt_f32_e32 vcc_lo, 0x42b17218, v4
	s_delay_alu instid0(VALU_DEP_4) | instskip(NEXT) | instid1(VALU_DEP_1)
	v_dual_add_f32 v7, v7, v2 :: v_dual_cndmask_b32 v4, 0x7f800000, v9
	v_add_f32_e32 v7, v7, v8
	s_delay_alu instid0(VALU_DEP_1) | instskip(NEXT) | instid1(VALU_DEP_1)
	v_add_f32_e32 v7, v7, v3
	v_add_f32_e32 v7, v7, v4
	ds_bpermute_b32 v9, v18, v7
	s_waitcnt lgkmcnt(0)
	v_add_f32_e32 v7, v7, v9
	s_delay_alu instid0(VALU_DEP_1) | instskip(SKIP_1) | instid1(VALU_DEP_2)
	v_div_scale_f32 v9, null, v7, v7, 1.0
	v_div_scale_f32 v12, vcc_lo, 1.0, v7, 1.0
	v_rcp_f32_e32 v10, v9
	s_waitcnt_depctr 0xfff
	v_fma_f32 v11, -v9, v10, 1.0
	s_delay_alu instid0(VALU_DEP_1) | instskip(NEXT) | instid1(VALU_DEP_1)
	v_fmac_f32_e32 v10, v11, v10
	v_mul_f32_e32 v11, v12, v10
	s_delay_alu instid0(VALU_DEP_1) | instskip(NEXT) | instid1(VALU_DEP_1)
	v_fma_f32 v13, -v9, v11, v12
	v_fmac_f32_e32 v11, v13, v10
	s_delay_alu instid0(VALU_DEP_1) | instskip(NEXT) | instid1(VALU_DEP_1)
	v_fma_f32 v9, -v9, v11, v12
	v_div_fmas_f32 v9, v9, v10, v11
	s_delay_alu instid0(VALU_DEP_1) | instskip(NEXT) | instid1(VALU_DEP_1)
	v_div_fixup_f32 v7, v9, v7, 1.0
	v_dual_mul_f32 v10, v7, v2 :: v_dual_lshlrev_b32 v19, 3, v17
	v_mul_f32_e32 v0, v7, v0
	v_mul_f32_e32 v5, v7, v5
	;; [unrolled: 1-line block ×5, first 2 shown]
	v_cmp_class_f32_e64 vcc_lo, v0, 0x1f8
	v_mul_f32_e32 v6, v7, v6
	v_mul_f32_e32 v7, v7, v4
	v_cndmask_b32_e32 v0, 0, v0, vcc_lo
	v_cmp_class_f32_e64 vcc_lo, v5, 0x1f8
	v_cndmask_b32_e32 v1, 0, v5, vcc_lo
	v_cmp_class_f32_e64 vcc_lo, v9, 0x1f8
	;; [unrolled: 2-line block ×7, first 2 shown]
	v_cndmask_b32_e32 v7, 0, v7, vcc_lo
	s_cbranch_scc1 .LBB74_19
; %bb.4:
	v_lshlrev_b32_e32 v12, 2, v19
	s_clause 0x1
	global_load_b128 v[8:11], v12, s[2:3]
	global_load_b128 v[12:15], v12, s[2:3] offset:16
	s_waitcnt vmcnt(1)
	v_dual_add_f32 v9, v9, v1 :: v_dual_add_f32 v8, v8, v0
	v_dual_add_f32 v11, v11, v3 :: v_dual_add_f32 v10, v10, v2
	s_waitcnt vmcnt(0)
	v_dual_add_f32 v13, v13, v5 :: v_dual_add_f32 v12, v12, v4
	v_dual_add_f32 v15, v15, v7 :: v_dual_add_f32 v14, v14, v6
	s_cbranch_execnz .LBB74_6
.LBB74_5:
	v_dual_mov_b32 v15, v7 :: v_dual_mov_b32 v14, v6
	v_dual_mov_b32 v13, v5 :: v_dual_mov_b32 v12, v4
	;; [unrolled: 1-line block ×4, first 2 shown]
.LBB74_6:
	s_load_b128 s[4:7], s[0:1], 0x30
	v_cmp_eq_u32_e64 s2, 0, v17
	s_waitcnt lgkmcnt(0)
	s_bitcmp1_b32 s7, 0
	s_mov_b32 s7, 0
	s_cselect_b32 vcc_lo, -1, 0
	s_cmp_gt_i32 s4, 0
	s_cselect_b32 s3, -1, 0
	s_cmp_lt_i32 s4, 1
	s_cbranch_scc1 .LBB74_20
; %bb.7:
	s_load_b128 s[8:11], s[0:1], 0x20
	v_mul_lo_u32 v21, v16, s4
	v_mov_b32_e32 v20, 0
	v_mov_b32_e32 v22, v16
	s_branch .LBB74_10
.LBB74_8:                               ;   in Loop: Header=BB74_10 Depth=1
	s_or_b32 exec_lo, exec_lo, s1
.LBB74_9:                               ;   in Loop: Header=BB74_10 Depth=1
	v_add_nc_u32_e32 v22, s14, v22
	s_cmp_eq_u32 s4, s7
	s_cbranch_scc1 .LBB74_21
.LBB74_10:                              ; =>This Inner Loop Header: Depth=1
	v_cmp_gt_f32_e64 s0, v9, v8
	s_mov_b32 s17, exec_lo
	s_delay_alu instid0(VALU_DEP_1) | instskip(SKIP_2) | instid1(VALU_DEP_3)
	v_cndmask_b32_e64 v23, v8, v9, s0
	v_cndmask_b32_e64 v24, 0, 1, s0
	v_cndmask_b32_e64 v25, v0, v1, s0
	v_cmp_gt_f32_e64 s1, v10, v23
	s_delay_alu instid0(VALU_DEP_1) | instskip(NEXT) | instid1(VALU_DEP_4)
	v_cndmask_b32_e64 v23, v23, v10, s1
	v_cndmask_b32_e64 v24, v24, 2, s1
	s_delay_alu instid0(VALU_DEP_4) | instskip(NEXT) | instid1(VALU_DEP_3)
	v_cndmask_b32_e64 v25, v25, v2, s1
	v_cmp_gt_f32_e64 s0, v11, v23
	s_delay_alu instid0(VALU_DEP_1) | instskip(NEXT) | instid1(VALU_DEP_4)
	v_cndmask_b32_e64 v23, v23, v11, s0
	v_cndmask_b32_e64 v24, v24, 3, s0
	s_delay_alu instid0(VALU_DEP_4) | instskip(NEXT) | instid1(VALU_DEP_3)
	v_cndmask_b32_e64 v25, v25, v3, s0
	;; [unrolled: 6-line block ×5, first 2 shown]
	v_cmp_gt_f32_e64 s0, v15, v23
	s_delay_alu instid0(VALU_DEP_1) | instskip(NEXT) | instid1(VALU_DEP_4)
	v_cndmask_b32_e64 v27, v23, v15, s0
	v_cndmask_b32_e64 v23, v24, 7, s0
	s_delay_alu instid0(VALU_DEP_4)
	v_cndmask_b32_e64 v24, v25, v7, s0
	ds_bpermute_b32 v28, v18, v27
	v_or_b32_e32 v23, v19, v23
	ds_bpermute_b32 v26, v18, v24
	ds_bpermute_b32 v25, v18, v23
	s_waitcnt lgkmcnt(0)
	v_cmp_lt_f32_e64 s16, v27, v28
	v_cmpx_nlt_f32_e32 v27, v28
	s_cbranch_execnz .LBB74_14
; %bb.11:                               ;   in Loop: Header=BB74_10 Depth=1
	s_or_b32 exec_lo, exec_lo, s17
	s_delay_alu instid0(VALU_DEP_2)
	s_and_saveexec_b32 s0, s16
	s_cbranch_execnz .LBB74_15
.LBB74_12:                              ;   in Loop: Header=BB74_10 Depth=1
	s_or_b32 exec_lo, exec_lo, s0
	s_and_saveexec_b32 s16, s2
	s_cbranch_execnz .LBB74_16
.LBB74_13:                              ;   in Loop: Header=BB74_10 Depth=1
	s_or_b32 exec_lo, exec_lo, s16
	s_add_i32 s7, s7, 1
	s_delay_alu instid0(SALU_CYCLE_1)
	s_cmp_ge_i32 s7, s4
	s_cbranch_scc1 .LBB74_9
	s_branch .LBB74_17
.LBB74_14:                              ;   in Loop: Header=BB74_10 Depth=1
	v_cmp_eq_f32_e64 s0, v27, v28
	v_cmp_lt_i32_e64 s1, v25, v23
	s_delay_alu instid0(VALU_DEP_1) | instskip(SKIP_2) | instid1(SALU_CYCLE_1)
	s_and_b32 s0, s0, s1
	s_and_not1_b32 s1, s16, exec_lo
	s_and_b32 s0, s0, exec_lo
	s_or_b32 s16, s1, s0
	s_or_b32 exec_lo, exec_lo, s17
	s_and_saveexec_b32 s0, s16
	s_cbranch_execz .LBB74_12
.LBB74_15:                              ;   in Loop: Header=BB74_10 Depth=1
	v_dual_mov_b32 v24, v26 :: v_dual_mov_b32 v23, v25
	s_or_b32 exec_lo, exec_lo, s0
	s_and_saveexec_b32 s16, s2
	s_cbranch_execz .LBB74_13
.LBB74_16:                              ;   in Loop: Header=BB74_10 Depth=1
	s_delay_alu instid0(VALU_DEP_1) | instskip(SKIP_3) | instid1(VALU_DEP_4)
	v_dual_add_f32 v32, v20, v24 :: v_dual_add_nc_u32 v25, s7, v21
	v_cmp_le_i32_e64 s0, s5, v23
	v_cmp_gt_i32_e64 s1, s6, v23
	v_subrev_nc_u32_e32 v27, s5, v23
	v_ashrrev_i32_e32 v26, 31, v25
	v_cndmask_b32_e32 v20, v20, v32, vcc_lo
	s_delay_alu instid0(VALU_DEP_4) | instskip(NEXT) | instid1(SALU_CYCLE_1)
	s_and_b32 s0, s0, s1
	s_and_b32 s0, s15, s0
	s_delay_alu instid0(VALU_DEP_2) | instskip(SKIP_1) | instid1(VALU_DEP_2)
	v_lshlrev_b64 v[25:26], 2, v[25:26]
	v_cndmask_b32_e64 v31, 16, v27, s0
	v_add_co_u32 v27, s0, s12, v25
	s_delay_alu instid0(VALU_DEP_1) | instskip(SKIP_1) | instid1(VALU_DEP_1)
	v_add_co_ci_u32_e64 v28, s0, s13, v26, s0
	v_add_co_u32 v29, s0, s8, v25
	v_add_co_ci_u32_e64 v30, s0, s9, v26, s0
	v_add_co_u32 v25, s0, s10, v25
	s_delay_alu instid0(VALU_DEP_1)
	v_add_co_ci_u32_e64 v26, s0, s11, v26, s0
	global_store_b32 v[27:28], v24, off
	global_store_b32 v[29:30], v31, off
	;; [unrolled: 1-line block ×3, first 2 shown]
	s_or_b32 exec_lo, exec_lo, s16
	s_add_i32 s7, s7, 1
	s_delay_alu instid0(SALU_CYCLE_1)
	s_cmp_ge_i32 s7, s4
	s_cbranch_scc1 .LBB74_9
.LBB74_17:                              ;   in Loop: Header=BB74_10 Depth=1
	v_ashrrev_i32_e32 v25, 31, v23
	s_mov_b32 s1, exec_lo
	s_delay_alu instid0(VALU_DEP_1) | instskip(NEXT) | instid1(VALU_DEP_1)
	v_lshrrev_b32_e32 v24, 29, v25
	v_add_nc_u32_e32 v26, v23, v24
	s_delay_alu instid0(VALU_DEP_1) | instskip(SKIP_1) | instid1(VALU_DEP_1)
	v_ashrrev_i32_e32 v24, 3, v26
	v_lshrrev_b32_e32 v26, 31, v26
	v_add_nc_u32_e32 v26, v24, v26
	s_delay_alu instid0(VALU_DEP_1) | instskip(NEXT) | instid1(VALU_DEP_1)
	v_and_b32_e32 v26, -2, v26
	v_sub_nc_u32_e32 v26, v24, v26
	s_delay_alu instid0(VALU_DEP_1)
	v_cmpx_eq_u32_e64 v17, v26
	s_cbranch_execz .LBB74_8
; %bb.18:                               ;   in Loop: Header=BB74_10 Depth=1
	v_lshrrev_b32_e32 v25, 28, v25
	v_lshlrev_b32_e32 v24, 3, v24
	s_delay_alu instid0(VALU_DEP_2) | instskip(NEXT) | instid1(VALU_DEP_2)
	v_add_nc_u32_e32 v25, v23, v25
	v_sub_nc_u32_e32 v23, v23, v24
	s_delay_alu instid0(VALU_DEP_2) | instskip(NEXT) | instid1(VALU_DEP_1)
	v_ashrrev_i32_e32 v24, 4, v25
	v_lshl_add_u32 v23, v24, 3, v23
	s_delay_alu instid0(VALU_DEP_1) | instskip(NEXT) | instid1(VALU_DEP_1)
	v_cmp_ne_u32_e64 s0, 7, v23
	v_cndmask_b32_e64 v15, 0xc61c4000, v15, s0
	v_cmp_ne_u32_e64 s0, 6, v23
	s_delay_alu instid0(VALU_DEP_1) | instskip(SKIP_1) | instid1(VALU_DEP_1)
	v_cndmask_b32_e64 v14, 0xc61c4000, v14, s0
	v_cmp_ne_u32_e64 s0, 5, v23
	v_cndmask_b32_e64 v13, 0xc61c4000, v13, s0
	v_cmp_ne_u32_e64 s0, 4, v23
	s_delay_alu instid0(VALU_DEP_1) | instskip(SKIP_1) | instid1(VALU_DEP_1)
	v_cndmask_b32_e64 v12, 0xc61c4000, v12, s0
	;; [unrolled: 5-line block ×3, first 2 shown]
	v_cmp_ne_u32_e64 s0, 1, v23
	v_cndmask_b32_e64 v9, 0xc61c4000, v9, s0
	v_cmp_ne_u32_e64 s0, 0, v23
	s_delay_alu instid0(VALU_DEP_1)
	v_cndmask_b32_e64 v8, 0xc61c4000, v8, s0
	s_branch .LBB74_8
.LBB74_19:
                                        ; implicit-def: $vgpr8_vgpr9_vgpr10_vgpr11_vgpr12_vgpr13_vgpr14_vgpr15
	s_and_not1_b32 vcc_lo, exec_lo, s8
	s_cbranch_vccz .LBB74_5
	s_branch .LBB74_6
.LBB74_20:
	v_mov_b32_e32 v20, 0
.LBB74_21:
	v_cmp_eq_u32_e64 s0, 0, v17
	s_delay_alu instid0(VALU_DEP_1) | instskip(NEXT) | instid1(SALU_CYCLE_1)
	s_and_b32 s0, s0, vcc_lo
	s_and_b32 exec_lo, exec_lo, s0
	s_cbranch_execz .LBB74_25
; %bb.22:
	s_and_not1_b32 vcc_lo, exec_lo, s3
	s_cbranch_vccnz .LBB74_25
; %bb.23:
	v_mul_lo_u32 v0, v16, s4
	v_cmp_lt_f32_e32 vcc_lo, 0, v20
	v_cndmask_b32_e32 v2, 1.0, v20, vcc_lo
	s_delay_alu instid0(VALU_DEP_3) | instskip(NEXT) | instid1(VALU_DEP_1)
	v_ashrrev_i32_e32 v1, 31, v0
	v_lshlrev_b64 v[0:1], 2, v[0:1]
	s_delay_alu instid0(VALU_DEP_1) | instskip(NEXT) | instid1(VALU_DEP_2)
	v_add_co_u32 v0, vcc_lo, s12, v0
	v_add_co_ci_u32_e32 v1, vcc_lo, s13, v1, vcc_lo
	.p2align	6
.LBB74_24:                              ; =>This Inner Loop Header: Depth=1
	global_load_b32 v3, v[0:1], off
	s_add_i32 s4, s4, -1
	s_delay_alu instid0(SALU_CYCLE_1) | instskip(SKIP_3) | instid1(VALU_DEP_2)
	s_cmp_lg_u32 s4, 0
	s_waitcnt vmcnt(0)
	v_div_scale_f32 v4, null, v2, v2, v3
	v_div_scale_f32 v7, vcc_lo, v3, v2, v3
	v_rcp_f32_e32 v5, v4
	s_waitcnt_depctr 0xfff
	v_fma_f32 v6, -v4, v5, 1.0
	s_delay_alu instid0(VALU_DEP_1) | instskip(NEXT) | instid1(VALU_DEP_1)
	v_fmac_f32_e32 v5, v6, v5
	v_mul_f32_e32 v6, v7, v5
	s_delay_alu instid0(VALU_DEP_1) | instskip(NEXT) | instid1(VALU_DEP_1)
	v_fma_f32 v8, -v4, v6, v7
	v_fmac_f32_e32 v6, v8, v5
	s_delay_alu instid0(VALU_DEP_1) | instskip(NEXT) | instid1(VALU_DEP_1)
	v_fma_f32 v4, -v4, v6, v7
	v_div_fmas_f32 v4, v4, v5, v6
	s_delay_alu instid0(VALU_DEP_1)
	v_div_fixup_f32 v3, v4, v2, v3
	global_store_b32 v[0:1], v3, off
	v_add_co_u32 v0, vcc_lo, v0, 4
	v_add_co_ci_u32_e32 v1, vcc_lo, 0, v1, vcc_lo
	s_cbranch_scc1 .LBB74_24
.LBB74_25:
	s_nop 0
	s_sendmsg sendmsg(MSG_DEALLOC_VGPRS)
	s_endpgm
	.section	.rodata,"a",@progbits
	.p2align	6, 0x0
	.amdhsa_kernel _ZN4vllm3moe10topkGatingILi8ELi16ELi4ELi16ELi64Ei6__halfLNS0_11ScoringFuncE0EEEvPKT5_PKbPfiPT4_PiiiibPKf
		.amdhsa_group_segment_fixed_size 0
		.amdhsa_private_segment_fixed_size 0
		.amdhsa_kernarg_size 72
		.amdhsa_user_sgpr_count 15
		.amdhsa_user_sgpr_dispatch_ptr 0
		.amdhsa_user_sgpr_queue_ptr 0
		.amdhsa_user_sgpr_kernarg_segment_ptr 1
		.amdhsa_user_sgpr_dispatch_id 0
		.amdhsa_user_sgpr_private_segment_size 0
		.amdhsa_wavefront_size32 1
		.amdhsa_uses_dynamic_stack 0
		.amdhsa_enable_private_segment 0
		.amdhsa_system_sgpr_workgroup_id_x 1
		.amdhsa_system_sgpr_workgroup_id_y 0
		.amdhsa_system_sgpr_workgroup_id_z 0
		.amdhsa_system_sgpr_workgroup_info 0
		.amdhsa_system_vgpr_workitem_id 1
		.amdhsa_next_free_vgpr 35
		.amdhsa_next_free_sgpr 18
		.amdhsa_reserve_vcc 1
		.amdhsa_float_round_mode_32 0
		.amdhsa_float_round_mode_16_64 0
		.amdhsa_float_denorm_mode_32 3
		.amdhsa_float_denorm_mode_16_64 3
		.amdhsa_dx10_clamp 1
		.amdhsa_ieee_mode 1
		.amdhsa_fp16_overflow 0
		.amdhsa_workgroup_processor_mode 1
		.amdhsa_memory_ordered 1
		.amdhsa_forward_progress 0
		.amdhsa_shared_vgpr_count 0
		.amdhsa_exception_fp_ieee_invalid_op 0
		.amdhsa_exception_fp_denorm_src 0
		.amdhsa_exception_fp_ieee_div_zero 0
		.amdhsa_exception_fp_ieee_overflow 0
		.amdhsa_exception_fp_ieee_underflow 0
		.amdhsa_exception_fp_ieee_inexact 0
		.amdhsa_exception_int_div_zero 0
	.end_amdhsa_kernel
	.section	.text._ZN4vllm3moe10topkGatingILi8ELi16ELi4ELi16ELi64Ei6__halfLNS0_11ScoringFuncE0EEEvPKT5_PKbPfiPT4_PiiiibPKf,"axG",@progbits,_ZN4vllm3moe10topkGatingILi8ELi16ELi4ELi16ELi64Ei6__halfLNS0_11ScoringFuncE0EEEvPKT5_PKbPfiPT4_PiiiibPKf,comdat
.Lfunc_end74:
	.size	_ZN4vllm3moe10topkGatingILi8ELi16ELi4ELi16ELi64Ei6__halfLNS0_11ScoringFuncE0EEEvPKT5_PKbPfiPT4_PiiiibPKf, .Lfunc_end74-_ZN4vllm3moe10topkGatingILi8ELi16ELi4ELi16ELi64Ei6__halfLNS0_11ScoringFuncE0EEEvPKT5_PKbPfiPT4_PiiiibPKf
                                        ; -- End function
	.section	.AMDGPU.csdata,"",@progbits
; Kernel info:
; codeLenInByte = 2824
; NumSgprs: 20
; NumVgprs: 35
; ScratchSize: 0
; MemoryBound: 0
; FloatMode: 240
; IeeeMode: 1
; LDSByteSize: 0 bytes/workgroup (compile time only)
; SGPRBlocks: 2
; VGPRBlocks: 4
; NumSGPRsForWavesPerEU: 20
; NumVGPRsForWavesPerEU: 35
; Occupancy: 16
; WaveLimiterHint : 0
; COMPUTE_PGM_RSRC2:SCRATCH_EN: 0
; COMPUTE_PGM_RSRC2:USER_SGPR: 15
; COMPUTE_PGM_RSRC2:TRAP_HANDLER: 0
; COMPUTE_PGM_RSRC2:TGID_X_EN: 1
; COMPUTE_PGM_RSRC2:TGID_Y_EN: 0
; COMPUTE_PGM_RSRC2:TGID_Z_EN: 0
; COMPUTE_PGM_RSRC2:TIDIG_COMP_CNT: 1
	.section	.text._ZN4vllm3moe10topkGatingILi8ELi16ELi4ELi16ELi32Ei6__halfLNS0_11ScoringFuncE0EEEvPKT5_PKbPfiPT4_PiiiibPKf,"axG",@progbits,_ZN4vllm3moe10topkGatingILi8ELi16ELi4ELi16ELi32Ei6__halfLNS0_11ScoringFuncE0EEEvPKT5_PKbPfiPT4_PiiiibPKf,comdat
	.protected	_ZN4vllm3moe10topkGatingILi8ELi16ELi4ELi16ELi32Ei6__halfLNS0_11ScoringFuncE0EEEvPKT5_PKbPfiPT4_PiiiibPKf ; -- Begin function _ZN4vllm3moe10topkGatingILi8ELi16ELi4ELi16ELi32Ei6__halfLNS0_11ScoringFuncE0EEEvPKT5_PKbPfiPT4_PiiiibPKf
	.globl	_ZN4vllm3moe10topkGatingILi8ELi16ELi4ELi16ELi32Ei6__halfLNS0_11ScoringFuncE0EEEvPKT5_PKbPfiPT4_PiiiibPKf
	.p2align	8
	.type	_ZN4vllm3moe10topkGatingILi8ELi16ELi4ELi16ELi32Ei6__halfLNS0_11ScoringFuncE0EEEvPKT5_PKbPfiPT4_PiiiibPKf,@function
_ZN4vllm3moe10topkGatingILi8ELi16ELi4ELi16ELi32Ei6__halfLNS0_11ScoringFuncE0EEEvPKT5_PKbPfiPT4_PiiiibPKf: ; @_ZN4vllm3moe10topkGatingILi8ELi16ELi4ELi16ELi32Ei6__halfLNS0_11ScoringFuncE0EEEvPKT5_PKbPfiPT4_PiiiibPKf
; %bb.0:
	s_load_b32 s14, s[0:1], 0x18
	v_bfe_u32 v1, v0, 10, 10
	v_and_b32_e32 v0, 0x3ff, v0
	s_lshl_b32 s2, s15, 6
	s_delay_alu instid0(VALU_DEP_2) | instskip(NEXT) | instid1(VALU_DEP_2)
	v_lshlrev_b32_e32 v1, 4, v1
	v_lshrrev_b32_e32 v2, 1, v0
	s_delay_alu instid0(VALU_DEP_1) | instskip(SKIP_2) | instid1(VALU_DEP_1)
	v_add3_u32 v16, s2, v1, v2
	s_mov_b32 s2, exec_lo
	s_waitcnt lgkmcnt(0)
	v_cmpx_gt_i32_e64 s14, v16
	s_cbranch_execz .LBB75_25
; %bb.1:
	s_clause 0x1
	s_load_b128 s[4:7], s[0:1], 0x0
	s_load_b64 s[12:13], s[0:1], 0x10
	s_mov_b32 s8, -1
	s_mov_b32 s15, -1
	s_waitcnt lgkmcnt(0)
	s_cmp_eq_u64 s[6:7], 0
	s_cbranch_scc1 .LBB75_3
; %bb.2:
	v_ashrrev_i32_e32 v2, 31, v16
	v_add_co_u32 v1, vcc_lo, s6, v16
	s_delay_alu instid0(VALU_DEP_2) | instskip(SKIP_3) | instid1(VALU_DEP_1)
	v_add_co_ci_u32_e32 v2, vcc_lo, s7, v2, vcc_lo
	global_load_u8 v1, v[1:2], off
	s_waitcnt vmcnt(0)
	v_and_b32_e32 v1, 1, v1
	v_cmp_eq_u32_e32 vcc_lo, 1, v1
	s_xor_b32 s2, vcc_lo, -1
	s_delay_alu instid0(SALU_CYCLE_1)
	s_or_not1_b32 s15, s2, exec_lo
.LBB75_3:
	v_lshlrev_b32_e32 v1, 4, v16
	v_mbcnt_lo_u32_b32 v4, -1, 0
	s_load_b64 s[2:3], s[0:1], 0x40
	s_delay_alu instid0(VALU_DEP_2) | instskip(NEXT) | instid1(VALU_DEP_2)
	v_ashrrev_i32_e32 v2, 31, v1
	v_xor_b32_e32 v6, 1, v4
	v_and_b32_e32 v17, 1, v0
	v_and_b32_e32 v8, 30, v4
	s_delay_alu instid0(VALU_DEP_4) | instskip(NEXT) | instid1(VALU_DEP_3)
	v_lshlrev_b64 v[0:1], 1, v[1:2]
	v_lshlrev_b32_e32 v2, 4, v17
	s_delay_alu instid0(VALU_DEP_3) | instskip(NEXT) | instid1(VALU_DEP_3)
	v_add_nc_u32_e32 v8, 2, v8
	v_add_co_u32 v0, vcc_lo, s4, v0
	s_delay_alu instid0(VALU_DEP_4) | instskip(NEXT) | instid1(VALU_DEP_2)
	v_add_co_ci_u32_e32 v1, vcc_lo, s5, v1, vcc_lo
	v_add_co_u32 v0, vcc_lo, v0, v2
	s_delay_alu instid0(VALU_DEP_2)
	v_add_co_ci_u32_e32 v1, vcc_lo, 0, v1, vcc_lo
	v_cmp_lt_i32_e32 vcc_lo, v6, v8
	s_waitcnt lgkmcnt(0)
	s_cmp_eq_u64 s[2:3], 0
	global_load_b128 v[0:3], v[0:1], off
	v_cndmask_b32_e32 v4, v4, v6, vcc_lo
	s_delay_alu instid0(VALU_DEP_1)
	v_lshlrev_b32_e32 v18, 2, v4
	s_waitcnt vmcnt(0)
	v_lshrrev_b32_e32 v5, 16, v0
	v_cvt_f32_f16_e32 v0, v0
	v_lshrrev_b32_e32 v7, 16, v1
	v_cvt_f32_f16_e32 v1, v1
	;; [unrolled: 2-line block ×3, first 2 shown]
	v_cvt_f32_f16_e32 v2, v2
	v_cvt_f32_f16_e32 v7, v7
	v_lshrrev_b32_e32 v11, 16, v3
	v_cvt_f32_f16_e32 v9, v9
	v_max_f32_e32 v10, v0, v5
	v_cvt_f32_f16_e32 v3, v3
	s_delay_alu instid0(VALU_DEP_4) | instskip(NEXT) | instid1(VALU_DEP_3)
	v_cvt_f32_f16_e32 v6, v11
	v_max3_f32 v10, v10, v1, v7
	s_delay_alu instid0(VALU_DEP_1) | instskip(NEXT) | instid1(VALU_DEP_1)
	v_max3_f32 v8, v10, v2, v9
	v_max3_f32 v4, v8, v3, v6
	ds_bpermute_b32 v8, v18, v4
	s_waitcnt lgkmcnt(0)
	v_max_f32_e32 v8, v8, v8
	s_delay_alu instid0(VALU_DEP_1) | instskip(NEXT) | instid1(VALU_DEP_1)
	v_max_f32_e32 v4, v4, v8
	v_sub_f32_e32 v1, v1, v4
	s_delay_alu instid0(VALU_DEP_1) | instskip(NEXT) | instid1(VALU_DEP_1)
	v_mul_f32_e32 v10, 0x3fb8aa3b, v1
	v_fma_f32 v23, 0x3fb8aa3b, v1, -v10
	s_delay_alu instid0(VALU_DEP_1) | instskip(SKIP_2) | instid1(VALU_DEP_2)
	v_fmac_f32_e32 v23, 0x32a5705f, v1
	v_sub_f32_e32 v3, v3, v4
	v_sub_f32_e32 v7, v7, v4
	v_dual_sub_f32 v5, v5, v4 :: v_dual_mul_f32 v14, 0x3fb8aa3b, v3
	s_delay_alu instid0(VALU_DEP_2) | instskip(NEXT) | instid1(VALU_DEP_2)
	v_mul_f32_e32 v11, 0x3fb8aa3b, v7
	v_rndne_f32_e32 v32, v14
	s_delay_alu instid0(VALU_DEP_2) | instskip(SKIP_2) | instid1(VALU_DEP_3)
	v_rndne_f32_e32 v26, v11
	v_sub_f32_e32 v2, v2, v4
	v_fma_f32 v25, 0x3fb8aa3b, v7, -v11
	v_dual_sub_f32 v0, v0, v4 :: v_dual_sub_f32 v11, v11, v26
	s_delay_alu instid0(VALU_DEP_3) | instskip(NEXT) | instid1(VALU_DEP_3)
	v_mul_f32_e32 v12, 0x3fb8aa3b, v2
	v_fmac_f32_e32 v25, 0x32a5705f, v7
	s_delay_alu instid0(VALU_DEP_3) | instskip(SKIP_1) | instid1(VALU_DEP_4)
	v_cmp_ngt_f32_e32 vcc_lo, 0xc2ce8ed0, v0
	v_cvt_i32_f32_e32 v26, v26
	v_fma_f32 v27, 0x3fb8aa3b, v2, -v12
	v_dual_sub_f32 v8, v9, v4 :: v_dual_mul_f32 v9, 0x3fb8aa3b, v5
	v_rndne_f32_e32 v28, v12
	v_add_f32_e32 v11, v11, v25
	s_delay_alu instid0(VALU_DEP_4) | instskip(NEXT) | instid1(VALU_DEP_4)
	v_fmac_f32_e32 v27, 0x32a5705f, v2
	v_mul_f32_e32 v13, 0x3fb8aa3b, v8
	v_fma_f32 v21, 0x3fb8aa3b, v5, -v9
	v_rndne_f32_e32 v22, v9
	v_rndne_f32_e32 v24, v10
	v_sub_f32_e32 v12, v12, v28
	v_rndne_f32_e32 v30, v13
	v_dual_sub_f32 v4, v6, v4 :: v_dual_fmac_f32 v21, 0x32a5705f, v5
	v_sub_f32_e32 v9, v9, v22
	v_fma_f32 v29, 0x3fb8aa3b, v8, -v13
	s_delay_alu instid0(VALU_DEP_4) | instskip(SKIP_1) | instid1(VALU_DEP_4)
	v_dual_sub_f32 v13, v13, v30 :: v_dual_sub_f32 v10, v10, v24
	v_cvt_i32_f32_e32 v22, v22
	v_add_f32_e32 v9, v9, v21
	v_mul_f32_e32 v15, 0x3fb8aa3b, v4
	v_exp_f32_e32 v11, v11
	v_add_f32_e32 v10, v10, v23
	v_cvt_i32_f32_e32 v24, v24
	v_exp_f32_e32 v9, v9
	v_rndne_f32_e32 v34, v15
	v_mul_f32_e32 v6, 0x3fb8aa3b, v0
	v_fma_f32 v33, 0x3fb8aa3b, v4, -v15
	v_add_f32_e32 v12, v12, v27
	v_exp_f32_e32 v10, v10
	v_sub_f32_e32 v15, v15, v34
	v_fma_f32 v19, 0x3fb8aa3b, v0, -v6
	v_rndne_f32_e32 v20, v6
	v_ldexp_f32 v11, v11, v26
	v_ldexp_f32 v9, v9, v22
	v_exp_f32_e32 v12, v12
	v_fmac_f32_e32 v19, 0x32a5705f, v0
	v_sub_f32_e32 v6, v6, v20
	v_cvt_i32_f32_e32 v20, v20
	v_ldexp_f32 v10, v10, v24
	v_cvt_i32_f32_e32 v28, v28
	v_cvt_i32_f32_e32 v30, v30
	v_add_f32_e32 v6, v6, v19
	v_fma_f32 v31, 0x3fb8aa3b, v3, -v14
	v_sub_f32_e32 v14, v14, v32
	v_ldexp_f32 v12, v12, v28
	v_cvt_i32_f32_e32 v19, v32
	v_exp_f32_e32 v6, v6
	v_fmac_f32_e32 v31, 0x32a5705f, v3
	v_fmac_f32_e32 v29, 0x32a5705f, v8
	v_cvt_i32_f32_e32 v21, v34
	s_delay_alu instid0(VALU_DEP_2)
	v_dual_add_f32 v14, v14, v31 :: v_dual_add_f32 v13, v13, v29
	s_waitcnt_depctr 0xfff
	v_ldexp_f32 v6, v6, v20
	v_fmac_f32_e32 v33, 0x32a5705f, v4
	v_exp_f32_e32 v13, v13
	v_exp_f32_e32 v14, v14
	s_delay_alu instid0(VALU_DEP_2) | instskip(SKIP_4) | instid1(TRANS32_DEP_2)
	v_cndmask_b32_e32 v6, 0, v6, vcc_lo
	v_cmp_ngt_f32_e32 vcc_lo, 0xc2ce8ed0, v5
	v_cndmask_b32_e32 v9, 0, v9, vcc_lo
	v_cmp_ngt_f32_e32 vcc_lo, 0xc2ce8ed0, v1
	v_add_f32_e32 v15, v15, v33
	v_ldexp_f32 v13, v13, v30
	s_delay_alu instid0(TRANS32_DEP_1)
	v_ldexp_f32 v14, v14, v19
	v_cndmask_b32_e32 v10, 0, v10, vcc_lo
	v_cmp_nlt_f32_e32 vcc_lo, 0x42b17218, v0
	v_exp_f32_e32 v15, v15
	v_cndmask_b32_e32 v0, 0x7f800000, v6, vcc_lo
	v_cmp_nlt_f32_e32 vcc_lo, 0x42b17218, v5
	v_cndmask_b32_e32 v5, 0x7f800000, v9, vcc_lo
	v_cmp_ngt_f32_e32 vcc_lo, 0xc2ce8ed0, v7
	s_waitcnt_depctr 0xfff
	v_ldexp_f32 v15, v15, v21
	v_cndmask_b32_e32 v6, 0, v11, vcc_lo
	v_cmp_nlt_f32_e32 vcc_lo, 0x42b17218, v1
	v_cndmask_b32_e32 v1, 0x7f800000, v10, vcc_lo
	v_cmp_ngt_f32_e32 vcc_lo, 0xc2ce8ed0, v2
	v_dual_add_f32 v9, v0, v5 :: v_dual_cndmask_b32 v10, 0, v12
	v_cmp_nlt_f32_e32 vcc_lo, 0x42b17218, v7
	s_delay_alu instid0(VALU_DEP_2)
	v_dual_add_f32 v7, v9, v1 :: v_dual_cndmask_b32 v6, 0x7f800000, v6
	v_cmp_ngt_f32_e32 vcc_lo, 0xc2ce8ed0, v8
	v_cndmask_b32_e32 v9, 0, v13, vcc_lo
	v_cmp_nlt_f32_e32 vcc_lo, 0x42b17218, v2
	v_cndmask_b32_e32 v2, 0x7f800000, v10, vcc_lo
	v_cmp_ngt_f32_e32 vcc_lo, 0xc2ce8ed0, v3
	v_cndmask_b32_e32 v10, 0, v14, vcc_lo
	v_cmp_nlt_f32_e32 vcc_lo, 0x42b17218, v8
	v_dual_add_f32 v7, v7, v6 :: v_dual_cndmask_b32 v8, 0x7f800000, v9
	v_cmp_ngt_f32_e32 vcc_lo, 0xc2ce8ed0, v4
	v_cndmask_b32_e32 v9, 0, v15, vcc_lo
	v_cmp_nlt_f32_e32 vcc_lo, 0x42b17218, v3
	v_cndmask_b32_e32 v3, 0x7f800000, v10, vcc_lo
	v_cmp_nlt_f32_e32 vcc_lo, 0x42b17218, v4
	s_delay_alu instid0(VALU_DEP_4) | instskip(NEXT) | instid1(VALU_DEP_1)
	v_dual_add_f32 v7, v7, v2 :: v_dual_cndmask_b32 v4, 0x7f800000, v9
	v_add_f32_e32 v7, v7, v8
	s_delay_alu instid0(VALU_DEP_1) | instskip(NEXT) | instid1(VALU_DEP_1)
	v_add_f32_e32 v7, v7, v3
	v_add_f32_e32 v7, v7, v4
	ds_bpermute_b32 v9, v18, v7
	s_waitcnt lgkmcnt(0)
	v_add_f32_e32 v7, v7, v9
	s_delay_alu instid0(VALU_DEP_1) | instskip(SKIP_1) | instid1(VALU_DEP_2)
	v_div_scale_f32 v9, null, v7, v7, 1.0
	v_div_scale_f32 v12, vcc_lo, 1.0, v7, 1.0
	v_rcp_f32_e32 v10, v9
	s_waitcnt_depctr 0xfff
	v_fma_f32 v11, -v9, v10, 1.0
	s_delay_alu instid0(VALU_DEP_1) | instskip(NEXT) | instid1(VALU_DEP_1)
	v_fmac_f32_e32 v10, v11, v10
	v_mul_f32_e32 v11, v12, v10
	s_delay_alu instid0(VALU_DEP_1) | instskip(NEXT) | instid1(VALU_DEP_1)
	v_fma_f32 v13, -v9, v11, v12
	v_fmac_f32_e32 v11, v13, v10
	s_delay_alu instid0(VALU_DEP_1) | instskip(NEXT) | instid1(VALU_DEP_1)
	v_fma_f32 v9, -v9, v11, v12
	v_div_fmas_f32 v9, v9, v10, v11
	s_delay_alu instid0(VALU_DEP_1) | instskip(NEXT) | instid1(VALU_DEP_1)
	v_div_fixup_f32 v7, v9, v7, 1.0
	v_dual_mul_f32 v10, v7, v2 :: v_dual_lshlrev_b32 v19, 3, v17
	v_mul_f32_e32 v0, v7, v0
	v_mul_f32_e32 v5, v7, v5
	;; [unrolled: 1-line block ×5, first 2 shown]
	v_cmp_class_f32_e64 vcc_lo, v0, 0x1f8
	v_mul_f32_e32 v6, v7, v6
	v_mul_f32_e32 v7, v7, v4
	v_cndmask_b32_e32 v0, 0, v0, vcc_lo
	v_cmp_class_f32_e64 vcc_lo, v5, 0x1f8
	v_cndmask_b32_e32 v1, 0, v5, vcc_lo
	v_cmp_class_f32_e64 vcc_lo, v9, 0x1f8
	;; [unrolled: 2-line block ×7, first 2 shown]
	v_cndmask_b32_e32 v7, 0, v7, vcc_lo
	s_cbranch_scc1 .LBB75_19
; %bb.4:
	v_lshlrev_b32_e32 v12, 2, v19
	s_clause 0x1
	global_load_b128 v[8:11], v12, s[2:3]
	global_load_b128 v[12:15], v12, s[2:3] offset:16
	s_waitcnt vmcnt(1)
	v_dual_add_f32 v9, v9, v1 :: v_dual_add_f32 v8, v8, v0
	v_dual_add_f32 v11, v11, v3 :: v_dual_add_f32 v10, v10, v2
	s_waitcnt vmcnt(0)
	v_dual_add_f32 v13, v13, v5 :: v_dual_add_f32 v12, v12, v4
	v_dual_add_f32 v15, v15, v7 :: v_dual_add_f32 v14, v14, v6
	s_cbranch_execnz .LBB75_6
.LBB75_5:
	v_dual_mov_b32 v15, v7 :: v_dual_mov_b32 v14, v6
	v_dual_mov_b32 v13, v5 :: v_dual_mov_b32 v12, v4
	;; [unrolled: 1-line block ×4, first 2 shown]
.LBB75_6:
	s_load_b128 s[4:7], s[0:1], 0x30
	v_cmp_eq_u32_e64 s2, 0, v17
	s_waitcnt lgkmcnt(0)
	s_bitcmp1_b32 s7, 0
	s_mov_b32 s7, 0
	s_cselect_b32 vcc_lo, -1, 0
	s_cmp_gt_i32 s4, 0
	s_cselect_b32 s3, -1, 0
	s_cmp_lt_i32 s4, 1
	s_cbranch_scc1 .LBB75_20
; %bb.7:
	s_load_b128 s[8:11], s[0:1], 0x20
	v_mul_lo_u32 v21, v16, s4
	v_mov_b32_e32 v20, 0
	v_mov_b32_e32 v22, v16
	s_branch .LBB75_10
.LBB75_8:                               ;   in Loop: Header=BB75_10 Depth=1
	s_or_b32 exec_lo, exec_lo, s1
.LBB75_9:                               ;   in Loop: Header=BB75_10 Depth=1
	v_add_nc_u32_e32 v22, s14, v22
	s_cmp_eq_u32 s4, s7
	s_cbranch_scc1 .LBB75_21
.LBB75_10:                              ; =>This Inner Loop Header: Depth=1
	v_cmp_gt_f32_e64 s0, v9, v8
	s_mov_b32 s17, exec_lo
	s_delay_alu instid0(VALU_DEP_1) | instskip(SKIP_2) | instid1(VALU_DEP_3)
	v_cndmask_b32_e64 v23, v8, v9, s0
	v_cndmask_b32_e64 v24, 0, 1, s0
	;; [unrolled: 1-line block ×3, first 2 shown]
	v_cmp_gt_f32_e64 s1, v10, v23
	s_delay_alu instid0(VALU_DEP_1) | instskip(NEXT) | instid1(VALU_DEP_4)
	v_cndmask_b32_e64 v23, v23, v10, s1
	v_cndmask_b32_e64 v24, v24, 2, s1
	s_delay_alu instid0(VALU_DEP_4) | instskip(NEXT) | instid1(VALU_DEP_3)
	v_cndmask_b32_e64 v25, v25, v2, s1
	v_cmp_gt_f32_e64 s0, v11, v23
	s_delay_alu instid0(VALU_DEP_1) | instskip(NEXT) | instid1(VALU_DEP_4)
	v_cndmask_b32_e64 v23, v23, v11, s0
	v_cndmask_b32_e64 v24, v24, 3, s0
	s_delay_alu instid0(VALU_DEP_4) | instskip(NEXT) | instid1(VALU_DEP_3)
	v_cndmask_b32_e64 v25, v25, v3, s0
	;; [unrolled: 6-line block ×5, first 2 shown]
	v_cmp_gt_f32_e64 s0, v15, v23
	s_delay_alu instid0(VALU_DEP_1) | instskip(NEXT) | instid1(VALU_DEP_4)
	v_cndmask_b32_e64 v27, v23, v15, s0
	v_cndmask_b32_e64 v23, v24, 7, s0
	s_delay_alu instid0(VALU_DEP_4)
	v_cndmask_b32_e64 v24, v25, v7, s0
	ds_bpermute_b32 v28, v18, v27
	v_or_b32_e32 v23, v19, v23
	ds_bpermute_b32 v26, v18, v24
	ds_bpermute_b32 v25, v18, v23
	s_waitcnt lgkmcnt(0)
	v_cmp_lt_f32_e64 s16, v27, v28
	v_cmpx_nlt_f32_e32 v27, v28
	s_cbranch_execnz .LBB75_14
; %bb.11:                               ;   in Loop: Header=BB75_10 Depth=1
	s_or_b32 exec_lo, exec_lo, s17
	s_delay_alu instid0(VALU_DEP_2)
	s_and_saveexec_b32 s0, s16
	s_cbranch_execnz .LBB75_15
.LBB75_12:                              ;   in Loop: Header=BB75_10 Depth=1
	s_or_b32 exec_lo, exec_lo, s0
	s_and_saveexec_b32 s16, s2
	s_cbranch_execnz .LBB75_16
.LBB75_13:                              ;   in Loop: Header=BB75_10 Depth=1
	s_or_b32 exec_lo, exec_lo, s16
	s_add_i32 s7, s7, 1
	s_delay_alu instid0(SALU_CYCLE_1)
	s_cmp_ge_i32 s7, s4
	s_cbranch_scc1 .LBB75_9
	s_branch .LBB75_17
.LBB75_14:                              ;   in Loop: Header=BB75_10 Depth=1
	v_cmp_eq_f32_e64 s0, v27, v28
	v_cmp_lt_i32_e64 s1, v25, v23
	s_delay_alu instid0(VALU_DEP_1) | instskip(SKIP_2) | instid1(SALU_CYCLE_1)
	s_and_b32 s0, s0, s1
	s_and_not1_b32 s1, s16, exec_lo
	s_and_b32 s0, s0, exec_lo
	s_or_b32 s16, s1, s0
	s_or_b32 exec_lo, exec_lo, s17
	s_and_saveexec_b32 s0, s16
	s_cbranch_execz .LBB75_12
.LBB75_15:                              ;   in Loop: Header=BB75_10 Depth=1
	v_dual_mov_b32 v24, v26 :: v_dual_mov_b32 v23, v25
	s_or_b32 exec_lo, exec_lo, s0
	s_and_saveexec_b32 s16, s2
	s_cbranch_execz .LBB75_13
.LBB75_16:                              ;   in Loop: Header=BB75_10 Depth=1
	s_delay_alu instid0(VALU_DEP_1) | instskip(SKIP_3) | instid1(VALU_DEP_4)
	v_dual_add_f32 v32, v20, v24 :: v_dual_add_nc_u32 v25, s7, v21
	v_cmp_le_i32_e64 s0, s5, v23
	v_cmp_gt_i32_e64 s1, s6, v23
	v_subrev_nc_u32_e32 v27, s5, v23
	v_ashrrev_i32_e32 v26, 31, v25
	v_cndmask_b32_e32 v20, v20, v32, vcc_lo
	s_delay_alu instid0(VALU_DEP_4) | instskip(NEXT) | instid1(SALU_CYCLE_1)
	s_and_b32 s0, s0, s1
	s_and_b32 s0, s15, s0
	s_delay_alu instid0(VALU_DEP_2) | instskip(SKIP_1) | instid1(VALU_DEP_2)
	v_lshlrev_b64 v[25:26], 2, v[25:26]
	v_cndmask_b32_e64 v31, 16, v27, s0
	v_add_co_u32 v27, s0, s12, v25
	s_delay_alu instid0(VALU_DEP_1) | instskip(SKIP_1) | instid1(VALU_DEP_1)
	v_add_co_ci_u32_e64 v28, s0, s13, v26, s0
	v_add_co_u32 v29, s0, s8, v25
	v_add_co_ci_u32_e64 v30, s0, s9, v26, s0
	v_add_co_u32 v25, s0, s10, v25
	s_delay_alu instid0(VALU_DEP_1)
	v_add_co_ci_u32_e64 v26, s0, s11, v26, s0
	global_store_b32 v[27:28], v24, off
	global_store_b32 v[29:30], v31, off
	;; [unrolled: 1-line block ×3, first 2 shown]
	s_or_b32 exec_lo, exec_lo, s16
	s_add_i32 s7, s7, 1
	s_delay_alu instid0(SALU_CYCLE_1)
	s_cmp_ge_i32 s7, s4
	s_cbranch_scc1 .LBB75_9
.LBB75_17:                              ;   in Loop: Header=BB75_10 Depth=1
	v_ashrrev_i32_e32 v25, 31, v23
	s_mov_b32 s1, exec_lo
	s_delay_alu instid0(VALU_DEP_1) | instskip(NEXT) | instid1(VALU_DEP_1)
	v_lshrrev_b32_e32 v24, 29, v25
	v_add_nc_u32_e32 v26, v23, v24
	s_delay_alu instid0(VALU_DEP_1) | instskip(SKIP_1) | instid1(VALU_DEP_1)
	v_ashrrev_i32_e32 v24, 3, v26
	v_lshrrev_b32_e32 v26, 31, v26
	v_add_nc_u32_e32 v26, v24, v26
	s_delay_alu instid0(VALU_DEP_1) | instskip(NEXT) | instid1(VALU_DEP_1)
	v_and_b32_e32 v26, -2, v26
	v_sub_nc_u32_e32 v26, v24, v26
	s_delay_alu instid0(VALU_DEP_1)
	v_cmpx_eq_u32_e64 v17, v26
	s_cbranch_execz .LBB75_8
; %bb.18:                               ;   in Loop: Header=BB75_10 Depth=1
	v_lshrrev_b32_e32 v25, 28, v25
	v_lshlrev_b32_e32 v24, 3, v24
	s_delay_alu instid0(VALU_DEP_2) | instskip(NEXT) | instid1(VALU_DEP_2)
	v_add_nc_u32_e32 v25, v23, v25
	v_sub_nc_u32_e32 v23, v23, v24
	s_delay_alu instid0(VALU_DEP_2) | instskip(NEXT) | instid1(VALU_DEP_1)
	v_ashrrev_i32_e32 v24, 4, v25
	v_lshl_add_u32 v23, v24, 3, v23
	s_delay_alu instid0(VALU_DEP_1) | instskip(NEXT) | instid1(VALU_DEP_1)
	v_cmp_ne_u32_e64 s0, 7, v23
	v_cndmask_b32_e64 v15, 0xc61c4000, v15, s0
	v_cmp_ne_u32_e64 s0, 6, v23
	s_delay_alu instid0(VALU_DEP_1) | instskip(SKIP_1) | instid1(VALU_DEP_1)
	v_cndmask_b32_e64 v14, 0xc61c4000, v14, s0
	v_cmp_ne_u32_e64 s0, 5, v23
	v_cndmask_b32_e64 v13, 0xc61c4000, v13, s0
	v_cmp_ne_u32_e64 s0, 4, v23
	s_delay_alu instid0(VALU_DEP_1) | instskip(SKIP_1) | instid1(VALU_DEP_1)
	v_cndmask_b32_e64 v12, 0xc61c4000, v12, s0
	;; [unrolled: 5-line block ×3, first 2 shown]
	v_cmp_ne_u32_e64 s0, 1, v23
	v_cndmask_b32_e64 v9, 0xc61c4000, v9, s0
	v_cmp_ne_u32_e64 s0, 0, v23
	s_delay_alu instid0(VALU_DEP_1)
	v_cndmask_b32_e64 v8, 0xc61c4000, v8, s0
	s_branch .LBB75_8
.LBB75_19:
                                        ; implicit-def: $vgpr8_vgpr9_vgpr10_vgpr11_vgpr12_vgpr13_vgpr14_vgpr15
	s_and_not1_b32 vcc_lo, exec_lo, s8
	s_cbranch_vccz .LBB75_5
	s_branch .LBB75_6
.LBB75_20:
	v_mov_b32_e32 v20, 0
.LBB75_21:
	v_cmp_eq_u32_e64 s0, 0, v17
	s_delay_alu instid0(VALU_DEP_1) | instskip(NEXT) | instid1(SALU_CYCLE_1)
	s_and_b32 s0, s0, vcc_lo
	s_and_b32 exec_lo, exec_lo, s0
	s_cbranch_execz .LBB75_25
; %bb.22:
	s_and_not1_b32 vcc_lo, exec_lo, s3
	s_cbranch_vccnz .LBB75_25
; %bb.23:
	v_mul_lo_u32 v0, v16, s4
	v_cmp_lt_f32_e32 vcc_lo, 0, v20
	v_cndmask_b32_e32 v2, 1.0, v20, vcc_lo
	s_delay_alu instid0(VALU_DEP_3) | instskip(NEXT) | instid1(VALU_DEP_1)
	v_ashrrev_i32_e32 v1, 31, v0
	v_lshlrev_b64 v[0:1], 2, v[0:1]
	s_delay_alu instid0(VALU_DEP_1) | instskip(NEXT) | instid1(VALU_DEP_2)
	v_add_co_u32 v0, vcc_lo, s12, v0
	v_add_co_ci_u32_e32 v1, vcc_lo, s13, v1, vcc_lo
	.p2align	6
.LBB75_24:                              ; =>This Inner Loop Header: Depth=1
	global_load_b32 v3, v[0:1], off
	s_add_i32 s4, s4, -1
	s_delay_alu instid0(SALU_CYCLE_1) | instskip(SKIP_3) | instid1(VALU_DEP_2)
	s_cmp_lg_u32 s4, 0
	s_waitcnt vmcnt(0)
	v_div_scale_f32 v4, null, v2, v2, v3
	v_div_scale_f32 v7, vcc_lo, v3, v2, v3
	v_rcp_f32_e32 v5, v4
	s_waitcnt_depctr 0xfff
	v_fma_f32 v6, -v4, v5, 1.0
	s_delay_alu instid0(VALU_DEP_1) | instskip(NEXT) | instid1(VALU_DEP_1)
	v_fmac_f32_e32 v5, v6, v5
	v_mul_f32_e32 v6, v7, v5
	s_delay_alu instid0(VALU_DEP_1) | instskip(NEXT) | instid1(VALU_DEP_1)
	v_fma_f32 v8, -v4, v6, v7
	v_fmac_f32_e32 v6, v8, v5
	s_delay_alu instid0(VALU_DEP_1) | instskip(NEXT) | instid1(VALU_DEP_1)
	v_fma_f32 v4, -v4, v6, v7
	v_div_fmas_f32 v4, v4, v5, v6
	s_delay_alu instid0(VALU_DEP_1)
	v_div_fixup_f32 v3, v4, v2, v3
	global_store_b32 v[0:1], v3, off
	v_add_co_u32 v0, vcc_lo, v0, 4
	v_add_co_ci_u32_e32 v1, vcc_lo, 0, v1, vcc_lo
	s_cbranch_scc1 .LBB75_24
.LBB75_25:
	s_nop 0
	s_sendmsg sendmsg(MSG_DEALLOC_VGPRS)
	s_endpgm
	.section	.rodata,"a",@progbits
	.p2align	6, 0x0
	.amdhsa_kernel _ZN4vllm3moe10topkGatingILi8ELi16ELi4ELi16ELi32Ei6__halfLNS0_11ScoringFuncE0EEEvPKT5_PKbPfiPT4_PiiiibPKf
		.amdhsa_group_segment_fixed_size 0
		.amdhsa_private_segment_fixed_size 0
		.amdhsa_kernarg_size 72
		.amdhsa_user_sgpr_count 15
		.amdhsa_user_sgpr_dispatch_ptr 0
		.amdhsa_user_sgpr_queue_ptr 0
		.amdhsa_user_sgpr_kernarg_segment_ptr 1
		.amdhsa_user_sgpr_dispatch_id 0
		.amdhsa_user_sgpr_private_segment_size 0
		.amdhsa_wavefront_size32 1
		.amdhsa_uses_dynamic_stack 0
		.amdhsa_enable_private_segment 0
		.amdhsa_system_sgpr_workgroup_id_x 1
		.amdhsa_system_sgpr_workgroup_id_y 0
		.amdhsa_system_sgpr_workgroup_id_z 0
		.amdhsa_system_sgpr_workgroup_info 0
		.amdhsa_system_vgpr_workitem_id 1
		.amdhsa_next_free_vgpr 35
		.amdhsa_next_free_sgpr 18
		.amdhsa_reserve_vcc 1
		.amdhsa_float_round_mode_32 0
		.amdhsa_float_round_mode_16_64 0
		.amdhsa_float_denorm_mode_32 3
		.amdhsa_float_denorm_mode_16_64 3
		.amdhsa_dx10_clamp 1
		.amdhsa_ieee_mode 1
		.amdhsa_fp16_overflow 0
		.amdhsa_workgroup_processor_mode 1
		.amdhsa_memory_ordered 1
		.amdhsa_forward_progress 0
		.amdhsa_shared_vgpr_count 0
		.amdhsa_exception_fp_ieee_invalid_op 0
		.amdhsa_exception_fp_denorm_src 0
		.amdhsa_exception_fp_ieee_div_zero 0
		.amdhsa_exception_fp_ieee_overflow 0
		.amdhsa_exception_fp_ieee_underflow 0
		.amdhsa_exception_fp_ieee_inexact 0
		.amdhsa_exception_int_div_zero 0
	.end_amdhsa_kernel
	.section	.text._ZN4vllm3moe10topkGatingILi8ELi16ELi4ELi16ELi32Ei6__halfLNS0_11ScoringFuncE0EEEvPKT5_PKbPfiPT4_PiiiibPKf,"axG",@progbits,_ZN4vllm3moe10topkGatingILi8ELi16ELi4ELi16ELi32Ei6__halfLNS0_11ScoringFuncE0EEEvPKT5_PKbPfiPT4_PiiiibPKf,comdat
.Lfunc_end75:
	.size	_ZN4vllm3moe10topkGatingILi8ELi16ELi4ELi16ELi32Ei6__halfLNS0_11ScoringFuncE0EEEvPKT5_PKbPfiPT4_PiiiibPKf, .Lfunc_end75-_ZN4vllm3moe10topkGatingILi8ELi16ELi4ELi16ELi32Ei6__halfLNS0_11ScoringFuncE0EEEvPKT5_PKbPfiPT4_PiiiibPKf
                                        ; -- End function
	.section	.AMDGPU.csdata,"",@progbits
; Kernel info:
; codeLenInByte = 2824
; NumSgprs: 20
; NumVgprs: 35
; ScratchSize: 0
; MemoryBound: 0
; FloatMode: 240
; IeeeMode: 1
; LDSByteSize: 0 bytes/workgroup (compile time only)
; SGPRBlocks: 2
; VGPRBlocks: 4
; NumSGPRsForWavesPerEU: 20
; NumVGPRsForWavesPerEU: 35
; Occupancy: 16
; WaveLimiterHint : 0
; COMPUTE_PGM_RSRC2:SCRATCH_EN: 0
; COMPUTE_PGM_RSRC2:USER_SGPR: 15
; COMPUTE_PGM_RSRC2:TRAP_HANDLER: 0
; COMPUTE_PGM_RSRC2:TGID_X_EN: 1
; COMPUTE_PGM_RSRC2:TGID_Y_EN: 0
; COMPUTE_PGM_RSRC2:TGID_Z_EN: 0
; COMPUTE_PGM_RSRC2:TIDIG_COMP_CNT: 1
	.section	.text._ZN4vllm3moe10topkGatingILi8ELi32ELi4ELi16ELi64Ei6__halfLNS0_11ScoringFuncE0EEEvPKT5_PKbPfiPT4_PiiiibPKf,"axG",@progbits,_ZN4vllm3moe10topkGatingILi8ELi32ELi4ELi16ELi64Ei6__halfLNS0_11ScoringFuncE0EEEvPKT5_PKbPfiPT4_PiiiibPKf,comdat
	.protected	_ZN4vllm3moe10topkGatingILi8ELi32ELi4ELi16ELi64Ei6__halfLNS0_11ScoringFuncE0EEEvPKT5_PKbPfiPT4_PiiiibPKf ; -- Begin function _ZN4vllm3moe10topkGatingILi8ELi32ELi4ELi16ELi64Ei6__halfLNS0_11ScoringFuncE0EEEvPKT5_PKbPfiPT4_PiiiibPKf
	.globl	_ZN4vllm3moe10topkGatingILi8ELi32ELi4ELi16ELi64Ei6__halfLNS0_11ScoringFuncE0EEEvPKT5_PKbPfiPT4_PiiiibPKf
	.p2align	8
	.type	_ZN4vllm3moe10topkGatingILi8ELi32ELi4ELi16ELi64Ei6__halfLNS0_11ScoringFuncE0EEEvPKT5_PKbPfiPT4_PiiiibPKf,@function
_ZN4vllm3moe10topkGatingILi8ELi32ELi4ELi16ELi64Ei6__halfLNS0_11ScoringFuncE0EEEvPKT5_PKbPfiPT4_PiiiibPKf: ; @_ZN4vllm3moe10topkGatingILi8ELi32ELi4ELi16ELi64Ei6__halfLNS0_11ScoringFuncE0EEEvPKT5_PKbPfiPT4_PiiiibPKf
; %bb.0:
	s_load_b32 s14, s[0:1], 0x18
	v_bfe_u32 v1, v0, 10, 10
	v_and_b32_e32 v0, 0x3ff, v0
	s_lshl_b32 s2, s15, 6
	s_delay_alu instid0(VALU_DEP_2) | instskip(NEXT) | instid1(VALU_DEP_2)
	v_lshlrev_b32_e32 v1, 4, v1
	v_lshrrev_b32_e32 v2, 2, v0
	s_delay_alu instid0(VALU_DEP_1) | instskip(SKIP_2) | instid1(VALU_DEP_1)
	v_add3_u32 v16, s2, v1, v2
	s_mov_b32 s2, exec_lo
	s_waitcnt lgkmcnt(0)
	v_cmpx_gt_i32_e64 s14, v16
	s_cbranch_execz .LBB76_29
; %bb.1:
	s_clause 0x1
	s_load_b128 s[4:7], s[0:1], 0x0
	s_load_b64 s[12:13], s[0:1], 0x10
	s_mov_b32 s8, -1
	s_mov_b32 s15, -1
	s_waitcnt lgkmcnt(0)
	s_cmp_eq_u64 s[6:7], 0
	s_cbranch_scc1 .LBB76_3
; %bb.2:
	v_ashrrev_i32_e32 v2, 31, v16
	v_add_co_u32 v1, vcc_lo, s6, v16
	s_delay_alu instid0(VALU_DEP_2) | instskip(SKIP_3) | instid1(VALU_DEP_1)
	v_add_co_ci_u32_e32 v2, vcc_lo, s7, v2, vcc_lo
	global_load_u8 v1, v[1:2], off
	s_waitcnt vmcnt(0)
	v_and_b32_e32 v1, 1, v1
	v_cmp_eq_u32_e32 vcc_lo, 1, v1
	s_xor_b32 s2, vcc_lo, -1
	s_delay_alu instid0(SALU_CYCLE_1)
	s_or_not1_b32 s15, s2, exec_lo
.LBB76_3:
	v_lshlrev_b32_e32 v1, 5, v16
	v_and_b32_e32 v17, 3, v0
	v_mbcnt_lo_u32_b32 v4, -1, 0
	s_load_b64 s[2:3], s[0:1], 0x40
	s_delay_alu instid0(VALU_DEP_3) | instskip(NEXT) | instid1(VALU_DEP_2)
	v_ashrrev_i32_e32 v2, 31, v1
	v_and_b32_e32 v6, 28, v4
	v_xor_b32_e32 v8, 2, v4
	v_xor_b32_e32 v12, 1, v4
	s_delay_alu instid0(VALU_DEP_4) | instskip(SKIP_1) | instid1(VALU_DEP_2)
	v_lshlrev_b64 v[0:1], 1, v[1:2]
	v_lshlrev_b32_e32 v2, 4, v17
	v_add_co_u32 v0, vcc_lo, s4, v0
	s_delay_alu instid0(VALU_DEP_3) | instskip(NEXT) | instid1(VALU_DEP_2)
	v_add_co_ci_u32_e32 v1, vcc_lo, s5, v1, vcc_lo
	v_add_co_u32 v0, vcc_lo, v0, v2
	s_delay_alu instid0(VALU_DEP_2)
	v_add_co_ci_u32_e32 v1, vcc_lo, 0, v1, vcc_lo
	s_waitcnt lgkmcnt(0)
	s_cmp_eq_u64 s[2:3], 0
	global_load_b128 v[0:3], v[0:1], off
	s_waitcnt vmcnt(0)
	v_lshrrev_b32_e32 v5, 16, v0
	v_cvt_f32_f16_e32 v0, v0
	v_lshrrev_b32_e32 v7, 16, v1
	v_cvt_f32_f16_e32 v1, v1
	v_lshrrev_b32_e32 v9, 16, v2
	v_cvt_f32_f16_e32 v5, v5
	v_add_nc_u32_e32 v6, 4, v6
	v_cvt_f32_f16_e32 v7, v7
	v_cvt_f32_f16_e32 v2, v2
	v_lshrrev_b32_e32 v11, 16, v3
	v_max_f32_e32 v10, v0, v5
	v_cvt_f32_f16_e32 v9, v9
	v_cmp_lt_i32_e32 vcc_lo, v8, v6
	v_cvt_f32_f16_e32 v3, v3
	v_cvt_f32_f16_e32 v11, v11
	v_max3_f32 v10, v10, v1, v7
	v_cndmask_b32_e32 v8, v4, v8, vcc_lo
	v_cmp_lt_i32_e32 vcc_lo, v12, v6
	s_delay_alu instid0(VALU_DEP_3) | instskip(NEXT) | instid1(VALU_DEP_3)
	v_max3_f32 v10, v10, v2, v9
	v_lshlrev_b32_e32 v18, 2, v8
	v_cndmask_b32_e32 v4, v4, v12, vcc_lo
	s_delay_alu instid0(VALU_DEP_3) | instskip(SKIP_3) | instid1(VALU_DEP_1)
	v_max3_f32 v8, v10, v3, v11
	ds_bpermute_b32 v10, v18, v8
	s_waitcnt lgkmcnt(0)
	v_dual_max_f32 v6, v10, v10 :: v_dual_lshlrev_b32 v19, 2, v4
	v_max_f32_e32 v4, v8, v6
	ds_bpermute_b32 v6, v19, v4
	s_waitcnt lgkmcnt(0)
	v_max_f32_e32 v6, v6, v6
	s_delay_alu instid0(VALU_DEP_1) | instskip(NEXT) | instid1(VALU_DEP_1)
	v_max_f32_e32 v4, v4, v6
	v_sub_f32_e32 v5, v5, v4
	v_sub_f32_e32 v6, v7, v4
	v_sub_f32_e32 v7, v9, v4
	v_sub_f32_e32 v1, v1, v4
	s_delay_alu instid0(VALU_DEP_4) | instskip(SKIP_1) | instid1(VALU_DEP_3)
	v_dual_sub_f32 v2, v2, v4 :: v_dual_mul_f32 v9, 0x3fb8aa3b, v5
	v_sub_f32_e32 v3, v3, v4
	v_dual_mul_f32 v13, 0x3fb8aa3b, v7 :: v_dual_mul_f32 v10, 0x3fb8aa3b, v1
	s_delay_alu instid0(VALU_DEP_3) | instskip(SKIP_1) | instid1(VALU_DEP_3)
	v_fma_f32 v22, 0x3fb8aa3b, v5, -v9
	v_rndne_f32_e32 v23, v9
	v_fma_f32 v30, 0x3fb8aa3b, v7, -v13
	v_rndne_f32_e32 v31, v13
	v_sub_f32_e32 v0, v0, v4
	s_delay_alu instid0(VALU_DEP_4) | instskip(NEXT) | instid1(VALU_DEP_4)
	v_dual_fmac_f32 v22, 0x32a5705f, v5 :: v_dual_sub_f32 v9, v9, v23
	v_fmac_f32_e32 v30, 0x32a5705f, v7
	s_delay_alu instid0(VALU_DEP_4) | instskip(SKIP_1) | instid1(VALU_DEP_4)
	v_dual_sub_f32 v13, v13, v31 :: v_dual_sub_f32 v4, v11, v4
	v_fma_f32 v24, 0x3fb8aa3b, v1, -v10
	v_add_f32_e32 v9, v9, v22
	v_mul_f32_e32 v11, 0x3fb8aa3b, v6
	s_delay_alu instid0(VALU_DEP_4) | instskip(SKIP_2) | instid1(VALU_DEP_4)
	v_dual_add_f32 v13, v13, v30 :: v_dual_mul_f32 v14, 0x3fb8aa3b, v3
	v_mul_f32_e32 v15, 0x3fb8aa3b, v4
	v_rndne_f32_e32 v25, v10
	v_fma_f32 v26, 0x3fb8aa3b, v6, -v11
	v_rndne_f32_e32 v27, v11
	v_fmac_f32_e32 v24, 0x32a5705f, v1
	v_fma_f32 v34, 0x3fb8aa3b, v4, -v15
	v_rndne_f32_e32 v35, v15
	s_delay_alu instid0(VALU_DEP_4) | instskip(SKIP_1) | instid1(VALU_DEP_3)
	v_dual_fmac_f32 v26, 0x32a5705f, v6 :: v_dual_sub_f32 v11, v11, v27
	v_mul_f32_e32 v8, 0x3fb8aa3b, v0
	v_dual_fmac_f32 v34, 0x32a5705f, v4 :: v_dual_sub_f32 v15, v15, v35
	s_delay_alu instid0(VALU_DEP_3) | instskip(NEXT) | instid1(VALU_DEP_3)
	v_dual_sub_f32 v10, v10, v25 :: v_dual_add_f32 v11, v11, v26
	v_fma_f32 v20, 0x3fb8aa3b, v0, -v8
	v_rndne_f32_e32 v21, v8
	s_delay_alu instid0(VALU_DEP_3) | instskip(SKIP_1) | instid1(VALU_DEP_3)
	v_dual_add_f32 v15, v15, v34 :: v_dual_add_f32 v10, v10, v24
	v_exp_f32_e32 v9, v9
	v_fmac_f32_e32 v20, 0x32a5705f, v0
	s_delay_alu instid0(VALU_DEP_3)
	v_sub_f32_e32 v8, v8, v21
	v_cvt_i32_f32_e32 v21, v21
	v_cvt_i32_f32_e32 v23, v23
	v_exp_f32_e32 v10, v10
	v_cmp_ngt_f32_e32 vcc_lo, 0xc2ce8ed0, v0
	v_add_f32_e32 v8, v8, v20
	v_cvt_i32_f32_e32 v25, v25
	v_exp_f32_e32 v13, v13
	v_ldexp_f32 v9, v9, v23
	v_cvt_i32_f32_e32 v31, v31
	v_exp_f32_e32 v8, v8
	v_exp_f32_e32 v11, v11
	v_cvt_i32_f32_e32 v27, v27
	v_ldexp_f32 v10, v10, v25
	v_fma_f32 v32, 0x3fb8aa3b, v3, -v14
	v_rndne_f32_e32 v33, v14
	v_exp_f32_e32 v15, v15
	v_ldexp_f32 v13, v13, v31
	v_cvt_i32_f32_e32 v22, v35
	s_delay_alu instid0(TRANS32_DEP_3) | instskip(NEXT) | instid1(TRANS32_DEP_2)
	v_ldexp_f32 v8, v8, v21
	v_ldexp_f32 v11, v11, v27
	v_sub_f32_e32 v14, v14, v33
	v_cvt_i32_f32_e32 v20, v33
	s_delay_alu instid0(VALU_DEP_4) | instskip(SKIP_4) | instid1(VALU_DEP_3)
	v_cndmask_b32_e32 v8, 0, v8, vcc_lo
	v_cmp_ngt_f32_e32 vcc_lo, 0xc2ce8ed0, v5
	v_mul_f32_e32 v12, 0x3fb8aa3b, v2
	v_ldexp_f32 v15, v15, v22
	v_cndmask_b32_e32 v9, 0, v9, vcc_lo
	v_fma_f32 v28, 0x3fb8aa3b, v2, -v12
	v_rndne_f32_e32 v29, v12
	v_cmp_ngt_f32_e32 vcc_lo, 0xc2ce8ed0, v1
	s_delay_alu instid0(VALU_DEP_3) | instskip(NEXT) | instid1(VALU_DEP_3)
	v_fmac_f32_e32 v28, 0x32a5705f, v2
	v_sub_f32_e32 v12, v12, v29
	v_cndmask_b32_e32 v10, 0, v10, vcc_lo
	v_cmp_nlt_f32_e32 vcc_lo, 0x42b17218, v0
	v_cvt_i32_f32_e32 v29, v29
	s_delay_alu instid0(VALU_DEP_4) | instskip(SKIP_2) | instid1(VALU_DEP_3)
	v_add_f32_e32 v12, v12, v28
	v_cndmask_b32_e32 v0, 0x7f800000, v8, vcc_lo
	v_cmp_nlt_f32_e32 vcc_lo, 0x42b17218, v5
	v_exp_f32_e32 v12, v12
	v_cndmask_b32_e32 v5, 0x7f800000, v9, vcc_lo
	v_cmp_ngt_f32_e32 vcc_lo, 0xc2ce8ed0, v6
	s_delay_alu instid0(VALU_DEP_2)
	v_dual_fmac_f32 v32, 0x32a5705f, v3 :: v_dual_add_f32 v9, v0, v5
	v_cndmask_b32_e32 v8, 0, v11, vcc_lo
	v_cmp_nlt_f32_e32 vcc_lo, 0x42b17218, v1
	s_waitcnt_depctr 0xfff
	v_ldexp_f32 v12, v12, v29
	v_dual_add_f32 v14, v14, v32 :: v_dual_cndmask_b32 v1, 0x7f800000, v10
	v_cmp_ngt_f32_e32 vcc_lo, 0xc2ce8ed0, v2
	s_delay_alu instid0(VALU_DEP_2) | instskip(NEXT) | instid1(VALU_DEP_3)
	v_exp_f32_e32 v14, v14
	v_cndmask_b32_e32 v10, 0, v12, vcc_lo
	v_cmp_nlt_f32_e32 vcc_lo, 0x42b17218, v6
	v_cndmask_b32_e32 v6, 0x7f800000, v8, vcc_lo
	v_cmp_ngt_f32_e32 vcc_lo, 0xc2ce8ed0, v7
	v_add_f32_e32 v8, v9, v1
	s_waitcnt_depctr 0xfff
	v_ldexp_f32 v14, v14, v20
	v_lshlrev_b32_e32 v20, 3, v17
	v_cndmask_b32_e32 v9, 0, v13, vcc_lo
	v_cmp_nlt_f32_e32 vcc_lo, 0x42b17218, v2
	v_add_f32_e32 v8, v8, v6
	v_cndmask_b32_e32 v2, 0x7f800000, v10, vcc_lo
	v_cmp_ngt_f32_e32 vcc_lo, 0xc2ce8ed0, v3
	s_delay_alu instid0(VALU_DEP_2) | instskip(SKIP_4) | instid1(VALU_DEP_2)
	v_add_f32_e32 v8, v8, v2
	v_cndmask_b32_e32 v10, 0, v14, vcc_lo
	v_cmp_nlt_f32_e32 vcc_lo, 0x42b17218, v7
	v_cndmask_b32_e32 v7, 0x7f800000, v9, vcc_lo
	v_cmp_ngt_f32_e32 vcc_lo, 0xc2ce8ed0, v4
	v_add_f32_e32 v8, v8, v7
	v_cndmask_b32_e32 v9, 0, v15, vcc_lo
	v_cmp_nlt_f32_e32 vcc_lo, 0x42b17218, v3
	v_cndmask_b32_e32 v3, 0x7f800000, v10, vcc_lo
	v_cmp_nlt_f32_e32 vcc_lo, 0x42b17218, v4
	s_delay_alu instid0(VALU_DEP_2) | instskip(SKIP_1) | instid1(VALU_DEP_1)
	v_add_f32_e32 v8, v8, v3
	v_cndmask_b32_e32 v4, 0x7f800000, v9, vcc_lo
	v_add_f32_e32 v8, v8, v4
	ds_bpermute_b32 v9, v18, v8
	s_waitcnt lgkmcnt(0)
	v_add_f32_e32 v8, v8, v9
	ds_bpermute_b32 v9, v19, v8
	s_waitcnt lgkmcnt(0)
	v_add_f32_e32 v8, v8, v9
	s_delay_alu instid0(VALU_DEP_1) | instskip(SKIP_1) | instid1(VALU_DEP_2)
	v_div_scale_f32 v9, null, v8, v8, 1.0
	v_div_scale_f32 v12, vcc_lo, 1.0, v8, 1.0
	v_rcp_f32_e32 v10, v9
	s_waitcnt_depctr 0xfff
	v_fma_f32 v11, -v9, v10, 1.0
	s_delay_alu instid0(VALU_DEP_1) | instskip(NEXT) | instid1(VALU_DEP_1)
	v_fmac_f32_e32 v10, v11, v10
	v_mul_f32_e32 v11, v12, v10
	s_delay_alu instid0(VALU_DEP_1) | instskip(NEXT) | instid1(VALU_DEP_1)
	v_fma_f32 v13, -v9, v11, v12
	v_fmac_f32_e32 v11, v13, v10
	s_delay_alu instid0(VALU_DEP_1) | instskip(NEXT) | instid1(VALU_DEP_1)
	v_fma_f32 v9, -v9, v11, v12
	v_div_fmas_f32 v9, v9, v10, v11
	s_delay_alu instid0(VALU_DEP_1) | instskip(NEXT) | instid1(VALU_DEP_1)
	v_div_fixup_f32 v8, v9, v8, 1.0
	v_mul_f32_e32 v0, v8, v0
	v_mul_f32_e32 v5, v8, v5
	;; [unrolled: 1-line block ×5, first 2 shown]
	v_cmp_class_f32_e64 vcc_lo, v0, 0x1f8
	v_mul_f32_e32 v7, v8, v7
	v_mul_f32_e32 v11, v8, v3
	v_mul_f32_e32 v8, v8, v4
	v_cndmask_b32_e32 v0, 0, v0, vcc_lo
	v_cmp_class_f32_e64 vcc_lo, v5, 0x1f8
	v_cndmask_b32_e32 v1, 0, v5, vcc_lo
	v_cmp_class_f32_e64 vcc_lo, v9, 0x1f8
	;; [unrolled: 2-line block ×7, first 2 shown]
	v_cndmask_b32_e32 v7, 0, v8, vcc_lo
	s_cbranch_scc1 .LBB76_23
; %bb.4:
	v_lshlrev_b32_e32 v12, 2, v20
	s_clause 0x1
	global_load_b128 v[8:11], v12, s[2:3]
	global_load_b128 v[12:15], v12, s[2:3] offset:16
	s_waitcnt vmcnt(1)
	v_dual_add_f32 v9, v9, v1 :: v_dual_add_f32 v8, v8, v0
	v_dual_add_f32 v11, v11, v3 :: v_dual_add_f32 v10, v10, v2
	s_waitcnt vmcnt(0)
	v_dual_add_f32 v13, v13, v5 :: v_dual_add_f32 v12, v12, v4
	v_dual_add_f32 v15, v15, v7 :: v_dual_add_f32 v14, v14, v6
	s_cbranch_execnz .LBB76_6
.LBB76_5:
	v_dual_mov_b32 v15, v7 :: v_dual_mov_b32 v14, v6
	v_dual_mov_b32 v13, v5 :: v_dual_mov_b32 v12, v4
	;; [unrolled: 1-line block ×4, first 2 shown]
.LBB76_6:
	s_load_b128 s[4:7], s[0:1], 0x30
	v_cmp_eq_u32_e64 s2, 0, v17
	s_waitcnt lgkmcnt(0)
	s_bitcmp1_b32 s7, 0
	s_mov_b32 s7, 0
	s_cselect_b32 vcc_lo, -1, 0
	s_cmp_gt_i32 s4, 0
	s_cselect_b32 s3, -1, 0
	s_cmp_lt_i32 s4, 1
	s_cbranch_scc1 .LBB76_24
; %bb.7:
	s_load_b128 s[8:11], s[0:1], 0x20
	v_mul_lo_u32 v22, v16, s4
	v_mov_b32_e32 v21, 0
	v_mov_b32_e32 v23, v16
	s_branch .LBB76_10
.LBB76_8:                               ;   in Loop: Header=BB76_10 Depth=1
	s_or_b32 exec_lo, exec_lo, s1
.LBB76_9:                               ;   in Loop: Header=BB76_10 Depth=1
	v_add_nc_u32_e32 v23, s14, v23
	s_cmp_eq_u32 s4, s7
	s_cbranch_scc1 .LBB76_25
.LBB76_10:                              ; =>This Inner Loop Header: Depth=1
	v_cmp_gt_f32_e64 s0, v9, v8
	s_mov_b32 s17, exec_lo
	s_delay_alu instid0(VALU_DEP_1) | instskip(SKIP_2) | instid1(VALU_DEP_3)
	v_cndmask_b32_e64 v24, v8, v9, s0
	v_cndmask_b32_e64 v25, 0, 1, s0
	;; [unrolled: 1-line block ×3, first 2 shown]
	v_cmp_gt_f32_e64 s1, v10, v24
	s_delay_alu instid0(VALU_DEP_1) | instskip(NEXT) | instid1(VALU_DEP_4)
	v_cndmask_b32_e64 v24, v24, v10, s1
	v_cndmask_b32_e64 v25, v25, 2, s1
	s_delay_alu instid0(VALU_DEP_4) | instskip(NEXT) | instid1(VALU_DEP_3)
	v_cndmask_b32_e64 v26, v26, v2, s1
	v_cmp_gt_f32_e64 s0, v11, v24
	s_delay_alu instid0(VALU_DEP_1) | instskip(NEXT) | instid1(VALU_DEP_4)
	v_cndmask_b32_e64 v24, v24, v11, s0
	v_cndmask_b32_e64 v25, v25, 3, s0
	s_delay_alu instid0(VALU_DEP_4) | instskip(NEXT) | instid1(VALU_DEP_3)
	v_cndmask_b32_e64 v26, v26, v3, s0
	;; [unrolled: 6-line block ×4, first 2 shown]
	v_cmp_gt_f32_e64 s1, v14, v24
	s_delay_alu instid0(VALU_DEP_1) | instskip(NEXT) | instid1(VALU_DEP_4)
	v_cndmask_b32_e64 v24, v24, v14, s1
	v_cndmask_b32_e64 v25, v25, 6, s1
	s_waitcnt lgkmcnt(0)
	v_cndmask_b32_e64 v27, v26, v6, s1
	s_delay_alu instid0(VALU_DEP_3) | instskip(NEXT) | instid1(VALU_DEP_1)
	v_cmp_gt_f32_e64 s0, v15, v24
	v_cndmask_b32_e64 v26, v24, v15, s0
	v_cndmask_b32_e64 v24, v25, 7, s0
	s_delay_alu instid0(VALU_DEP_4)
	v_cndmask_b32_e64 v25, v27, v7, s0
	ds_bpermute_b32 v27, v18, v26
	v_or_b32_e32 v24, v20, v24
	ds_bpermute_b32 v29, v18, v25
	ds_bpermute_b32 v28, v18, v24
	s_waitcnt lgkmcnt(0)
	v_cmp_lt_f32_e64 s16, v26, v27
	v_cmpx_nlt_f32_e32 v26, v27
; %bb.11:                               ;   in Loop: Header=BB76_10 Depth=1
	v_cmp_eq_f32_e64 s0, v26, v27
	v_cmp_lt_i32_e64 s1, v28, v24
	s_delay_alu instid0(VALU_DEP_1) | instskip(SKIP_2) | instid1(SALU_CYCLE_1)
	s_and_b32 s0, s0, s1
	s_and_not1_b32 s1, s16, exec_lo
	s_and_b32 s0, s0, exec_lo
	s_or_b32 s16, s1, s0
; %bb.12:                               ;   in Loop: Header=BB76_10 Depth=1
	s_or_b32 exec_lo, exec_lo, s17
	s_and_saveexec_b32 s0, s16
; %bb.13:                               ;   in Loop: Header=BB76_10 Depth=1
	v_dual_mov_b32 v25, v29 :: v_dual_mov_b32 v26, v27
	v_mov_b32_e32 v24, v28
; %bb.14:                               ;   in Loop: Header=BB76_10 Depth=1
	s_or_b32 exec_lo, exec_lo, s0
	ds_bpermute_b32 v29, v19, v26
	ds_bpermute_b32 v28, v19, v25
	;; [unrolled: 1-line block ×3, first 2 shown]
	s_mov_b32 s17, exec_lo
	s_waitcnt lgkmcnt(2)
	v_cmp_lt_f32_e64 s16, v26, v29
	v_cmpx_nlt_f32_e32 v26, v29
	s_cbranch_execnz .LBB76_18
; %bb.15:                               ;   in Loop: Header=BB76_10 Depth=1
	s_or_b32 exec_lo, exec_lo, s17
	s_delay_alu instid0(VALU_DEP_2)
	s_and_saveexec_b32 s0, s16
	s_cbranch_execnz .LBB76_19
.LBB76_16:                              ;   in Loop: Header=BB76_10 Depth=1
	s_or_b32 exec_lo, exec_lo, s0
	s_and_saveexec_b32 s16, s2
	s_cbranch_execnz .LBB76_20
.LBB76_17:                              ;   in Loop: Header=BB76_10 Depth=1
	s_or_b32 exec_lo, exec_lo, s16
	s_add_i32 s7, s7, 1
	s_delay_alu instid0(SALU_CYCLE_1)
	s_cmp_ge_i32 s7, s4
	s_cbranch_scc1 .LBB76_9
	s_branch .LBB76_21
.LBB76_18:                              ;   in Loop: Header=BB76_10 Depth=1
	v_cmp_eq_f32_e64 s0, v26, v29
	s_waitcnt lgkmcnt(0)
	v_cmp_lt_i32_e64 s1, v27, v24
	s_delay_alu instid0(VALU_DEP_1) | instskip(SKIP_2) | instid1(SALU_CYCLE_1)
	s_and_b32 s0, s0, s1
	s_and_not1_b32 s1, s16, exec_lo
	s_and_b32 s0, s0, exec_lo
	s_or_b32 s16, s1, s0
	s_or_b32 exec_lo, exec_lo, s17
	s_and_saveexec_b32 s0, s16
	s_cbranch_execz .LBB76_16
.LBB76_19:                              ;   in Loop: Header=BB76_10 Depth=1
	s_waitcnt lgkmcnt(0)
	v_dual_mov_b32 v25, v28 :: v_dual_mov_b32 v24, v27
	s_or_b32 exec_lo, exec_lo, s0
	s_and_saveexec_b32 s16, s2
	s_cbranch_execz .LBB76_17
.LBB76_20:                              ;   in Loop: Header=BB76_10 Depth=1
	s_delay_alu instid0(VALU_DEP_1)
	v_dual_add_f32 v33, v21, v25 :: v_dual_add_nc_u32 v26, s7, v22
	v_cmp_le_i32_e64 s0, s5, v24
	v_cmp_gt_i32_e64 s1, s6, v24
	s_waitcnt lgkmcnt(1)
	v_subrev_nc_u32_e32 v28, s5, v24
	s_waitcnt lgkmcnt(0)
	v_ashrrev_i32_e32 v27, 31, v26
	v_cndmask_b32_e32 v21, v21, v33, vcc_lo
	s_and_b32 s0, s0, s1
	s_delay_alu instid0(SALU_CYCLE_1) | instskip(NEXT) | instid1(VALU_DEP_2)
	s_and_b32 s0, s15, s0
	v_lshlrev_b64 v[26:27], 2, v[26:27]
	v_cndmask_b32_e64 v32, 32, v28, s0
	s_delay_alu instid0(VALU_DEP_2) | instskip(NEXT) | instid1(VALU_DEP_1)
	v_add_co_u32 v28, s0, s12, v26
	v_add_co_ci_u32_e64 v29, s0, s13, v27, s0
	v_add_co_u32 v30, s0, s8, v26
	s_delay_alu instid0(VALU_DEP_1) | instskip(SKIP_1) | instid1(VALU_DEP_1)
	v_add_co_ci_u32_e64 v31, s0, s9, v27, s0
	v_add_co_u32 v26, s0, s10, v26
	v_add_co_ci_u32_e64 v27, s0, s11, v27, s0
	global_store_b32 v[28:29], v25, off
	global_store_b32 v[30:31], v32, off
	;; [unrolled: 1-line block ×3, first 2 shown]
	s_or_b32 exec_lo, exec_lo, s16
	s_add_i32 s7, s7, 1
	s_delay_alu instid0(SALU_CYCLE_1)
	s_cmp_ge_i32 s7, s4
	s_cbranch_scc1 .LBB76_9
.LBB76_21:                              ;   in Loop: Header=BB76_10 Depth=1
	v_ashrrev_i32_e32 v26, 31, v24
	s_mov_b32 s1, exec_lo
	s_delay_alu instid0(VALU_DEP_1) | instskip(NEXT) | instid1(VALU_DEP_1)
	v_lshrrev_b32_e32 v25, 29, v26
	v_add_nc_u32_e32 v25, v24, v25
	s_delay_alu instid0(VALU_DEP_1) | instskip(SKIP_1) | instid1(VALU_DEP_1)
	v_ashrrev_i32_e32 v25, 3, v25
	s_waitcnt lgkmcnt(0)
	v_lshrrev_b32_e32 v27, 30, v25
	s_delay_alu instid0(VALU_DEP_1) | instskip(NEXT) | instid1(VALU_DEP_1)
	v_add_nc_u32_e32 v27, v25, v27
	v_and_b32_e32 v27, -4, v27
	s_delay_alu instid0(VALU_DEP_1) | instskip(NEXT) | instid1(VALU_DEP_1)
	v_sub_nc_u32_e32 v27, v25, v27
	v_cmpx_eq_u32_e64 v17, v27
	s_cbranch_execz .LBB76_8
; %bb.22:                               ;   in Loop: Header=BB76_10 Depth=1
	v_lshrrev_b32_e32 v26, 27, v26
	v_lshlrev_b32_e32 v25, 3, v25
	s_delay_alu instid0(VALU_DEP_2) | instskip(NEXT) | instid1(VALU_DEP_2)
	v_add_nc_u32_e32 v26, v24, v26
	v_sub_nc_u32_e32 v24, v24, v25
	s_delay_alu instid0(VALU_DEP_2) | instskip(NEXT) | instid1(VALU_DEP_1)
	v_ashrrev_i32_e32 v25, 5, v26
	v_lshl_add_u32 v24, v25, 3, v24
	s_delay_alu instid0(VALU_DEP_1) | instskip(NEXT) | instid1(VALU_DEP_1)
	v_cmp_ne_u32_e64 s0, 7, v24
	v_cndmask_b32_e64 v15, 0xc61c4000, v15, s0
	v_cmp_ne_u32_e64 s0, 6, v24
	s_delay_alu instid0(VALU_DEP_1) | instskip(SKIP_1) | instid1(VALU_DEP_1)
	v_cndmask_b32_e64 v14, 0xc61c4000, v14, s0
	v_cmp_ne_u32_e64 s0, 5, v24
	v_cndmask_b32_e64 v13, 0xc61c4000, v13, s0
	v_cmp_ne_u32_e64 s0, 4, v24
	s_delay_alu instid0(VALU_DEP_1) | instskip(SKIP_1) | instid1(VALU_DEP_1)
	v_cndmask_b32_e64 v12, 0xc61c4000, v12, s0
	;; [unrolled: 5-line block ×3, first 2 shown]
	v_cmp_ne_u32_e64 s0, 1, v24
	v_cndmask_b32_e64 v9, 0xc61c4000, v9, s0
	v_cmp_ne_u32_e64 s0, 0, v24
	s_delay_alu instid0(VALU_DEP_1)
	v_cndmask_b32_e64 v8, 0xc61c4000, v8, s0
	s_branch .LBB76_8
.LBB76_23:
                                        ; implicit-def: $vgpr8_vgpr9_vgpr10_vgpr11_vgpr12_vgpr13_vgpr14_vgpr15
	s_and_not1_b32 vcc_lo, exec_lo, s8
	s_cbranch_vccz .LBB76_5
	s_branch .LBB76_6
.LBB76_24:
	v_mov_b32_e32 v21, 0
.LBB76_25:
	v_cmp_eq_u32_e64 s0, 0, v17
	s_delay_alu instid0(VALU_DEP_1) | instskip(NEXT) | instid1(SALU_CYCLE_1)
	s_and_b32 s0, s0, vcc_lo
	s_and_b32 exec_lo, exec_lo, s0
	s_cbranch_execz .LBB76_29
; %bb.26:
	s_and_not1_b32 vcc_lo, exec_lo, s3
	s_cbranch_vccnz .LBB76_29
; %bb.27:
	v_mul_lo_u32 v0, v16, s4
	v_cmp_lt_f32_e32 vcc_lo, 0, v21
	v_cndmask_b32_e32 v2, 1.0, v21, vcc_lo
	s_delay_alu instid0(VALU_DEP_3) | instskip(NEXT) | instid1(VALU_DEP_1)
	v_ashrrev_i32_e32 v1, 31, v0
	v_lshlrev_b64 v[0:1], 2, v[0:1]
	s_delay_alu instid0(VALU_DEP_1) | instskip(NEXT) | instid1(VALU_DEP_2)
	v_add_co_u32 v0, vcc_lo, s12, v0
	v_add_co_ci_u32_e32 v1, vcc_lo, s13, v1, vcc_lo
	.p2align	6
.LBB76_28:                              ; =>This Inner Loop Header: Depth=1
	global_load_b32 v3, v[0:1], off
	s_add_i32 s4, s4, -1
	s_delay_alu instid0(SALU_CYCLE_1) | instskip(SKIP_3) | instid1(VALU_DEP_2)
	s_cmp_lg_u32 s4, 0
	s_waitcnt vmcnt(0)
	v_div_scale_f32 v4, null, v2, v2, v3
	v_div_scale_f32 v7, vcc_lo, v3, v2, v3
	v_rcp_f32_e32 v5, v4
	s_waitcnt_depctr 0xfff
	v_fma_f32 v6, -v4, v5, 1.0
	s_delay_alu instid0(VALU_DEP_1) | instskip(NEXT) | instid1(VALU_DEP_1)
	v_fmac_f32_e32 v5, v6, v5
	v_mul_f32_e32 v6, v7, v5
	s_delay_alu instid0(VALU_DEP_1) | instskip(NEXT) | instid1(VALU_DEP_1)
	v_fma_f32 v8, -v4, v6, v7
	v_fmac_f32_e32 v6, v8, v5
	s_delay_alu instid0(VALU_DEP_1) | instskip(NEXT) | instid1(VALU_DEP_1)
	v_fma_f32 v4, -v4, v6, v7
	v_div_fmas_f32 v4, v4, v5, v6
	s_delay_alu instid0(VALU_DEP_1)
	v_div_fixup_f32 v3, v4, v2, v3
	global_store_b32 v[0:1], v3, off
	v_add_co_u32 v0, vcc_lo, v0, 4
	v_add_co_ci_u32_e32 v1, vcc_lo, 0, v1, vcc_lo
	s_cbranch_scc1 .LBB76_28
.LBB76_29:
	s_nop 0
	s_sendmsg sendmsg(MSG_DEALLOC_VGPRS)
	s_endpgm
	.section	.rodata,"a",@progbits
	.p2align	6, 0x0
	.amdhsa_kernel _ZN4vllm3moe10topkGatingILi8ELi32ELi4ELi16ELi64Ei6__halfLNS0_11ScoringFuncE0EEEvPKT5_PKbPfiPT4_PiiiibPKf
		.amdhsa_group_segment_fixed_size 0
		.amdhsa_private_segment_fixed_size 0
		.amdhsa_kernarg_size 72
		.amdhsa_user_sgpr_count 15
		.amdhsa_user_sgpr_dispatch_ptr 0
		.amdhsa_user_sgpr_queue_ptr 0
		.amdhsa_user_sgpr_kernarg_segment_ptr 1
		.amdhsa_user_sgpr_dispatch_id 0
		.amdhsa_user_sgpr_private_segment_size 0
		.amdhsa_wavefront_size32 1
		.amdhsa_uses_dynamic_stack 0
		.amdhsa_enable_private_segment 0
		.amdhsa_system_sgpr_workgroup_id_x 1
		.amdhsa_system_sgpr_workgroup_id_y 0
		.amdhsa_system_sgpr_workgroup_id_z 0
		.amdhsa_system_sgpr_workgroup_info 0
		.amdhsa_system_vgpr_workitem_id 1
		.amdhsa_next_free_vgpr 36
		.amdhsa_next_free_sgpr 18
		.amdhsa_reserve_vcc 1
		.amdhsa_float_round_mode_32 0
		.amdhsa_float_round_mode_16_64 0
		.amdhsa_float_denorm_mode_32 3
		.amdhsa_float_denorm_mode_16_64 3
		.amdhsa_dx10_clamp 1
		.amdhsa_ieee_mode 1
		.amdhsa_fp16_overflow 0
		.amdhsa_workgroup_processor_mode 1
		.amdhsa_memory_ordered 1
		.amdhsa_forward_progress 0
		.amdhsa_shared_vgpr_count 0
		.amdhsa_exception_fp_ieee_invalid_op 0
		.amdhsa_exception_fp_denorm_src 0
		.amdhsa_exception_fp_ieee_div_zero 0
		.amdhsa_exception_fp_ieee_overflow 0
		.amdhsa_exception_fp_ieee_underflow 0
		.amdhsa_exception_fp_ieee_inexact 0
		.amdhsa_exception_int_div_zero 0
	.end_amdhsa_kernel
	.section	.text._ZN4vllm3moe10topkGatingILi8ELi32ELi4ELi16ELi64Ei6__halfLNS0_11ScoringFuncE0EEEvPKT5_PKbPfiPT4_PiiiibPKf,"axG",@progbits,_ZN4vllm3moe10topkGatingILi8ELi32ELi4ELi16ELi64Ei6__halfLNS0_11ScoringFuncE0EEEvPKT5_PKbPfiPT4_PiiiibPKf,comdat
.Lfunc_end76:
	.size	_ZN4vllm3moe10topkGatingILi8ELi32ELi4ELi16ELi64Ei6__halfLNS0_11ScoringFuncE0EEEvPKT5_PKbPfiPT4_PiiiibPKf, .Lfunc_end76-_ZN4vllm3moe10topkGatingILi8ELi32ELi4ELi16ELi64Ei6__halfLNS0_11ScoringFuncE0EEEvPKT5_PKbPfiPT4_PiiiibPKf
                                        ; -- End function
	.section	.AMDGPU.csdata,"",@progbits
; Kernel info:
; codeLenInByte = 2996
; NumSgprs: 20
; NumVgprs: 36
; ScratchSize: 0
; MemoryBound: 0
; FloatMode: 240
; IeeeMode: 1
; LDSByteSize: 0 bytes/workgroup (compile time only)
; SGPRBlocks: 2
; VGPRBlocks: 4
; NumSGPRsForWavesPerEU: 20
; NumVGPRsForWavesPerEU: 36
; Occupancy: 16
; WaveLimiterHint : 0
; COMPUTE_PGM_RSRC2:SCRATCH_EN: 0
; COMPUTE_PGM_RSRC2:USER_SGPR: 15
; COMPUTE_PGM_RSRC2:TRAP_HANDLER: 0
; COMPUTE_PGM_RSRC2:TGID_X_EN: 1
; COMPUTE_PGM_RSRC2:TGID_Y_EN: 0
; COMPUTE_PGM_RSRC2:TGID_Z_EN: 0
; COMPUTE_PGM_RSRC2:TIDIG_COMP_CNT: 1
	.section	.text._ZN4vllm3moe10topkGatingILi8ELi32ELi4ELi16ELi32Ei6__halfLNS0_11ScoringFuncE0EEEvPKT5_PKbPfiPT4_PiiiibPKf,"axG",@progbits,_ZN4vllm3moe10topkGatingILi8ELi32ELi4ELi16ELi32Ei6__halfLNS0_11ScoringFuncE0EEEvPKT5_PKbPfiPT4_PiiiibPKf,comdat
	.protected	_ZN4vllm3moe10topkGatingILi8ELi32ELi4ELi16ELi32Ei6__halfLNS0_11ScoringFuncE0EEEvPKT5_PKbPfiPT4_PiiiibPKf ; -- Begin function _ZN4vllm3moe10topkGatingILi8ELi32ELi4ELi16ELi32Ei6__halfLNS0_11ScoringFuncE0EEEvPKT5_PKbPfiPT4_PiiiibPKf
	.globl	_ZN4vllm3moe10topkGatingILi8ELi32ELi4ELi16ELi32Ei6__halfLNS0_11ScoringFuncE0EEEvPKT5_PKbPfiPT4_PiiiibPKf
	.p2align	8
	.type	_ZN4vllm3moe10topkGatingILi8ELi32ELi4ELi16ELi32Ei6__halfLNS0_11ScoringFuncE0EEEvPKT5_PKbPfiPT4_PiiiibPKf,@function
_ZN4vllm3moe10topkGatingILi8ELi32ELi4ELi16ELi32Ei6__halfLNS0_11ScoringFuncE0EEEvPKT5_PKbPfiPT4_PiiiibPKf: ; @_ZN4vllm3moe10topkGatingILi8ELi32ELi4ELi16ELi32Ei6__halfLNS0_11ScoringFuncE0EEEvPKT5_PKbPfiPT4_PiiiibPKf
; %bb.0:
	s_load_b32 s14, s[0:1], 0x18
	v_bfe_u32 v1, v0, 10, 10
	v_and_b32_e32 v0, 0x3ff, v0
	s_lshl_b32 s2, s15, 5
	s_delay_alu instid0(VALU_DEP_2) | instskip(NEXT) | instid1(VALU_DEP_2)
	v_lshlrev_b32_e32 v1, 3, v1
	v_lshrrev_b32_e32 v2, 2, v0
	s_delay_alu instid0(VALU_DEP_1) | instskip(SKIP_2) | instid1(VALU_DEP_1)
	v_add3_u32 v16, s2, v1, v2
	s_mov_b32 s2, exec_lo
	s_waitcnt lgkmcnt(0)
	v_cmpx_gt_i32_e64 s14, v16
	s_cbranch_execz .LBB77_29
; %bb.1:
	s_clause 0x1
	s_load_b128 s[4:7], s[0:1], 0x0
	s_load_b64 s[12:13], s[0:1], 0x10
	s_mov_b32 s8, -1
	s_mov_b32 s15, -1
	s_waitcnt lgkmcnt(0)
	s_cmp_eq_u64 s[6:7], 0
	s_cbranch_scc1 .LBB77_3
; %bb.2:
	v_ashrrev_i32_e32 v2, 31, v16
	v_add_co_u32 v1, vcc_lo, s6, v16
	s_delay_alu instid0(VALU_DEP_2) | instskip(SKIP_3) | instid1(VALU_DEP_1)
	v_add_co_ci_u32_e32 v2, vcc_lo, s7, v2, vcc_lo
	global_load_u8 v1, v[1:2], off
	s_waitcnt vmcnt(0)
	v_and_b32_e32 v1, 1, v1
	v_cmp_eq_u32_e32 vcc_lo, 1, v1
	s_xor_b32 s2, vcc_lo, -1
	s_delay_alu instid0(SALU_CYCLE_1)
	s_or_not1_b32 s15, s2, exec_lo
.LBB77_3:
	v_lshlrev_b32_e32 v1, 5, v16
	v_and_b32_e32 v17, 3, v0
	v_mbcnt_lo_u32_b32 v4, -1, 0
	s_load_b64 s[2:3], s[0:1], 0x40
	s_delay_alu instid0(VALU_DEP_3) | instskip(NEXT) | instid1(VALU_DEP_2)
	v_ashrrev_i32_e32 v2, 31, v1
	v_and_b32_e32 v6, 28, v4
	v_xor_b32_e32 v8, 2, v4
	v_xor_b32_e32 v12, 1, v4
	s_delay_alu instid0(VALU_DEP_4) | instskip(SKIP_1) | instid1(VALU_DEP_2)
	v_lshlrev_b64 v[0:1], 1, v[1:2]
	v_lshlrev_b32_e32 v2, 4, v17
	v_add_co_u32 v0, vcc_lo, s4, v0
	s_delay_alu instid0(VALU_DEP_3) | instskip(NEXT) | instid1(VALU_DEP_2)
	v_add_co_ci_u32_e32 v1, vcc_lo, s5, v1, vcc_lo
	v_add_co_u32 v0, vcc_lo, v0, v2
	s_delay_alu instid0(VALU_DEP_2)
	v_add_co_ci_u32_e32 v1, vcc_lo, 0, v1, vcc_lo
	s_waitcnt lgkmcnt(0)
	s_cmp_eq_u64 s[2:3], 0
	global_load_b128 v[0:3], v[0:1], off
	s_waitcnt vmcnt(0)
	v_lshrrev_b32_e32 v5, 16, v0
	v_cvt_f32_f16_e32 v0, v0
	v_lshrrev_b32_e32 v7, 16, v1
	v_cvt_f32_f16_e32 v1, v1
	;; [unrolled: 2-line block ×3, first 2 shown]
	v_add_nc_u32_e32 v6, 4, v6
	v_cvt_f32_f16_e32 v7, v7
	v_cvt_f32_f16_e32 v2, v2
	v_lshrrev_b32_e32 v11, 16, v3
	v_max_f32_e32 v10, v0, v5
	v_cvt_f32_f16_e32 v9, v9
	v_cmp_lt_i32_e32 vcc_lo, v8, v6
	v_cvt_f32_f16_e32 v3, v3
	v_cvt_f32_f16_e32 v11, v11
	v_max3_f32 v10, v10, v1, v7
	v_cndmask_b32_e32 v8, v4, v8, vcc_lo
	v_cmp_lt_i32_e32 vcc_lo, v12, v6
	s_delay_alu instid0(VALU_DEP_3) | instskip(NEXT) | instid1(VALU_DEP_3)
	v_max3_f32 v10, v10, v2, v9
	v_lshlrev_b32_e32 v18, 2, v8
	v_cndmask_b32_e32 v4, v4, v12, vcc_lo
	s_delay_alu instid0(VALU_DEP_3) | instskip(SKIP_3) | instid1(VALU_DEP_1)
	v_max3_f32 v8, v10, v3, v11
	ds_bpermute_b32 v10, v18, v8
	s_waitcnt lgkmcnt(0)
	v_dual_max_f32 v6, v10, v10 :: v_dual_lshlrev_b32 v19, 2, v4
	v_max_f32_e32 v4, v8, v6
	ds_bpermute_b32 v6, v19, v4
	s_waitcnt lgkmcnt(0)
	v_max_f32_e32 v6, v6, v6
	s_delay_alu instid0(VALU_DEP_1) | instskip(NEXT) | instid1(VALU_DEP_1)
	v_max_f32_e32 v4, v4, v6
	v_sub_f32_e32 v5, v5, v4
	v_sub_f32_e32 v6, v7, v4
	;; [unrolled: 1-line block ×4, first 2 shown]
	s_delay_alu instid0(VALU_DEP_4) | instskip(SKIP_1) | instid1(VALU_DEP_3)
	v_dual_sub_f32 v2, v2, v4 :: v_dual_mul_f32 v9, 0x3fb8aa3b, v5
	v_sub_f32_e32 v3, v3, v4
	v_dual_mul_f32 v13, 0x3fb8aa3b, v7 :: v_dual_mul_f32 v10, 0x3fb8aa3b, v1
	s_delay_alu instid0(VALU_DEP_3) | instskip(SKIP_1) | instid1(VALU_DEP_3)
	v_fma_f32 v22, 0x3fb8aa3b, v5, -v9
	v_rndne_f32_e32 v23, v9
	v_fma_f32 v30, 0x3fb8aa3b, v7, -v13
	v_rndne_f32_e32 v31, v13
	v_sub_f32_e32 v0, v0, v4
	s_delay_alu instid0(VALU_DEP_4) | instskip(NEXT) | instid1(VALU_DEP_4)
	v_dual_fmac_f32 v22, 0x32a5705f, v5 :: v_dual_sub_f32 v9, v9, v23
	v_fmac_f32_e32 v30, 0x32a5705f, v7
	s_delay_alu instid0(VALU_DEP_4) | instskip(SKIP_1) | instid1(VALU_DEP_4)
	v_dual_sub_f32 v13, v13, v31 :: v_dual_sub_f32 v4, v11, v4
	v_fma_f32 v24, 0x3fb8aa3b, v1, -v10
	v_add_f32_e32 v9, v9, v22
	v_mul_f32_e32 v11, 0x3fb8aa3b, v6
	s_delay_alu instid0(VALU_DEP_4) | instskip(SKIP_2) | instid1(VALU_DEP_4)
	v_dual_add_f32 v13, v13, v30 :: v_dual_mul_f32 v14, 0x3fb8aa3b, v3
	v_mul_f32_e32 v15, 0x3fb8aa3b, v4
	v_rndne_f32_e32 v25, v10
	v_fma_f32 v26, 0x3fb8aa3b, v6, -v11
	v_rndne_f32_e32 v27, v11
	v_fmac_f32_e32 v24, 0x32a5705f, v1
	v_fma_f32 v34, 0x3fb8aa3b, v4, -v15
	v_rndne_f32_e32 v35, v15
	s_delay_alu instid0(VALU_DEP_4) | instskip(SKIP_1) | instid1(VALU_DEP_3)
	v_dual_fmac_f32 v26, 0x32a5705f, v6 :: v_dual_sub_f32 v11, v11, v27
	v_mul_f32_e32 v8, 0x3fb8aa3b, v0
	v_dual_fmac_f32 v34, 0x32a5705f, v4 :: v_dual_sub_f32 v15, v15, v35
	s_delay_alu instid0(VALU_DEP_3) | instskip(NEXT) | instid1(VALU_DEP_3)
	v_dual_sub_f32 v10, v10, v25 :: v_dual_add_f32 v11, v11, v26
	v_fma_f32 v20, 0x3fb8aa3b, v0, -v8
	v_rndne_f32_e32 v21, v8
	s_delay_alu instid0(VALU_DEP_3) | instskip(SKIP_1) | instid1(VALU_DEP_3)
	v_dual_add_f32 v15, v15, v34 :: v_dual_add_f32 v10, v10, v24
	v_exp_f32_e32 v9, v9
	v_fmac_f32_e32 v20, 0x32a5705f, v0
	s_delay_alu instid0(VALU_DEP_3)
	v_sub_f32_e32 v8, v8, v21
	v_cvt_i32_f32_e32 v21, v21
	v_cvt_i32_f32_e32 v23, v23
	v_exp_f32_e32 v10, v10
	v_cmp_ngt_f32_e32 vcc_lo, 0xc2ce8ed0, v0
	v_add_f32_e32 v8, v8, v20
	v_cvt_i32_f32_e32 v25, v25
	v_exp_f32_e32 v13, v13
	v_ldexp_f32 v9, v9, v23
	v_cvt_i32_f32_e32 v31, v31
	v_exp_f32_e32 v8, v8
	v_exp_f32_e32 v11, v11
	v_cvt_i32_f32_e32 v27, v27
	v_ldexp_f32 v10, v10, v25
	v_fma_f32 v32, 0x3fb8aa3b, v3, -v14
	v_rndne_f32_e32 v33, v14
	v_exp_f32_e32 v15, v15
	v_ldexp_f32 v13, v13, v31
	v_cvt_i32_f32_e32 v22, v35
	s_delay_alu instid0(TRANS32_DEP_3) | instskip(NEXT) | instid1(TRANS32_DEP_2)
	v_ldexp_f32 v8, v8, v21
	v_ldexp_f32 v11, v11, v27
	v_sub_f32_e32 v14, v14, v33
	v_cvt_i32_f32_e32 v20, v33
	s_delay_alu instid0(VALU_DEP_4) | instskip(SKIP_4) | instid1(VALU_DEP_3)
	v_cndmask_b32_e32 v8, 0, v8, vcc_lo
	v_cmp_ngt_f32_e32 vcc_lo, 0xc2ce8ed0, v5
	v_mul_f32_e32 v12, 0x3fb8aa3b, v2
	v_ldexp_f32 v15, v15, v22
	v_cndmask_b32_e32 v9, 0, v9, vcc_lo
	v_fma_f32 v28, 0x3fb8aa3b, v2, -v12
	v_rndne_f32_e32 v29, v12
	v_cmp_ngt_f32_e32 vcc_lo, 0xc2ce8ed0, v1
	s_delay_alu instid0(VALU_DEP_3) | instskip(NEXT) | instid1(VALU_DEP_3)
	v_fmac_f32_e32 v28, 0x32a5705f, v2
	v_sub_f32_e32 v12, v12, v29
	v_cndmask_b32_e32 v10, 0, v10, vcc_lo
	v_cmp_nlt_f32_e32 vcc_lo, 0x42b17218, v0
	v_cvt_i32_f32_e32 v29, v29
	s_delay_alu instid0(VALU_DEP_4) | instskip(SKIP_2) | instid1(VALU_DEP_3)
	v_add_f32_e32 v12, v12, v28
	v_cndmask_b32_e32 v0, 0x7f800000, v8, vcc_lo
	v_cmp_nlt_f32_e32 vcc_lo, 0x42b17218, v5
	v_exp_f32_e32 v12, v12
	v_cndmask_b32_e32 v5, 0x7f800000, v9, vcc_lo
	v_cmp_ngt_f32_e32 vcc_lo, 0xc2ce8ed0, v6
	s_delay_alu instid0(VALU_DEP_2)
	v_dual_fmac_f32 v32, 0x32a5705f, v3 :: v_dual_add_f32 v9, v0, v5
	v_cndmask_b32_e32 v8, 0, v11, vcc_lo
	v_cmp_nlt_f32_e32 vcc_lo, 0x42b17218, v1
	s_waitcnt_depctr 0xfff
	v_ldexp_f32 v12, v12, v29
	v_dual_add_f32 v14, v14, v32 :: v_dual_cndmask_b32 v1, 0x7f800000, v10
	v_cmp_ngt_f32_e32 vcc_lo, 0xc2ce8ed0, v2
	s_delay_alu instid0(VALU_DEP_2) | instskip(NEXT) | instid1(VALU_DEP_3)
	v_exp_f32_e32 v14, v14
	v_cndmask_b32_e32 v10, 0, v12, vcc_lo
	v_cmp_nlt_f32_e32 vcc_lo, 0x42b17218, v6
	v_cndmask_b32_e32 v6, 0x7f800000, v8, vcc_lo
	v_cmp_ngt_f32_e32 vcc_lo, 0xc2ce8ed0, v7
	v_add_f32_e32 v8, v9, v1
	s_waitcnt_depctr 0xfff
	v_ldexp_f32 v14, v14, v20
	v_lshlrev_b32_e32 v20, 3, v17
	v_cndmask_b32_e32 v9, 0, v13, vcc_lo
	v_cmp_nlt_f32_e32 vcc_lo, 0x42b17218, v2
	v_add_f32_e32 v8, v8, v6
	v_cndmask_b32_e32 v2, 0x7f800000, v10, vcc_lo
	v_cmp_ngt_f32_e32 vcc_lo, 0xc2ce8ed0, v3
	s_delay_alu instid0(VALU_DEP_2) | instskip(SKIP_4) | instid1(VALU_DEP_2)
	v_add_f32_e32 v8, v8, v2
	v_cndmask_b32_e32 v10, 0, v14, vcc_lo
	v_cmp_nlt_f32_e32 vcc_lo, 0x42b17218, v7
	v_cndmask_b32_e32 v7, 0x7f800000, v9, vcc_lo
	v_cmp_ngt_f32_e32 vcc_lo, 0xc2ce8ed0, v4
	v_add_f32_e32 v8, v8, v7
	v_cndmask_b32_e32 v9, 0, v15, vcc_lo
	v_cmp_nlt_f32_e32 vcc_lo, 0x42b17218, v3
	v_cndmask_b32_e32 v3, 0x7f800000, v10, vcc_lo
	v_cmp_nlt_f32_e32 vcc_lo, 0x42b17218, v4
	s_delay_alu instid0(VALU_DEP_2) | instskip(SKIP_1) | instid1(VALU_DEP_1)
	v_add_f32_e32 v8, v8, v3
	v_cndmask_b32_e32 v4, 0x7f800000, v9, vcc_lo
	v_add_f32_e32 v8, v8, v4
	ds_bpermute_b32 v9, v18, v8
	s_waitcnt lgkmcnt(0)
	v_add_f32_e32 v8, v8, v9
	ds_bpermute_b32 v9, v19, v8
	s_waitcnt lgkmcnt(0)
	v_add_f32_e32 v8, v8, v9
	s_delay_alu instid0(VALU_DEP_1) | instskip(SKIP_1) | instid1(VALU_DEP_2)
	v_div_scale_f32 v9, null, v8, v8, 1.0
	v_div_scale_f32 v12, vcc_lo, 1.0, v8, 1.0
	v_rcp_f32_e32 v10, v9
	s_waitcnt_depctr 0xfff
	v_fma_f32 v11, -v9, v10, 1.0
	s_delay_alu instid0(VALU_DEP_1) | instskip(NEXT) | instid1(VALU_DEP_1)
	v_fmac_f32_e32 v10, v11, v10
	v_mul_f32_e32 v11, v12, v10
	s_delay_alu instid0(VALU_DEP_1) | instskip(NEXT) | instid1(VALU_DEP_1)
	v_fma_f32 v13, -v9, v11, v12
	v_fmac_f32_e32 v11, v13, v10
	s_delay_alu instid0(VALU_DEP_1) | instskip(NEXT) | instid1(VALU_DEP_1)
	v_fma_f32 v9, -v9, v11, v12
	v_div_fmas_f32 v9, v9, v10, v11
	s_delay_alu instid0(VALU_DEP_1) | instskip(NEXT) | instid1(VALU_DEP_1)
	v_div_fixup_f32 v8, v9, v8, 1.0
	v_mul_f32_e32 v0, v8, v0
	v_mul_f32_e32 v5, v8, v5
	;; [unrolled: 1-line block ×5, first 2 shown]
	v_cmp_class_f32_e64 vcc_lo, v0, 0x1f8
	v_mul_f32_e32 v7, v8, v7
	v_mul_f32_e32 v11, v8, v3
	;; [unrolled: 1-line block ×3, first 2 shown]
	v_cndmask_b32_e32 v0, 0, v0, vcc_lo
	v_cmp_class_f32_e64 vcc_lo, v5, 0x1f8
	v_cndmask_b32_e32 v1, 0, v5, vcc_lo
	v_cmp_class_f32_e64 vcc_lo, v9, 0x1f8
	;; [unrolled: 2-line block ×7, first 2 shown]
	v_cndmask_b32_e32 v7, 0, v8, vcc_lo
	s_cbranch_scc1 .LBB77_23
; %bb.4:
	v_lshlrev_b32_e32 v12, 2, v20
	s_clause 0x1
	global_load_b128 v[8:11], v12, s[2:3]
	global_load_b128 v[12:15], v12, s[2:3] offset:16
	s_waitcnt vmcnt(1)
	v_dual_add_f32 v9, v9, v1 :: v_dual_add_f32 v8, v8, v0
	v_dual_add_f32 v11, v11, v3 :: v_dual_add_f32 v10, v10, v2
	s_waitcnt vmcnt(0)
	v_dual_add_f32 v13, v13, v5 :: v_dual_add_f32 v12, v12, v4
	v_dual_add_f32 v15, v15, v7 :: v_dual_add_f32 v14, v14, v6
	s_cbranch_execnz .LBB77_6
.LBB77_5:
	v_dual_mov_b32 v15, v7 :: v_dual_mov_b32 v14, v6
	v_dual_mov_b32 v13, v5 :: v_dual_mov_b32 v12, v4
	;; [unrolled: 1-line block ×4, first 2 shown]
.LBB77_6:
	s_load_b128 s[4:7], s[0:1], 0x30
	v_cmp_eq_u32_e64 s2, 0, v17
	s_waitcnt lgkmcnt(0)
	s_bitcmp1_b32 s7, 0
	s_mov_b32 s7, 0
	s_cselect_b32 vcc_lo, -1, 0
	s_cmp_gt_i32 s4, 0
	s_cselect_b32 s3, -1, 0
	s_cmp_lt_i32 s4, 1
	s_cbranch_scc1 .LBB77_24
; %bb.7:
	s_load_b128 s[8:11], s[0:1], 0x20
	v_mul_lo_u32 v22, v16, s4
	v_mov_b32_e32 v21, 0
	v_mov_b32_e32 v23, v16
	s_branch .LBB77_10
.LBB77_8:                               ;   in Loop: Header=BB77_10 Depth=1
	s_or_b32 exec_lo, exec_lo, s1
.LBB77_9:                               ;   in Loop: Header=BB77_10 Depth=1
	v_add_nc_u32_e32 v23, s14, v23
	s_cmp_eq_u32 s4, s7
	s_cbranch_scc1 .LBB77_25
.LBB77_10:                              ; =>This Inner Loop Header: Depth=1
	v_cmp_gt_f32_e64 s0, v9, v8
	s_mov_b32 s17, exec_lo
	s_delay_alu instid0(VALU_DEP_1) | instskip(SKIP_2) | instid1(VALU_DEP_3)
	v_cndmask_b32_e64 v24, v8, v9, s0
	v_cndmask_b32_e64 v25, 0, 1, s0
	;; [unrolled: 1-line block ×3, first 2 shown]
	v_cmp_gt_f32_e64 s1, v10, v24
	s_delay_alu instid0(VALU_DEP_1) | instskip(NEXT) | instid1(VALU_DEP_4)
	v_cndmask_b32_e64 v24, v24, v10, s1
	v_cndmask_b32_e64 v25, v25, 2, s1
	s_delay_alu instid0(VALU_DEP_4) | instskip(NEXT) | instid1(VALU_DEP_3)
	v_cndmask_b32_e64 v26, v26, v2, s1
	v_cmp_gt_f32_e64 s0, v11, v24
	s_delay_alu instid0(VALU_DEP_1) | instskip(NEXT) | instid1(VALU_DEP_4)
	v_cndmask_b32_e64 v24, v24, v11, s0
	v_cndmask_b32_e64 v25, v25, 3, s0
	s_delay_alu instid0(VALU_DEP_4) | instskip(NEXT) | instid1(VALU_DEP_3)
	v_cndmask_b32_e64 v26, v26, v3, s0
	;; [unrolled: 6-line block ×4, first 2 shown]
	v_cmp_gt_f32_e64 s1, v14, v24
	s_delay_alu instid0(VALU_DEP_1) | instskip(NEXT) | instid1(VALU_DEP_4)
	v_cndmask_b32_e64 v24, v24, v14, s1
	v_cndmask_b32_e64 v25, v25, 6, s1
	s_waitcnt lgkmcnt(0)
	v_cndmask_b32_e64 v27, v26, v6, s1
	s_delay_alu instid0(VALU_DEP_3) | instskip(NEXT) | instid1(VALU_DEP_1)
	v_cmp_gt_f32_e64 s0, v15, v24
	v_cndmask_b32_e64 v26, v24, v15, s0
	v_cndmask_b32_e64 v24, v25, 7, s0
	s_delay_alu instid0(VALU_DEP_4)
	v_cndmask_b32_e64 v25, v27, v7, s0
	ds_bpermute_b32 v27, v18, v26
	v_or_b32_e32 v24, v20, v24
	ds_bpermute_b32 v29, v18, v25
	ds_bpermute_b32 v28, v18, v24
	s_waitcnt lgkmcnt(0)
	v_cmp_lt_f32_e64 s16, v26, v27
	v_cmpx_nlt_f32_e32 v26, v27
; %bb.11:                               ;   in Loop: Header=BB77_10 Depth=1
	v_cmp_eq_f32_e64 s0, v26, v27
	v_cmp_lt_i32_e64 s1, v28, v24
	s_delay_alu instid0(VALU_DEP_1) | instskip(SKIP_2) | instid1(SALU_CYCLE_1)
	s_and_b32 s0, s0, s1
	s_and_not1_b32 s1, s16, exec_lo
	s_and_b32 s0, s0, exec_lo
	s_or_b32 s16, s1, s0
; %bb.12:                               ;   in Loop: Header=BB77_10 Depth=1
	s_or_b32 exec_lo, exec_lo, s17
	s_and_saveexec_b32 s0, s16
; %bb.13:                               ;   in Loop: Header=BB77_10 Depth=1
	v_dual_mov_b32 v25, v29 :: v_dual_mov_b32 v26, v27
	v_mov_b32_e32 v24, v28
; %bb.14:                               ;   in Loop: Header=BB77_10 Depth=1
	s_or_b32 exec_lo, exec_lo, s0
	ds_bpermute_b32 v29, v19, v26
	ds_bpermute_b32 v28, v19, v25
	;; [unrolled: 1-line block ×3, first 2 shown]
	s_mov_b32 s17, exec_lo
	s_waitcnt lgkmcnt(2)
	v_cmp_lt_f32_e64 s16, v26, v29
	v_cmpx_nlt_f32_e32 v26, v29
	s_cbranch_execnz .LBB77_18
; %bb.15:                               ;   in Loop: Header=BB77_10 Depth=1
	s_or_b32 exec_lo, exec_lo, s17
	s_delay_alu instid0(VALU_DEP_2)
	s_and_saveexec_b32 s0, s16
	s_cbranch_execnz .LBB77_19
.LBB77_16:                              ;   in Loop: Header=BB77_10 Depth=1
	s_or_b32 exec_lo, exec_lo, s0
	s_and_saveexec_b32 s16, s2
	s_cbranch_execnz .LBB77_20
.LBB77_17:                              ;   in Loop: Header=BB77_10 Depth=1
	s_or_b32 exec_lo, exec_lo, s16
	s_add_i32 s7, s7, 1
	s_delay_alu instid0(SALU_CYCLE_1)
	s_cmp_ge_i32 s7, s4
	s_cbranch_scc1 .LBB77_9
	s_branch .LBB77_21
.LBB77_18:                              ;   in Loop: Header=BB77_10 Depth=1
	v_cmp_eq_f32_e64 s0, v26, v29
	s_waitcnt lgkmcnt(0)
	v_cmp_lt_i32_e64 s1, v27, v24
	s_delay_alu instid0(VALU_DEP_1) | instskip(SKIP_2) | instid1(SALU_CYCLE_1)
	s_and_b32 s0, s0, s1
	s_and_not1_b32 s1, s16, exec_lo
	s_and_b32 s0, s0, exec_lo
	s_or_b32 s16, s1, s0
	s_or_b32 exec_lo, exec_lo, s17
	s_and_saveexec_b32 s0, s16
	s_cbranch_execz .LBB77_16
.LBB77_19:                              ;   in Loop: Header=BB77_10 Depth=1
	s_waitcnt lgkmcnt(0)
	v_dual_mov_b32 v25, v28 :: v_dual_mov_b32 v24, v27
	s_or_b32 exec_lo, exec_lo, s0
	s_and_saveexec_b32 s16, s2
	s_cbranch_execz .LBB77_17
.LBB77_20:                              ;   in Loop: Header=BB77_10 Depth=1
	s_delay_alu instid0(VALU_DEP_1)
	v_dual_add_f32 v33, v21, v25 :: v_dual_add_nc_u32 v26, s7, v22
	v_cmp_le_i32_e64 s0, s5, v24
	v_cmp_gt_i32_e64 s1, s6, v24
	s_waitcnt lgkmcnt(1)
	v_subrev_nc_u32_e32 v28, s5, v24
	s_waitcnt lgkmcnt(0)
	v_ashrrev_i32_e32 v27, 31, v26
	v_cndmask_b32_e32 v21, v21, v33, vcc_lo
	s_and_b32 s0, s0, s1
	s_delay_alu instid0(SALU_CYCLE_1) | instskip(NEXT) | instid1(VALU_DEP_2)
	s_and_b32 s0, s15, s0
	v_lshlrev_b64 v[26:27], 2, v[26:27]
	v_cndmask_b32_e64 v32, 32, v28, s0
	s_delay_alu instid0(VALU_DEP_2) | instskip(NEXT) | instid1(VALU_DEP_1)
	v_add_co_u32 v28, s0, s12, v26
	v_add_co_ci_u32_e64 v29, s0, s13, v27, s0
	v_add_co_u32 v30, s0, s8, v26
	s_delay_alu instid0(VALU_DEP_1) | instskip(SKIP_1) | instid1(VALU_DEP_1)
	v_add_co_ci_u32_e64 v31, s0, s9, v27, s0
	v_add_co_u32 v26, s0, s10, v26
	v_add_co_ci_u32_e64 v27, s0, s11, v27, s0
	global_store_b32 v[28:29], v25, off
	global_store_b32 v[30:31], v32, off
	;; [unrolled: 1-line block ×3, first 2 shown]
	s_or_b32 exec_lo, exec_lo, s16
	s_add_i32 s7, s7, 1
	s_delay_alu instid0(SALU_CYCLE_1)
	s_cmp_ge_i32 s7, s4
	s_cbranch_scc1 .LBB77_9
.LBB77_21:                              ;   in Loop: Header=BB77_10 Depth=1
	v_ashrrev_i32_e32 v26, 31, v24
	s_mov_b32 s1, exec_lo
	s_delay_alu instid0(VALU_DEP_1) | instskip(NEXT) | instid1(VALU_DEP_1)
	v_lshrrev_b32_e32 v25, 29, v26
	v_add_nc_u32_e32 v25, v24, v25
	s_delay_alu instid0(VALU_DEP_1) | instskip(SKIP_1) | instid1(VALU_DEP_1)
	v_ashrrev_i32_e32 v25, 3, v25
	s_waitcnt lgkmcnt(0)
	v_lshrrev_b32_e32 v27, 30, v25
	s_delay_alu instid0(VALU_DEP_1) | instskip(NEXT) | instid1(VALU_DEP_1)
	v_add_nc_u32_e32 v27, v25, v27
	v_and_b32_e32 v27, -4, v27
	s_delay_alu instid0(VALU_DEP_1) | instskip(NEXT) | instid1(VALU_DEP_1)
	v_sub_nc_u32_e32 v27, v25, v27
	v_cmpx_eq_u32_e64 v17, v27
	s_cbranch_execz .LBB77_8
; %bb.22:                               ;   in Loop: Header=BB77_10 Depth=1
	v_lshrrev_b32_e32 v26, 27, v26
	v_lshlrev_b32_e32 v25, 3, v25
	s_delay_alu instid0(VALU_DEP_2) | instskip(NEXT) | instid1(VALU_DEP_2)
	v_add_nc_u32_e32 v26, v24, v26
	v_sub_nc_u32_e32 v24, v24, v25
	s_delay_alu instid0(VALU_DEP_2) | instskip(NEXT) | instid1(VALU_DEP_1)
	v_ashrrev_i32_e32 v25, 5, v26
	v_lshl_add_u32 v24, v25, 3, v24
	s_delay_alu instid0(VALU_DEP_1) | instskip(NEXT) | instid1(VALU_DEP_1)
	v_cmp_ne_u32_e64 s0, 7, v24
	v_cndmask_b32_e64 v15, 0xc61c4000, v15, s0
	v_cmp_ne_u32_e64 s0, 6, v24
	s_delay_alu instid0(VALU_DEP_1) | instskip(SKIP_1) | instid1(VALU_DEP_1)
	v_cndmask_b32_e64 v14, 0xc61c4000, v14, s0
	v_cmp_ne_u32_e64 s0, 5, v24
	v_cndmask_b32_e64 v13, 0xc61c4000, v13, s0
	v_cmp_ne_u32_e64 s0, 4, v24
	s_delay_alu instid0(VALU_DEP_1) | instskip(SKIP_1) | instid1(VALU_DEP_1)
	v_cndmask_b32_e64 v12, 0xc61c4000, v12, s0
	;; [unrolled: 5-line block ×3, first 2 shown]
	v_cmp_ne_u32_e64 s0, 1, v24
	v_cndmask_b32_e64 v9, 0xc61c4000, v9, s0
	v_cmp_ne_u32_e64 s0, 0, v24
	s_delay_alu instid0(VALU_DEP_1)
	v_cndmask_b32_e64 v8, 0xc61c4000, v8, s0
	s_branch .LBB77_8
.LBB77_23:
                                        ; implicit-def: $vgpr8_vgpr9_vgpr10_vgpr11_vgpr12_vgpr13_vgpr14_vgpr15
	s_and_not1_b32 vcc_lo, exec_lo, s8
	s_cbranch_vccz .LBB77_5
	s_branch .LBB77_6
.LBB77_24:
	v_mov_b32_e32 v21, 0
.LBB77_25:
	v_cmp_eq_u32_e64 s0, 0, v17
	s_delay_alu instid0(VALU_DEP_1) | instskip(NEXT) | instid1(SALU_CYCLE_1)
	s_and_b32 s0, s0, vcc_lo
	s_and_b32 exec_lo, exec_lo, s0
	s_cbranch_execz .LBB77_29
; %bb.26:
	s_and_not1_b32 vcc_lo, exec_lo, s3
	s_cbranch_vccnz .LBB77_29
; %bb.27:
	v_mul_lo_u32 v0, v16, s4
	v_cmp_lt_f32_e32 vcc_lo, 0, v21
	v_cndmask_b32_e32 v2, 1.0, v21, vcc_lo
	s_delay_alu instid0(VALU_DEP_3) | instskip(NEXT) | instid1(VALU_DEP_1)
	v_ashrrev_i32_e32 v1, 31, v0
	v_lshlrev_b64 v[0:1], 2, v[0:1]
	s_delay_alu instid0(VALU_DEP_1) | instskip(NEXT) | instid1(VALU_DEP_2)
	v_add_co_u32 v0, vcc_lo, s12, v0
	v_add_co_ci_u32_e32 v1, vcc_lo, s13, v1, vcc_lo
	.p2align	6
.LBB77_28:                              ; =>This Inner Loop Header: Depth=1
	global_load_b32 v3, v[0:1], off
	s_add_i32 s4, s4, -1
	s_delay_alu instid0(SALU_CYCLE_1) | instskip(SKIP_3) | instid1(VALU_DEP_2)
	s_cmp_lg_u32 s4, 0
	s_waitcnt vmcnt(0)
	v_div_scale_f32 v4, null, v2, v2, v3
	v_div_scale_f32 v7, vcc_lo, v3, v2, v3
	v_rcp_f32_e32 v5, v4
	s_waitcnt_depctr 0xfff
	v_fma_f32 v6, -v4, v5, 1.0
	s_delay_alu instid0(VALU_DEP_1) | instskip(NEXT) | instid1(VALU_DEP_1)
	v_fmac_f32_e32 v5, v6, v5
	v_mul_f32_e32 v6, v7, v5
	s_delay_alu instid0(VALU_DEP_1) | instskip(NEXT) | instid1(VALU_DEP_1)
	v_fma_f32 v8, -v4, v6, v7
	v_fmac_f32_e32 v6, v8, v5
	s_delay_alu instid0(VALU_DEP_1) | instskip(NEXT) | instid1(VALU_DEP_1)
	v_fma_f32 v4, -v4, v6, v7
	v_div_fmas_f32 v4, v4, v5, v6
	s_delay_alu instid0(VALU_DEP_1)
	v_div_fixup_f32 v3, v4, v2, v3
	global_store_b32 v[0:1], v3, off
	v_add_co_u32 v0, vcc_lo, v0, 4
	v_add_co_ci_u32_e32 v1, vcc_lo, 0, v1, vcc_lo
	s_cbranch_scc1 .LBB77_28
.LBB77_29:
	s_nop 0
	s_sendmsg sendmsg(MSG_DEALLOC_VGPRS)
	s_endpgm
	.section	.rodata,"a",@progbits
	.p2align	6, 0x0
	.amdhsa_kernel _ZN4vllm3moe10topkGatingILi8ELi32ELi4ELi16ELi32Ei6__halfLNS0_11ScoringFuncE0EEEvPKT5_PKbPfiPT4_PiiiibPKf
		.amdhsa_group_segment_fixed_size 0
		.amdhsa_private_segment_fixed_size 0
		.amdhsa_kernarg_size 72
		.amdhsa_user_sgpr_count 15
		.amdhsa_user_sgpr_dispatch_ptr 0
		.amdhsa_user_sgpr_queue_ptr 0
		.amdhsa_user_sgpr_kernarg_segment_ptr 1
		.amdhsa_user_sgpr_dispatch_id 0
		.amdhsa_user_sgpr_private_segment_size 0
		.amdhsa_wavefront_size32 1
		.amdhsa_uses_dynamic_stack 0
		.amdhsa_enable_private_segment 0
		.amdhsa_system_sgpr_workgroup_id_x 1
		.amdhsa_system_sgpr_workgroup_id_y 0
		.amdhsa_system_sgpr_workgroup_id_z 0
		.amdhsa_system_sgpr_workgroup_info 0
		.amdhsa_system_vgpr_workitem_id 1
		.amdhsa_next_free_vgpr 36
		.amdhsa_next_free_sgpr 18
		.amdhsa_reserve_vcc 1
		.amdhsa_float_round_mode_32 0
		.amdhsa_float_round_mode_16_64 0
		.amdhsa_float_denorm_mode_32 3
		.amdhsa_float_denorm_mode_16_64 3
		.amdhsa_dx10_clamp 1
		.amdhsa_ieee_mode 1
		.amdhsa_fp16_overflow 0
		.amdhsa_workgroup_processor_mode 1
		.amdhsa_memory_ordered 1
		.amdhsa_forward_progress 0
		.amdhsa_shared_vgpr_count 0
		.amdhsa_exception_fp_ieee_invalid_op 0
		.amdhsa_exception_fp_denorm_src 0
		.amdhsa_exception_fp_ieee_div_zero 0
		.amdhsa_exception_fp_ieee_overflow 0
		.amdhsa_exception_fp_ieee_underflow 0
		.amdhsa_exception_fp_ieee_inexact 0
		.amdhsa_exception_int_div_zero 0
	.end_amdhsa_kernel
	.section	.text._ZN4vllm3moe10topkGatingILi8ELi32ELi4ELi16ELi32Ei6__halfLNS0_11ScoringFuncE0EEEvPKT5_PKbPfiPT4_PiiiibPKf,"axG",@progbits,_ZN4vllm3moe10topkGatingILi8ELi32ELi4ELi16ELi32Ei6__halfLNS0_11ScoringFuncE0EEEvPKT5_PKbPfiPT4_PiiiibPKf,comdat
.Lfunc_end77:
	.size	_ZN4vllm3moe10topkGatingILi8ELi32ELi4ELi16ELi32Ei6__halfLNS0_11ScoringFuncE0EEEvPKT5_PKbPfiPT4_PiiiibPKf, .Lfunc_end77-_ZN4vllm3moe10topkGatingILi8ELi32ELi4ELi16ELi32Ei6__halfLNS0_11ScoringFuncE0EEEvPKT5_PKbPfiPT4_PiiiibPKf
                                        ; -- End function
	.section	.AMDGPU.csdata,"",@progbits
; Kernel info:
; codeLenInByte = 2996
; NumSgprs: 20
; NumVgprs: 36
; ScratchSize: 0
; MemoryBound: 0
; FloatMode: 240
; IeeeMode: 1
; LDSByteSize: 0 bytes/workgroup (compile time only)
; SGPRBlocks: 2
; VGPRBlocks: 4
; NumSGPRsForWavesPerEU: 20
; NumVGPRsForWavesPerEU: 36
; Occupancy: 16
; WaveLimiterHint : 0
; COMPUTE_PGM_RSRC2:SCRATCH_EN: 0
; COMPUTE_PGM_RSRC2:USER_SGPR: 15
; COMPUTE_PGM_RSRC2:TRAP_HANDLER: 0
; COMPUTE_PGM_RSRC2:TGID_X_EN: 1
; COMPUTE_PGM_RSRC2:TGID_Y_EN: 0
; COMPUTE_PGM_RSRC2:TGID_Z_EN: 0
; COMPUTE_PGM_RSRC2:TIDIG_COMP_CNT: 1
	.section	.text._ZN4vllm3moe10topkGatingILi8ELi64ELi4ELi16ELi64Ei6__halfLNS0_11ScoringFuncE0EEEvPKT5_PKbPfiPT4_PiiiibPKf,"axG",@progbits,_ZN4vllm3moe10topkGatingILi8ELi64ELi4ELi16ELi64Ei6__halfLNS0_11ScoringFuncE0EEEvPKT5_PKbPfiPT4_PiiiibPKf,comdat
	.protected	_ZN4vllm3moe10topkGatingILi8ELi64ELi4ELi16ELi64Ei6__halfLNS0_11ScoringFuncE0EEEvPKT5_PKbPfiPT4_PiiiibPKf ; -- Begin function _ZN4vllm3moe10topkGatingILi8ELi64ELi4ELi16ELi64Ei6__halfLNS0_11ScoringFuncE0EEEvPKT5_PKbPfiPT4_PiiiibPKf
	.globl	_ZN4vllm3moe10topkGatingILi8ELi64ELi4ELi16ELi64Ei6__halfLNS0_11ScoringFuncE0EEEvPKT5_PKbPfiPT4_PiiiibPKf
	.p2align	8
	.type	_ZN4vllm3moe10topkGatingILi8ELi64ELi4ELi16ELi64Ei6__halfLNS0_11ScoringFuncE0EEEvPKT5_PKbPfiPT4_PiiiibPKf,@function
_ZN4vllm3moe10topkGatingILi8ELi64ELi4ELi16ELi64Ei6__halfLNS0_11ScoringFuncE0EEEvPKT5_PKbPfiPT4_PiiiibPKf: ; @_ZN4vllm3moe10topkGatingILi8ELi64ELi4ELi16ELi64Ei6__halfLNS0_11ScoringFuncE0EEEvPKT5_PKbPfiPT4_PiiiibPKf
; %bb.0:
	s_load_b32 s14, s[0:1], 0x18
	v_bfe_u32 v1, v0, 10, 10
	v_and_b32_e32 v0, 0x3ff, v0
	s_lshl_b32 s2, s15, 5
	s_delay_alu instid0(VALU_DEP_2) | instskip(NEXT) | instid1(VALU_DEP_2)
	v_lshlrev_b32_e32 v1, 3, v1
	v_lshrrev_b32_e32 v2, 3, v0
	s_delay_alu instid0(VALU_DEP_1) | instskip(SKIP_2) | instid1(VALU_DEP_1)
	v_add3_u32 v16, s2, v1, v2
	s_mov_b32 s2, exec_lo
	s_waitcnt lgkmcnt(0)
	v_cmpx_gt_i32_e64 s14, v16
	s_cbranch_execz .LBB78_33
; %bb.1:
	s_clause 0x1
	s_load_b128 s[4:7], s[0:1], 0x0
	s_load_b64 s[12:13], s[0:1], 0x10
	s_mov_b32 s8, -1
	s_mov_b32 s15, -1
	s_waitcnt lgkmcnt(0)
	s_cmp_eq_u64 s[6:7], 0
	s_cbranch_scc1 .LBB78_3
; %bb.2:
	v_ashrrev_i32_e32 v2, 31, v16
	v_add_co_u32 v1, vcc_lo, s6, v16
	s_delay_alu instid0(VALU_DEP_2) | instskip(SKIP_3) | instid1(VALU_DEP_1)
	v_add_co_ci_u32_e32 v2, vcc_lo, s7, v2, vcc_lo
	global_load_u8 v1, v[1:2], off
	s_waitcnt vmcnt(0)
	v_and_b32_e32 v1, 1, v1
	v_cmp_eq_u32_e32 vcc_lo, 1, v1
	s_xor_b32 s2, vcc_lo, -1
	s_delay_alu instid0(SALU_CYCLE_1)
	s_or_not1_b32 s15, s2, exec_lo
.LBB78_3:
	v_lshlrev_b32_e32 v1, 6, v16
	v_and_b32_e32 v17, 7, v0
	v_mbcnt_lo_u32_b32 v4, -1, 0
	s_load_b64 s[2:3], s[0:1], 0x40
	s_delay_alu instid0(VALU_DEP_3) | instskip(NEXT) | instid1(VALU_DEP_2)
	v_ashrrev_i32_e32 v2, 31, v1
	v_and_b32_e32 v6, 24, v4
	v_xor_b32_e32 v8, 4, v4
	v_xor_b32_e32 v12, 2, v4
	s_delay_alu instid0(VALU_DEP_4) | instskip(SKIP_1) | instid1(VALU_DEP_2)
	v_lshlrev_b64 v[0:1], 1, v[1:2]
	v_lshlrev_b32_e32 v2, 4, v17
	v_add_co_u32 v0, vcc_lo, s4, v0
	s_delay_alu instid0(VALU_DEP_3) | instskip(NEXT) | instid1(VALU_DEP_2)
	v_add_co_ci_u32_e32 v1, vcc_lo, s5, v1, vcc_lo
	v_add_co_u32 v0, vcc_lo, v0, v2
	s_delay_alu instid0(VALU_DEP_2)
	v_add_co_ci_u32_e32 v1, vcc_lo, 0, v1, vcc_lo
	s_waitcnt lgkmcnt(0)
	s_cmp_eq_u64 s[2:3], 0
	global_load_b128 v[0:3], v[0:1], off
	s_waitcnt vmcnt(0)
	v_lshrrev_b32_e32 v5, 16, v0
	v_cvt_f32_f16_e32 v0, v0
	v_lshrrev_b32_e32 v7, 16, v1
	v_cvt_f32_f16_e32 v1, v1
	;; [unrolled: 2-line block ×3, first 2 shown]
	v_add_nc_u32_e32 v6, 8, v6
	v_cvt_f32_f16_e32 v7, v7
	v_cvt_f32_f16_e32 v2, v2
	v_lshrrev_b32_e32 v11, 16, v3
	v_max_f32_e32 v10, v0, v5
	v_cvt_f32_f16_e32 v9, v9
	v_cmp_lt_i32_e32 vcc_lo, v8, v6
	v_cvt_f32_f16_e32 v3, v3
	v_cvt_f32_f16_e32 v11, v11
	v_max3_f32 v10, v10, v1, v7
	v_cndmask_b32_e32 v8, v4, v8, vcc_lo
	v_cmp_lt_i32_e32 vcc_lo, v12, v6
	s_delay_alu instid0(VALU_DEP_3) | instskip(NEXT) | instid1(VALU_DEP_3)
	v_max3_f32 v10, v10, v2, v9
	v_lshlrev_b32_e32 v18, 2, v8
	v_cndmask_b32_e32 v12, v4, v12, vcc_lo
	s_delay_alu instid0(VALU_DEP_3) | instskip(SKIP_4) | instid1(VALU_DEP_2)
	v_max3_f32 v8, v10, v3, v11
	ds_bpermute_b32 v10, v18, v8
	s_waitcnt lgkmcnt(0)
	v_dual_max_f32 v10, v10, v10 :: v_dual_lshlrev_b32 v19, 2, v12
	v_xor_b32_e32 v12, 1, v4
	v_max_f32_e32 v8, v8, v10
	s_delay_alu instid0(VALU_DEP_2) | instskip(SKIP_2) | instid1(VALU_DEP_1)
	v_cmp_lt_i32_e32 vcc_lo, v12, v6
	ds_bpermute_b32 v10, v19, v8
	v_cndmask_b32_e32 v4, v4, v12, vcc_lo
	v_lshlrev_b32_e32 v20, 2, v4
	s_waitcnt lgkmcnt(0)
	v_max_f32_e32 v6, v10, v10
	s_delay_alu instid0(VALU_DEP_1) | instskip(SKIP_3) | instid1(VALU_DEP_1)
	v_max_f32_e32 v4, v8, v6
	ds_bpermute_b32 v6, v20, v4
	s_waitcnt lgkmcnt(0)
	v_max_f32_e32 v6, v6, v6
	v_max_f32_e32 v4, v4, v6
	s_delay_alu instid0(VALU_DEP_1) | instskip(SKIP_2) | instid1(VALU_DEP_3)
	v_sub_f32_e32 v5, v5, v4
	v_sub_f32_e32 v6, v7, v4
	;; [unrolled: 1-line block ×3, first 2 shown]
	v_mul_f32_e32 v9, 0x3fb8aa3b, v5
	s_delay_alu instid0(VALU_DEP_2) | instskip(NEXT) | instid1(VALU_DEP_2)
	v_mul_f32_e32 v13, 0x3fb8aa3b, v7
	v_rndne_f32_e32 v24, v9
	v_fma_f32 v23, 0x3fb8aa3b, v5, -v9
	s_delay_alu instid0(VALU_DEP_3) | instskip(SKIP_1) | instid1(VALU_DEP_4)
	v_rndne_f32_e32 v32, v13
	v_fma_f32 v31, 0x3fb8aa3b, v7, -v13
	v_sub_f32_e32 v9, v9, v24
	v_sub_f32_e32 v3, v3, v4
	;; [unrolled: 1-line block ×3, first 2 shown]
	s_delay_alu instid0(VALU_DEP_4) | instskip(SKIP_1) | instid1(VALU_DEP_4)
	v_fmac_f32_e32 v31, 0x32a5705f, v7
	v_fmac_f32_e32 v23, 0x32a5705f, v5
	v_dual_sub_f32 v13, v13, v32 :: v_dual_mul_f32 v14, 0x3fb8aa3b, v3
	v_cvt_i32_f32_e32 v24, v24
	v_cvt_i32_f32_e32 v32, v32
	s_delay_alu instid0(VALU_DEP_4) | instskip(NEXT) | instid1(VALU_DEP_4)
	v_add_f32_e32 v9, v9, v23
	v_add_f32_e32 v13, v13, v31
	v_fma_f32 v33, 0x3fb8aa3b, v3, -v14
	v_sub_f32_e32 v2, v2, v4
	v_rndne_f32_e32 v34, v14
	v_exp_f32_e32 v9, v9
	v_exp_f32_e32 v13, v13
	v_fmac_f32_e32 v33, 0x32a5705f, v3
	v_mul_f32_e32 v12, 0x3fb8aa3b, v2
	s_delay_alu instid0(VALU_DEP_1) | instskip(SKIP_3) | instid1(VALU_DEP_4)
	v_fma_f32 v29, 0x3fb8aa3b, v2, -v12
	v_sub_f32_e32 v0, v0, v4
	v_dual_sub_f32 v4, v11, v4 :: v_dual_mul_f32 v11, 0x3fb8aa3b, v6
	v_mul_f32_e32 v10, 0x3fb8aa3b, v1
	v_fmac_f32_e32 v29, 0x32a5705f, v2
	s_delay_alu instid0(VALU_DEP_4) | instskip(NEXT) | instid1(VALU_DEP_4)
	v_cmp_ngt_f32_e32 vcc_lo, 0xc2ce8ed0, v0
	v_mul_f32_e32 v15, 0x3fb8aa3b, v4
	v_fma_f32 v27, 0x3fb8aa3b, v6, -v11
	v_rndne_f32_e32 v28, v11
	v_rndne_f32_e32 v26, v10
	v_fma_f32 v25, 0x3fb8aa3b, v1, -v10
	v_fma_f32 v35, 0x3fb8aa3b, v4, -v15
	v_fmac_f32_e32 v27, 0x32a5705f, v6
	v_sub_f32_e32 v11, v11, v28
	v_mul_f32_e32 v8, 0x3fb8aa3b, v0
	v_rndne_f32_e32 v36, v15
	v_dual_sub_f32 v10, v10, v26 :: v_dual_fmac_f32 v35, 0x32a5705f, v4
	s_delay_alu instid0(VALU_DEP_4) | instskip(NEXT) | instid1(VALU_DEP_4)
	v_add_f32_e32 v11, v11, v27
	v_rndne_f32_e32 v22, v8
	s_delay_alu instid0(VALU_DEP_4) | instskip(SKIP_2) | instid1(VALU_DEP_3)
	v_sub_f32_e32 v15, v15, v36
	v_fma_f32 v21, 0x3fb8aa3b, v0, -v8
	v_dual_sub_f32 v14, v14, v34 :: v_dual_fmac_f32 v25, 0x32a5705f, v1
	v_dual_sub_f32 v8, v8, v22 :: v_dual_add_f32 v15, v15, v35
	s_delay_alu instid0(VALU_DEP_3)
	v_fmac_f32_e32 v21, 0x32a5705f, v0
	v_cvt_i32_f32_e32 v23, v36
	v_cvt_i32_f32_e32 v22, v22
	v_cvt_i32_f32_e32 v26, v26
	v_exp_f32_e32 v15, v15
	v_add_f32_e32 v8, v8, v21
	v_ldexp_f32 v9, v9, v24
	v_rndne_f32_e32 v30, v12
	v_exp_f32_e32 v11, v11
	v_cvt_i32_f32_e32 v28, v28
	v_exp_f32_e32 v8, v8
	v_ldexp_f32 v13, v13, v32
	v_sub_f32_e32 v12, v12, v30
	v_cvt_i32_f32_e32 v30, v30
	v_ldexp_f32 v15, v15, v23
	v_add_f32_e32 v10, v10, v25
	v_add_f32_e32 v14, v14, v33
	;; [unrolled: 1-line block ×3, first 2 shown]
	v_ldexp_f32 v11, v11, v28
	v_cvt_i32_f32_e32 v21, v34
	v_exp_f32_e32 v10, v10
	v_ldexp_f32 v8, v8, v22
	v_exp_f32_e32 v12, v12
	v_exp_f32_e32 v14, v14
	s_delay_alu instid0(VALU_DEP_1) | instskip(SKIP_1) | instid1(TRANS32_DEP_3)
	v_cndmask_b32_e32 v8, 0, v8, vcc_lo
	v_cmp_ngt_f32_e32 vcc_lo, 0xc2ce8ed0, v5
	v_ldexp_f32 v10, v10, v26
	v_cndmask_b32_e32 v9, 0, v9, vcc_lo
	v_cmp_ngt_f32_e32 vcc_lo, 0xc2ce8ed0, v1
	s_delay_alu instid0(TRANS32_DEP_2) | instskip(NEXT) | instid1(TRANS32_DEP_1)
	v_ldexp_f32 v12, v12, v30
	v_ldexp_f32 v14, v14, v21
	v_dual_cndmask_b32 v10, 0, v10 :: v_dual_lshlrev_b32 v21, 3, v17
	v_cmp_nlt_f32_e32 vcc_lo, 0x42b17218, v0
	v_cndmask_b32_e32 v0, 0x7f800000, v8, vcc_lo
	v_cmp_nlt_f32_e32 vcc_lo, 0x42b17218, v5
	v_cndmask_b32_e32 v5, 0x7f800000, v9, vcc_lo
	v_cmp_ngt_f32_e32 vcc_lo, 0xc2ce8ed0, v6
	s_delay_alu instid0(VALU_DEP_2)
	v_dual_add_f32 v9, v0, v5 :: v_dual_cndmask_b32 v8, 0, v11
	v_cmp_nlt_f32_e32 vcc_lo, 0x42b17218, v1
	v_cndmask_b32_e32 v1, 0x7f800000, v10, vcc_lo
	v_cmp_ngt_f32_e32 vcc_lo, 0xc2ce8ed0, v2
	v_cndmask_b32_e32 v10, 0, v12, vcc_lo
	v_cmp_nlt_f32_e32 vcc_lo, 0x42b17218, v6
	v_cndmask_b32_e32 v6, 0x7f800000, v8, vcc_lo
	v_cmp_ngt_f32_e32 vcc_lo, 0xc2ce8ed0, v7
	v_add_f32_e32 v8, v9, v1
	v_cndmask_b32_e32 v9, 0, v13, vcc_lo
	v_cmp_nlt_f32_e32 vcc_lo, 0x42b17218, v2
	s_delay_alu instid0(VALU_DEP_3) | instskip(SKIP_2) | instid1(VALU_DEP_2)
	v_add_f32_e32 v8, v8, v6
	v_cndmask_b32_e32 v2, 0x7f800000, v10, vcc_lo
	v_cmp_ngt_f32_e32 vcc_lo, 0xc2ce8ed0, v3
	v_add_f32_e32 v8, v8, v2
	v_cndmask_b32_e32 v10, 0, v14, vcc_lo
	v_cmp_nlt_f32_e32 vcc_lo, 0x42b17218, v7
	v_cndmask_b32_e32 v7, 0x7f800000, v9, vcc_lo
	v_cmp_ngt_f32_e32 vcc_lo, 0xc2ce8ed0, v4
	s_delay_alu instid0(VALU_DEP_2) | instskip(SKIP_4) | instid1(VALU_DEP_2)
	v_add_f32_e32 v8, v8, v7
	v_cndmask_b32_e32 v9, 0, v15, vcc_lo
	v_cmp_nlt_f32_e32 vcc_lo, 0x42b17218, v3
	v_cndmask_b32_e32 v3, 0x7f800000, v10, vcc_lo
	v_cmp_nlt_f32_e32 vcc_lo, 0x42b17218, v4
	v_add_f32_e32 v8, v8, v3
	v_cndmask_b32_e32 v4, 0x7f800000, v9, vcc_lo
	s_delay_alu instid0(VALU_DEP_1)
	v_add_f32_e32 v8, v8, v4
	ds_bpermute_b32 v9, v18, v8
	s_waitcnt lgkmcnt(0)
	v_add_f32_e32 v8, v8, v9
	ds_bpermute_b32 v9, v19, v8
	s_waitcnt lgkmcnt(0)
	;; [unrolled: 3-line block ×3, first 2 shown]
	v_add_f32_e32 v8, v8, v9
	s_delay_alu instid0(VALU_DEP_1) | instskip(SKIP_1) | instid1(VALU_DEP_2)
	v_div_scale_f32 v9, null, v8, v8, 1.0
	v_div_scale_f32 v12, vcc_lo, 1.0, v8, 1.0
	v_rcp_f32_e32 v10, v9
	s_waitcnt_depctr 0xfff
	v_fma_f32 v11, -v9, v10, 1.0
	s_delay_alu instid0(VALU_DEP_1) | instskip(NEXT) | instid1(VALU_DEP_1)
	v_fmac_f32_e32 v10, v11, v10
	v_mul_f32_e32 v11, v12, v10
	s_delay_alu instid0(VALU_DEP_1) | instskip(NEXT) | instid1(VALU_DEP_1)
	v_fma_f32 v13, -v9, v11, v12
	v_fmac_f32_e32 v11, v13, v10
	s_delay_alu instid0(VALU_DEP_1) | instskip(NEXT) | instid1(VALU_DEP_1)
	v_fma_f32 v9, -v9, v11, v12
	v_div_fmas_f32 v9, v9, v10, v11
	s_delay_alu instid0(VALU_DEP_1) | instskip(NEXT) | instid1(VALU_DEP_1)
	v_div_fixup_f32 v8, v9, v8, 1.0
	v_mul_f32_e32 v0, v8, v0
	v_mul_f32_e32 v5, v8, v5
	;; [unrolled: 1-line block ×5, first 2 shown]
	v_cmp_class_f32_e64 vcc_lo, v0, 0x1f8
	v_mul_f32_e32 v7, v8, v7
	v_mul_f32_e32 v11, v8, v3
	;; [unrolled: 1-line block ×3, first 2 shown]
	v_cndmask_b32_e32 v0, 0, v0, vcc_lo
	v_cmp_class_f32_e64 vcc_lo, v5, 0x1f8
	v_cndmask_b32_e32 v1, 0, v5, vcc_lo
	v_cmp_class_f32_e64 vcc_lo, v9, 0x1f8
	;; [unrolled: 2-line block ×7, first 2 shown]
	v_cndmask_b32_e32 v7, 0, v8, vcc_lo
	s_cbranch_scc1 .LBB78_27
; %bb.4:
	v_lshlrev_b32_e32 v12, 2, v21
	s_clause 0x1
	global_load_b128 v[8:11], v12, s[2:3]
	global_load_b128 v[12:15], v12, s[2:3] offset:16
	s_waitcnt vmcnt(1)
	v_dual_add_f32 v11, v11, v3 :: v_dual_add_f32 v8, v8, v0
	v_dual_add_f32 v9, v9, v1 :: v_dual_add_f32 v10, v10, v2
	s_waitcnt vmcnt(0)
	v_dual_add_f32 v13, v13, v5 :: v_dual_add_f32 v12, v12, v4
	v_dual_add_f32 v15, v15, v7 :: v_dual_add_f32 v14, v14, v6
	s_cbranch_execnz .LBB78_6
.LBB78_5:
	v_dual_mov_b32 v15, v7 :: v_dual_mov_b32 v14, v6
	v_dual_mov_b32 v13, v5 :: v_dual_mov_b32 v12, v4
	;; [unrolled: 1-line block ×4, first 2 shown]
.LBB78_6:
	s_load_b128 s[4:7], s[0:1], 0x30
	v_cmp_eq_u32_e64 s2, 0, v17
	s_waitcnt lgkmcnt(0)
	s_bitcmp1_b32 s7, 0
	s_mov_b32 s7, 0
	s_cselect_b32 vcc_lo, -1, 0
	s_cmp_gt_i32 s4, 0
	s_cselect_b32 s3, -1, 0
	s_cmp_lt_i32 s4, 1
	s_cbranch_scc1 .LBB78_28
; %bb.7:
	s_load_b128 s[8:11], s[0:1], 0x20
	v_mul_lo_u32 v23, v16, s4
	v_mov_b32_e32 v22, 0
	v_mov_b32_e32 v24, v16
	s_branch .LBB78_10
.LBB78_8:                               ;   in Loop: Header=BB78_10 Depth=1
	s_or_b32 exec_lo, exec_lo, s1
.LBB78_9:                               ;   in Loop: Header=BB78_10 Depth=1
	v_add_nc_u32_e32 v24, s14, v24
	s_cmp_eq_u32 s4, s7
	s_cbranch_scc1 .LBB78_29
.LBB78_10:                              ; =>This Inner Loop Header: Depth=1
	v_cmp_gt_f32_e64 s0, v9, v8
	s_mov_b32 s17, exec_lo
	s_delay_alu instid0(VALU_DEP_1) | instskip(SKIP_2) | instid1(VALU_DEP_3)
	v_cndmask_b32_e64 v25, v8, v9, s0
	v_cndmask_b32_e64 v26, 0, 1, s0
	;; [unrolled: 1-line block ×3, first 2 shown]
	v_cmp_gt_f32_e64 s1, v10, v25
	s_delay_alu instid0(VALU_DEP_1) | instskip(NEXT) | instid1(VALU_DEP_4)
	v_cndmask_b32_e64 v25, v25, v10, s1
	v_cndmask_b32_e64 v26, v26, 2, s1
	s_delay_alu instid0(VALU_DEP_4) | instskip(NEXT) | instid1(VALU_DEP_3)
	v_cndmask_b32_e64 v27, v27, v2, s1
	v_cmp_gt_f32_e64 s0, v11, v25
	s_delay_alu instid0(VALU_DEP_1) | instskip(NEXT) | instid1(VALU_DEP_4)
	v_cndmask_b32_e64 v25, v25, v11, s0
	v_cndmask_b32_e64 v26, v26, 3, s0
	s_delay_alu instid0(VALU_DEP_4) | instskip(NEXT) | instid1(VALU_DEP_3)
	v_cndmask_b32_e64 v27, v27, v3, s0
	;; [unrolled: 6-line block ×4, first 2 shown]
	v_cmp_gt_f32_e64 s1, v14, v25
	s_delay_alu instid0(VALU_DEP_1) | instskip(NEXT) | instid1(VALU_DEP_4)
	v_cndmask_b32_e64 v25, v25, v14, s1
	v_cndmask_b32_e64 v26, v26, 6, s1
	s_waitcnt lgkmcnt(0)
	v_cndmask_b32_e64 v28, v27, v6, s1
	s_delay_alu instid0(VALU_DEP_3) | instskip(NEXT) | instid1(VALU_DEP_1)
	v_cmp_gt_f32_e64 s0, v15, v25
	v_cndmask_b32_e64 v27, v25, v15, s0
	v_cndmask_b32_e64 v25, v26, 7, s0
	s_delay_alu instid0(VALU_DEP_4)
	v_cndmask_b32_e64 v26, v28, v7, s0
	ds_bpermute_b32 v28, v18, v27
	v_or_b32_e32 v25, v21, v25
	ds_bpermute_b32 v30, v18, v26
	ds_bpermute_b32 v29, v18, v25
	s_waitcnt lgkmcnt(0)
	v_cmp_lt_f32_e64 s16, v27, v28
	v_cmpx_nlt_f32_e32 v27, v28
; %bb.11:                               ;   in Loop: Header=BB78_10 Depth=1
	v_cmp_eq_f32_e64 s0, v27, v28
	v_cmp_lt_i32_e64 s1, v29, v25
	s_delay_alu instid0(VALU_DEP_1) | instskip(SKIP_2) | instid1(SALU_CYCLE_1)
	s_and_b32 s0, s0, s1
	s_and_not1_b32 s1, s16, exec_lo
	s_and_b32 s0, s0, exec_lo
	s_or_b32 s16, s1, s0
; %bb.12:                               ;   in Loop: Header=BB78_10 Depth=1
	s_or_b32 exec_lo, exec_lo, s17
	s_and_saveexec_b32 s0, s16
; %bb.13:                               ;   in Loop: Header=BB78_10 Depth=1
	v_dual_mov_b32 v26, v30 :: v_dual_mov_b32 v27, v28
	v_mov_b32_e32 v25, v29
; %bb.14:                               ;   in Loop: Header=BB78_10 Depth=1
	s_or_b32 exec_lo, exec_lo, s0
	ds_bpermute_b32 v29, v19, v27
	ds_bpermute_b32 v30, v19, v26
	;; [unrolled: 1-line block ×3, first 2 shown]
	s_mov_b32 s17, exec_lo
	s_waitcnt lgkmcnt(2)
	v_cmp_lt_f32_e64 s16, v27, v29
	v_cmpx_nlt_f32_e32 v27, v29
	s_cbranch_execz .LBB78_16
; %bb.15:                               ;   in Loop: Header=BB78_10 Depth=1
	v_cmp_eq_f32_e64 s0, v27, v29
	s_waitcnt lgkmcnt(0)
	v_cmp_lt_i32_e64 s1, v28, v25
	s_delay_alu instid0(VALU_DEP_1) | instskip(SKIP_2) | instid1(SALU_CYCLE_1)
	s_and_b32 s0, s0, s1
	s_and_not1_b32 s1, s16, exec_lo
	s_and_b32 s0, s0, exec_lo
	s_or_b32 s16, s1, s0
.LBB78_16:                              ;   in Loop: Header=BB78_10 Depth=1
	s_or_b32 exec_lo, exec_lo, s17
	s_delay_alu instid0(VALU_DEP_2)
	s_and_saveexec_b32 s0, s16
	s_cbranch_execz .LBB78_18
; %bb.17:                               ;   in Loop: Header=BB78_10 Depth=1
	s_waitcnt lgkmcnt(1)
	v_dual_mov_b32 v26, v30 :: v_dual_mov_b32 v27, v29
	s_waitcnt lgkmcnt(0)
	v_mov_b32_e32 v25, v28
.LBB78_18:                              ;   in Loop: Header=BB78_10 Depth=1
	s_or_b32 exec_lo, exec_lo, s0
	s_waitcnt lgkmcnt(1)
	ds_bpermute_b32 v30, v20, v27
	ds_bpermute_b32 v29, v20, v26
	s_waitcnt lgkmcnt(2)
	ds_bpermute_b32 v28, v20, v25
	s_mov_b32 s17, exec_lo
	s_waitcnt lgkmcnt(2)
	v_cmp_lt_f32_e64 s16, v27, v30
	v_cmpx_nlt_f32_e32 v27, v30
	s_cbranch_execnz .LBB78_22
; %bb.19:                               ;   in Loop: Header=BB78_10 Depth=1
	s_or_b32 exec_lo, exec_lo, s17
	s_delay_alu instid0(VALU_DEP_2)
	s_and_saveexec_b32 s0, s16
	s_cbranch_execnz .LBB78_23
.LBB78_20:                              ;   in Loop: Header=BB78_10 Depth=1
	s_or_b32 exec_lo, exec_lo, s0
	s_and_saveexec_b32 s16, s2
	s_cbranch_execnz .LBB78_24
.LBB78_21:                              ;   in Loop: Header=BB78_10 Depth=1
	s_or_b32 exec_lo, exec_lo, s16
	s_add_i32 s7, s7, 1
	s_delay_alu instid0(SALU_CYCLE_1)
	s_cmp_ge_i32 s7, s4
	s_cbranch_scc1 .LBB78_9
	s_branch .LBB78_25
.LBB78_22:                              ;   in Loop: Header=BB78_10 Depth=1
	v_cmp_eq_f32_e64 s0, v27, v30
	s_waitcnt lgkmcnt(0)
	v_cmp_lt_i32_e64 s1, v28, v25
	s_delay_alu instid0(VALU_DEP_1) | instskip(SKIP_2) | instid1(SALU_CYCLE_1)
	s_and_b32 s0, s0, s1
	s_and_not1_b32 s1, s16, exec_lo
	s_and_b32 s0, s0, exec_lo
	s_or_b32 s16, s1, s0
	s_or_b32 exec_lo, exec_lo, s17
	s_and_saveexec_b32 s0, s16
	s_cbranch_execz .LBB78_20
.LBB78_23:                              ;   in Loop: Header=BB78_10 Depth=1
	s_waitcnt lgkmcnt(0)
	v_dual_mov_b32 v26, v29 :: v_dual_mov_b32 v25, v28
	s_or_b32 exec_lo, exec_lo, s0
	s_and_saveexec_b32 s16, s2
	s_cbranch_execz .LBB78_21
.LBB78_24:                              ;   in Loop: Header=BB78_10 Depth=1
	s_delay_alu instid0(VALU_DEP_1)
	v_dual_add_f32 v34, v22, v26 :: v_dual_add_nc_u32 v27, s7, v23
	v_cmp_le_i32_e64 s0, s5, v25
	v_cmp_gt_i32_e64 s1, s6, v25
	s_waitcnt lgkmcnt(1)
	v_subrev_nc_u32_e32 v29, s5, v25
	s_waitcnt lgkmcnt(0)
	v_ashrrev_i32_e32 v28, 31, v27
	v_cndmask_b32_e32 v22, v22, v34, vcc_lo
	s_and_b32 s0, s0, s1
	s_delay_alu instid0(SALU_CYCLE_1) | instskip(NEXT) | instid1(VALU_DEP_2)
	s_and_b32 s0, s15, s0
	v_lshlrev_b64 v[27:28], 2, v[27:28]
	v_cndmask_b32_e64 v33, 64, v29, s0
	s_delay_alu instid0(VALU_DEP_2) | instskip(NEXT) | instid1(VALU_DEP_1)
	v_add_co_u32 v29, s0, s12, v27
	v_add_co_ci_u32_e64 v30, s0, s13, v28, s0
	v_add_co_u32 v31, s0, s8, v27
	s_delay_alu instid0(VALU_DEP_1) | instskip(SKIP_1) | instid1(VALU_DEP_1)
	v_add_co_ci_u32_e64 v32, s0, s9, v28, s0
	v_add_co_u32 v27, s0, s10, v27
	v_add_co_ci_u32_e64 v28, s0, s11, v28, s0
	global_store_b32 v[29:30], v26, off
	global_store_b32 v[31:32], v33, off
	;; [unrolled: 1-line block ×3, first 2 shown]
	s_or_b32 exec_lo, exec_lo, s16
	s_add_i32 s7, s7, 1
	s_delay_alu instid0(SALU_CYCLE_1)
	s_cmp_ge_i32 s7, s4
	s_cbranch_scc1 .LBB78_9
.LBB78_25:                              ;   in Loop: Header=BB78_10 Depth=1
	v_ashrrev_i32_e32 v27, 31, v25
	s_mov_b32 s1, exec_lo
	s_delay_alu instid0(VALU_DEP_1) | instskip(NEXT) | instid1(VALU_DEP_1)
	v_lshrrev_b32_e32 v26, 29, v27
	v_add_nc_u32_e32 v26, v25, v26
	s_delay_alu instid0(VALU_DEP_1) | instskip(SKIP_1) | instid1(VALU_DEP_1)
	v_ashrrev_i32_e32 v26, 3, v26
	s_waitcnt lgkmcnt(0)
	v_lshrrev_b32_e32 v28, 29, v26
	s_delay_alu instid0(VALU_DEP_1) | instskip(NEXT) | instid1(VALU_DEP_1)
	v_add_nc_u32_e32 v28, v26, v28
	v_and_b32_e32 v28, -8, v28
	s_delay_alu instid0(VALU_DEP_1) | instskip(NEXT) | instid1(VALU_DEP_1)
	v_sub_nc_u32_e32 v28, v26, v28
	v_cmpx_eq_u32_e64 v17, v28
	s_cbranch_execz .LBB78_8
; %bb.26:                               ;   in Loop: Header=BB78_10 Depth=1
	v_lshrrev_b32_e32 v27, 26, v27
	v_lshlrev_b32_e32 v26, 3, v26
	s_delay_alu instid0(VALU_DEP_2) | instskip(NEXT) | instid1(VALU_DEP_2)
	v_add_nc_u32_e32 v27, v25, v27
	v_sub_nc_u32_e32 v25, v25, v26
	s_delay_alu instid0(VALU_DEP_2) | instskip(NEXT) | instid1(VALU_DEP_1)
	v_ashrrev_i32_e32 v26, 6, v27
	v_lshl_add_u32 v25, v26, 3, v25
	s_delay_alu instid0(VALU_DEP_1) | instskip(NEXT) | instid1(VALU_DEP_1)
	v_cmp_ne_u32_e64 s0, 7, v25
	v_cndmask_b32_e64 v15, 0xc61c4000, v15, s0
	v_cmp_ne_u32_e64 s0, 6, v25
	s_delay_alu instid0(VALU_DEP_1) | instskip(SKIP_1) | instid1(VALU_DEP_1)
	v_cndmask_b32_e64 v14, 0xc61c4000, v14, s0
	v_cmp_ne_u32_e64 s0, 5, v25
	v_cndmask_b32_e64 v13, 0xc61c4000, v13, s0
	v_cmp_ne_u32_e64 s0, 4, v25
	s_delay_alu instid0(VALU_DEP_1) | instskip(SKIP_1) | instid1(VALU_DEP_1)
	v_cndmask_b32_e64 v12, 0xc61c4000, v12, s0
	;; [unrolled: 5-line block ×3, first 2 shown]
	v_cmp_ne_u32_e64 s0, 1, v25
	v_cndmask_b32_e64 v9, 0xc61c4000, v9, s0
	v_cmp_ne_u32_e64 s0, 0, v25
	s_delay_alu instid0(VALU_DEP_1)
	v_cndmask_b32_e64 v8, 0xc61c4000, v8, s0
	s_branch .LBB78_8
.LBB78_27:
                                        ; implicit-def: $vgpr8_vgpr9_vgpr10_vgpr11_vgpr12_vgpr13_vgpr14_vgpr15
	s_and_not1_b32 vcc_lo, exec_lo, s8
	s_cbranch_vccz .LBB78_5
	s_branch .LBB78_6
.LBB78_28:
	v_mov_b32_e32 v22, 0
.LBB78_29:
	v_cmp_eq_u32_e64 s0, 0, v17
	s_delay_alu instid0(VALU_DEP_1) | instskip(NEXT) | instid1(SALU_CYCLE_1)
	s_and_b32 s0, s0, vcc_lo
	s_and_b32 exec_lo, exec_lo, s0
	s_cbranch_execz .LBB78_33
; %bb.30:
	s_and_not1_b32 vcc_lo, exec_lo, s3
	s_cbranch_vccnz .LBB78_33
; %bb.31:
	v_mul_lo_u32 v0, v16, s4
	v_cmp_lt_f32_e32 vcc_lo, 0, v22
	v_cndmask_b32_e32 v2, 1.0, v22, vcc_lo
	s_delay_alu instid0(VALU_DEP_3) | instskip(NEXT) | instid1(VALU_DEP_1)
	v_ashrrev_i32_e32 v1, 31, v0
	v_lshlrev_b64 v[0:1], 2, v[0:1]
	s_delay_alu instid0(VALU_DEP_1) | instskip(NEXT) | instid1(VALU_DEP_2)
	v_add_co_u32 v0, vcc_lo, s12, v0
	v_add_co_ci_u32_e32 v1, vcc_lo, s13, v1, vcc_lo
	.p2align	6
.LBB78_32:                              ; =>This Inner Loop Header: Depth=1
	global_load_b32 v3, v[0:1], off
	s_add_i32 s4, s4, -1
	s_delay_alu instid0(SALU_CYCLE_1) | instskip(SKIP_3) | instid1(VALU_DEP_2)
	s_cmp_lg_u32 s4, 0
	s_waitcnt vmcnt(0)
	v_div_scale_f32 v4, null, v2, v2, v3
	v_div_scale_f32 v7, vcc_lo, v3, v2, v3
	v_rcp_f32_e32 v5, v4
	s_waitcnt_depctr 0xfff
	v_fma_f32 v6, -v4, v5, 1.0
	s_delay_alu instid0(VALU_DEP_1) | instskip(NEXT) | instid1(VALU_DEP_1)
	v_fmac_f32_e32 v5, v6, v5
	v_mul_f32_e32 v6, v7, v5
	s_delay_alu instid0(VALU_DEP_1) | instskip(NEXT) | instid1(VALU_DEP_1)
	v_fma_f32 v8, -v4, v6, v7
	v_fmac_f32_e32 v6, v8, v5
	s_delay_alu instid0(VALU_DEP_1) | instskip(NEXT) | instid1(VALU_DEP_1)
	v_fma_f32 v4, -v4, v6, v7
	v_div_fmas_f32 v4, v4, v5, v6
	s_delay_alu instid0(VALU_DEP_1)
	v_div_fixup_f32 v3, v4, v2, v3
	global_store_b32 v[0:1], v3, off
	v_add_co_u32 v0, vcc_lo, v0, 4
	v_add_co_ci_u32_e32 v1, vcc_lo, 0, v1, vcc_lo
	s_cbranch_scc1 .LBB78_32
.LBB78_33:
	s_nop 0
	s_sendmsg sendmsg(MSG_DEALLOC_VGPRS)
	s_endpgm
	.section	.rodata,"a",@progbits
	.p2align	6, 0x0
	.amdhsa_kernel _ZN4vllm3moe10topkGatingILi8ELi64ELi4ELi16ELi64Ei6__halfLNS0_11ScoringFuncE0EEEvPKT5_PKbPfiPT4_PiiiibPKf
		.amdhsa_group_segment_fixed_size 0
		.amdhsa_private_segment_fixed_size 0
		.amdhsa_kernarg_size 72
		.amdhsa_user_sgpr_count 15
		.amdhsa_user_sgpr_dispatch_ptr 0
		.amdhsa_user_sgpr_queue_ptr 0
		.amdhsa_user_sgpr_kernarg_segment_ptr 1
		.amdhsa_user_sgpr_dispatch_id 0
		.amdhsa_user_sgpr_private_segment_size 0
		.amdhsa_wavefront_size32 1
		.amdhsa_uses_dynamic_stack 0
		.amdhsa_enable_private_segment 0
		.amdhsa_system_sgpr_workgroup_id_x 1
		.amdhsa_system_sgpr_workgroup_id_y 0
		.amdhsa_system_sgpr_workgroup_id_z 0
		.amdhsa_system_sgpr_workgroup_info 0
		.amdhsa_system_vgpr_workitem_id 1
		.amdhsa_next_free_vgpr 37
		.amdhsa_next_free_sgpr 18
		.amdhsa_reserve_vcc 1
		.amdhsa_float_round_mode_32 0
		.amdhsa_float_round_mode_16_64 0
		.amdhsa_float_denorm_mode_32 3
		.amdhsa_float_denorm_mode_16_64 3
		.amdhsa_dx10_clamp 1
		.amdhsa_ieee_mode 1
		.amdhsa_fp16_overflow 0
		.amdhsa_workgroup_processor_mode 1
		.amdhsa_memory_ordered 1
		.amdhsa_forward_progress 0
		.amdhsa_shared_vgpr_count 0
		.amdhsa_exception_fp_ieee_invalid_op 0
		.amdhsa_exception_fp_denorm_src 0
		.amdhsa_exception_fp_ieee_div_zero 0
		.amdhsa_exception_fp_ieee_overflow 0
		.amdhsa_exception_fp_ieee_underflow 0
		.amdhsa_exception_fp_ieee_inexact 0
		.amdhsa_exception_int_div_zero 0
	.end_amdhsa_kernel
	.section	.text._ZN4vllm3moe10topkGatingILi8ELi64ELi4ELi16ELi64Ei6__halfLNS0_11ScoringFuncE0EEEvPKT5_PKbPfiPT4_PiiiibPKf,"axG",@progbits,_ZN4vllm3moe10topkGatingILi8ELi64ELi4ELi16ELi64Ei6__halfLNS0_11ScoringFuncE0EEEvPKT5_PKbPfiPT4_PiiiibPKf,comdat
.Lfunc_end78:
	.size	_ZN4vllm3moe10topkGatingILi8ELi64ELi4ELi16ELi64Ei6__halfLNS0_11ScoringFuncE0EEEvPKT5_PKbPfiPT4_PiiiibPKf, .Lfunc_end78-_ZN4vllm3moe10topkGatingILi8ELi64ELi4ELi16ELi64Ei6__halfLNS0_11ScoringFuncE0EEEvPKT5_PKbPfiPT4_PiiiibPKf
                                        ; -- End function
	.section	.AMDGPU.csdata,"",@progbits
; Kernel info:
; codeLenInByte = 3180
; NumSgprs: 20
; NumVgprs: 37
; ScratchSize: 0
; MemoryBound: 0
; FloatMode: 240
; IeeeMode: 1
; LDSByteSize: 0 bytes/workgroup (compile time only)
; SGPRBlocks: 2
; VGPRBlocks: 4
; NumSGPRsForWavesPerEU: 20
; NumVGPRsForWavesPerEU: 37
; Occupancy: 16
; WaveLimiterHint : 0
; COMPUTE_PGM_RSRC2:SCRATCH_EN: 0
; COMPUTE_PGM_RSRC2:USER_SGPR: 15
; COMPUTE_PGM_RSRC2:TRAP_HANDLER: 0
; COMPUTE_PGM_RSRC2:TGID_X_EN: 1
; COMPUTE_PGM_RSRC2:TGID_Y_EN: 0
; COMPUTE_PGM_RSRC2:TGID_Z_EN: 0
; COMPUTE_PGM_RSRC2:TIDIG_COMP_CNT: 1
	.section	.text._ZN4vllm3moe10topkGatingILi8ELi64ELi4ELi16ELi32Ei6__halfLNS0_11ScoringFuncE0EEEvPKT5_PKbPfiPT4_PiiiibPKf,"axG",@progbits,_ZN4vllm3moe10topkGatingILi8ELi64ELi4ELi16ELi32Ei6__halfLNS0_11ScoringFuncE0EEEvPKT5_PKbPfiPT4_PiiiibPKf,comdat
	.protected	_ZN4vllm3moe10topkGatingILi8ELi64ELi4ELi16ELi32Ei6__halfLNS0_11ScoringFuncE0EEEvPKT5_PKbPfiPT4_PiiiibPKf ; -- Begin function _ZN4vllm3moe10topkGatingILi8ELi64ELi4ELi16ELi32Ei6__halfLNS0_11ScoringFuncE0EEEvPKT5_PKbPfiPT4_PiiiibPKf
	.globl	_ZN4vllm3moe10topkGatingILi8ELi64ELi4ELi16ELi32Ei6__halfLNS0_11ScoringFuncE0EEEvPKT5_PKbPfiPT4_PiiiibPKf
	.p2align	8
	.type	_ZN4vllm3moe10topkGatingILi8ELi64ELi4ELi16ELi32Ei6__halfLNS0_11ScoringFuncE0EEEvPKT5_PKbPfiPT4_PiiiibPKf,@function
_ZN4vllm3moe10topkGatingILi8ELi64ELi4ELi16ELi32Ei6__halfLNS0_11ScoringFuncE0EEEvPKT5_PKbPfiPT4_PiiiibPKf: ; @_ZN4vllm3moe10topkGatingILi8ELi64ELi4ELi16ELi32Ei6__halfLNS0_11ScoringFuncE0EEEvPKT5_PKbPfiPT4_PiiiibPKf
; %bb.0:
	s_load_b32 s14, s[0:1], 0x18
	v_bfe_u32 v1, v0, 10, 10
	v_and_b32_e32 v0, 0x3ff, v0
	s_lshl_b32 s2, s15, 4
	s_delay_alu instid0(VALU_DEP_2) | instskip(NEXT) | instid1(VALU_DEP_2)
	v_lshlrev_b32_e32 v1, 2, v1
	v_lshrrev_b32_e32 v2, 3, v0
	s_delay_alu instid0(VALU_DEP_1) | instskip(SKIP_2) | instid1(VALU_DEP_1)
	v_add3_u32 v16, s2, v1, v2
	s_mov_b32 s2, exec_lo
	s_waitcnt lgkmcnt(0)
	v_cmpx_gt_i32_e64 s14, v16
	s_cbranch_execz .LBB79_33
; %bb.1:
	s_clause 0x1
	s_load_b128 s[4:7], s[0:1], 0x0
	s_load_b64 s[12:13], s[0:1], 0x10
	s_mov_b32 s8, -1
	s_mov_b32 s15, -1
	s_waitcnt lgkmcnt(0)
	s_cmp_eq_u64 s[6:7], 0
	s_cbranch_scc1 .LBB79_3
; %bb.2:
	v_ashrrev_i32_e32 v2, 31, v16
	v_add_co_u32 v1, vcc_lo, s6, v16
	s_delay_alu instid0(VALU_DEP_2) | instskip(SKIP_3) | instid1(VALU_DEP_1)
	v_add_co_ci_u32_e32 v2, vcc_lo, s7, v2, vcc_lo
	global_load_u8 v1, v[1:2], off
	s_waitcnt vmcnt(0)
	v_and_b32_e32 v1, 1, v1
	v_cmp_eq_u32_e32 vcc_lo, 1, v1
	s_xor_b32 s2, vcc_lo, -1
	s_delay_alu instid0(SALU_CYCLE_1)
	s_or_not1_b32 s15, s2, exec_lo
.LBB79_3:
	v_lshlrev_b32_e32 v1, 6, v16
	v_and_b32_e32 v17, 7, v0
	v_mbcnt_lo_u32_b32 v4, -1, 0
	s_load_b64 s[2:3], s[0:1], 0x40
	s_delay_alu instid0(VALU_DEP_3) | instskip(NEXT) | instid1(VALU_DEP_2)
	v_ashrrev_i32_e32 v2, 31, v1
	v_and_b32_e32 v6, 24, v4
	v_xor_b32_e32 v8, 4, v4
	v_xor_b32_e32 v12, 2, v4
	s_delay_alu instid0(VALU_DEP_4) | instskip(SKIP_1) | instid1(VALU_DEP_2)
	v_lshlrev_b64 v[0:1], 1, v[1:2]
	v_lshlrev_b32_e32 v2, 4, v17
	v_add_co_u32 v0, vcc_lo, s4, v0
	s_delay_alu instid0(VALU_DEP_3) | instskip(NEXT) | instid1(VALU_DEP_2)
	v_add_co_ci_u32_e32 v1, vcc_lo, s5, v1, vcc_lo
	v_add_co_u32 v0, vcc_lo, v0, v2
	s_delay_alu instid0(VALU_DEP_2)
	v_add_co_ci_u32_e32 v1, vcc_lo, 0, v1, vcc_lo
	s_waitcnt lgkmcnt(0)
	s_cmp_eq_u64 s[2:3], 0
	global_load_b128 v[0:3], v[0:1], off
	s_waitcnt vmcnt(0)
	v_lshrrev_b32_e32 v5, 16, v0
	v_cvt_f32_f16_e32 v0, v0
	v_lshrrev_b32_e32 v7, 16, v1
	v_cvt_f32_f16_e32 v1, v1
	;; [unrolled: 2-line block ×3, first 2 shown]
	v_add_nc_u32_e32 v6, 8, v6
	v_cvt_f32_f16_e32 v7, v7
	v_cvt_f32_f16_e32 v2, v2
	v_lshrrev_b32_e32 v11, 16, v3
	v_max_f32_e32 v10, v0, v5
	v_cvt_f32_f16_e32 v9, v9
	v_cmp_lt_i32_e32 vcc_lo, v8, v6
	v_cvt_f32_f16_e32 v3, v3
	v_cvt_f32_f16_e32 v11, v11
	v_max3_f32 v10, v10, v1, v7
	v_cndmask_b32_e32 v8, v4, v8, vcc_lo
	v_cmp_lt_i32_e32 vcc_lo, v12, v6
	s_delay_alu instid0(VALU_DEP_3) | instskip(NEXT) | instid1(VALU_DEP_3)
	v_max3_f32 v10, v10, v2, v9
	v_lshlrev_b32_e32 v18, 2, v8
	v_cndmask_b32_e32 v12, v4, v12, vcc_lo
	s_delay_alu instid0(VALU_DEP_3) | instskip(SKIP_4) | instid1(VALU_DEP_2)
	v_max3_f32 v8, v10, v3, v11
	ds_bpermute_b32 v10, v18, v8
	s_waitcnt lgkmcnt(0)
	v_dual_max_f32 v10, v10, v10 :: v_dual_lshlrev_b32 v19, 2, v12
	v_xor_b32_e32 v12, 1, v4
	v_max_f32_e32 v8, v8, v10
	s_delay_alu instid0(VALU_DEP_2) | instskip(SKIP_2) | instid1(VALU_DEP_1)
	v_cmp_lt_i32_e32 vcc_lo, v12, v6
	ds_bpermute_b32 v10, v19, v8
	v_cndmask_b32_e32 v4, v4, v12, vcc_lo
	v_lshlrev_b32_e32 v20, 2, v4
	s_waitcnt lgkmcnt(0)
	v_max_f32_e32 v6, v10, v10
	s_delay_alu instid0(VALU_DEP_1) | instskip(SKIP_3) | instid1(VALU_DEP_1)
	v_max_f32_e32 v4, v8, v6
	ds_bpermute_b32 v6, v20, v4
	s_waitcnt lgkmcnt(0)
	v_max_f32_e32 v6, v6, v6
	v_max_f32_e32 v4, v4, v6
	s_delay_alu instid0(VALU_DEP_1) | instskip(SKIP_2) | instid1(VALU_DEP_3)
	v_sub_f32_e32 v5, v5, v4
	v_sub_f32_e32 v6, v7, v4
	;; [unrolled: 1-line block ×3, first 2 shown]
	v_mul_f32_e32 v9, 0x3fb8aa3b, v5
	s_delay_alu instid0(VALU_DEP_2) | instskip(NEXT) | instid1(VALU_DEP_2)
	v_mul_f32_e32 v13, 0x3fb8aa3b, v7
	v_rndne_f32_e32 v24, v9
	v_fma_f32 v23, 0x3fb8aa3b, v5, -v9
	s_delay_alu instid0(VALU_DEP_3) | instskip(SKIP_1) | instid1(VALU_DEP_4)
	v_rndne_f32_e32 v32, v13
	v_fma_f32 v31, 0x3fb8aa3b, v7, -v13
	v_sub_f32_e32 v9, v9, v24
	v_sub_f32_e32 v3, v3, v4
	;; [unrolled: 1-line block ×3, first 2 shown]
	s_delay_alu instid0(VALU_DEP_4) | instskip(SKIP_1) | instid1(VALU_DEP_4)
	v_fmac_f32_e32 v31, 0x32a5705f, v7
	v_fmac_f32_e32 v23, 0x32a5705f, v5
	v_dual_sub_f32 v13, v13, v32 :: v_dual_mul_f32 v14, 0x3fb8aa3b, v3
	v_cvt_i32_f32_e32 v24, v24
	v_cvt_i32_f32_e32 v32, v32
	s_delay_alu instid0(VALU_DEP_4) | instskip(NEXT) | instid1(VALU_DEP_4)
	v_add_f32_e32 v9, v9, v23
	v_add_f32_e32 v13, v13, v31
	v_fma_f32 v33, 0x3fb8aa3b, v3, -v14
	v_sub_f32_e32 v2, v2, v4
	v_rndne_f32_e32 v34, v14
	v_exp_f32_e32 v9, v9
	v_exp_f32_e32 v13, v13
	v_fmac_f32_e32 v33, 0x32a5705f, v3
	v_mul_f32_e32 v12, 0x3fb8aa3b, v2
	s_delay_alu instid0(VALU_DEP_1) | instskip(SKIP_3) | instid1(VALU_DEP_4)
	v_fma_f32 v29, 0x3fb8aa3b, v2, -v12
	v_sub_f32_e32 v0, v0, v4
	v_dual_sub_f32 v4, v11, v4 :: v_dual_mul_f32 v11, 0x3fb8aa3b, v6
	v_mul_f32_e32 v10, 0x3fb8aa3b, v1
	v_fmac_f32_e32 v29, 0x32a5705f, v2
	s_delay_alu instid0(VALU_DEP_4) | instskip(NEXT) | instid1(VALU_DEP_4)
	v_cmp_ngt_f32_e32 vcc_lo, 0xc2ce8ed0, v0
	v_mul_f32_e32 v15, 0x3fb8aa3b, v4
	v_fma_f32 v27, 0x3fb8aa3b, v6, -v11
	v_rndne_f32_e32 v28, v11
	v_rndne_f32_e32 v26, v10
	v_fma_f32 v25, 0x3fb8aa3b, v1, -v10
	v_fma_f32 v35, 0x3fb8aa3b, v4, -v15
	v_fmac_f32_e32 v27, 0x32a5705f, v6
	v_sub_f32_e32 v11, v11, v28
	v_mul_f32_e32 v8, 0x3fb8aa3b, v0
	v_rndne_f32_e32 v36, v15
	v_dual_sub_f32 v10, v10, v26 :: v_dual_fmac_f32 v35, 0x32a5705f, v4
	s_delay_alu instid0(VALU_DEP_4) | instskip(NEXT) | instid1(VALU_DEP_4)
	v_add_f32_e32 v11, v11, v27
	v_rndne_f32_e32 v22, v8
	s_delay_alu instid0(VALU_DEP_4) | instskip(SKIP_2) | instid1(VALU_DEP_3)
	v_sub_f32_e32 v15, v15, v36
	v_fma_f32 v21, 0x3fb8aa3b, v0, -v8
	v_dual_sub_f32 v14, v14, v34 :: v_dual_fmac_f32 v25, 0x32a5705f, v1
	v_dual_sub_f32 v8, v8, v22 :: v_dual_add_f32 v15, v15, v35
	s_delay_alu instid0(VALU_DEP_3)
	v_fmac_f32_e32 v21, 0x32a5705f, v0
	v_cvt_i32_f32_e32 v23, v36
	v_cvt_i32_f32_e32 v22, v22
	;; [unrolled: 1-line block ×3, first 2 shown]
	v_exp_f32_e32 v15, v15
	v_add_f32_e32 v8, v8, v21
	v_ldexp_f32 v9, v9, v24
	v_rndne_f32_e32 v30, v12
	v_exp_f32_e32 v11, v11
	v_cvt_i32_f32_e32 v28, v28
	v_exp_f32_e32 v8, v8
	v_ldexp_f32 v13, v13, v32
	v_sub_f32_e32 v12, v12, v30
	v_cvt_i32_f32_e32 v30, v30
	v_ldexp_f32 v15, v15, v23
	v_add_f32_e32 v10, v10, v25
	v_add_f32_e32 v14, v14, v33
	;; [unrolled: 1-line block ×3, first 2 shown]
	v_ldexp_f32 v11, v11, v28
	v_cvt_i32_f32_e32 v21, v34
	v_exp_f32_e32 v10, v10
	v_ldexp_f32 v8, v8, v22
	v_exp_f32_e32 v12, v12
	v_exp_f32_e32 v14, v14
	s_delay_alu instid0(VALU_DEP_1) | instskip(SKIP_1) | instid1(TRANS32_DEP_3)
	v_cndmask_b32_e32 v8, 0, v8, vcc_lo
	v_cmp_ngt_f32_e32 vcc_lo, 0xc2ce8ed0, v5
	v_ldexp_f32 v10, v10, v26
	v_cndmask_b32_e32 v9, 0, v9, vcc_lo
	v_cmp_ngt_f32_e32 vcc_lo, 0xc2ce8ed0, v1
	s_delay_alu instid0(TRANS32_DEP_2) | instskip(NEXT) | instid1(TRANS32_DEP_1)
	v_ldexp_f32 v12, v12, v30
	v_ldexp_f32 v14, v14, v21
	v_dual_cndmask_b32 v10, 0, v10 :: v_dual_lshlrev_b32 v21, 3, v17
	v_cmp_nlt_f32_e32 vcc_lo, 0x42b17218, v0
	v_cndmask_b32_e32 v0, 0x7f800000, v8, vcc_lo
	v_cmp_nlt_f32_e32 vcc_lo, 0x42b17218, v5
	v_cndmask_b32_e32 v5, 0x7f800000, v9, vcc_lo
	v_cmp_ngt_f32_e32 vcc_lo, 0xc2ce8ed0, v6
	s_delay_alu instid0(VALU_DEP_2)
	v_dual_add_f32 v9, v0, v5 :: v_dual_cndmask_b32 v8, 0, v11
	v_cmp_nlt_f32_e32 vcc_lo, 0x42b17218, v1
	v_cndmask_b32_e32 v1, 0x7f800000, v10, vcc_lo
	v_cmp_ngt_f32_e32 vcc_lo, 0xc2ce8ed0, v2
	v_cndmask_b32_e32 v10, 0, v12, vcc_lo
	v_cmp_nlt_f32_e32 vcc_lo, 0x42b17218, v6
	v_cndmask_b32_e32 v6, 0x7f800000, v8, vcc_lo
	v_cmp_ngt_f32_e32 vcc_lo, 0xc2ce8ed0, v7
	v_add_f32_e32 v8, v9, v1
	v_cndmask_b32_e32 v9, 0, v13, vcc_lo
	v_cmp_nlt_f32_e32 vcc_lo, 0x42b17218, v2
	s_delay_alu instid0(VALU_DEP_3) | instskip(SKIP_2) | instid1(VALU_DEP_2)
	v_add_f32_e32 v8, v8, v6
	v_cndmask_b32_e32 v2, 0x7f800000, v10, vcc_lo
	v_cmp_ngt_f32_e32 vcc_lo, 0xc2ce8ed0, v3
	v_add_f32_e32 v8, v8, v2
	v_cndmask_b32_e32 v10, 0, v14, vcc_lo
	v_cmp_nlt_f32_e32 vcc_lo, 0x42b17218, v7
	v_cndmask_b32_e32 v7, 0x7f800000, v9, vcc_lo
	v_cmp_ngt_f32_e32 vcc_lo, 0xc2ce8ed0, v4
	s_delay_alu instid0(VALU_DEP_2) | instskip(SKIP_4) | instid1(VALU_DEP_2)
	v_add_f32_e32 v8, v8, v7
	v_cndmask_b32_e32 v9, 0, v15, vcc_lo
	v_cmp_nlt_f32_e32 vcc_lo, 0x42b17218, v3
	v_cndmask_b32_e32 v3, 0x7f800000, v10, vcc_lo
	v_cmp_nlt_f32_e32 vcc_lo, 0x42b17218, v4
	v_add_f32_e32 v8, v8, v3
	v_cndmask_b32_e32 v4, 0x7f800000, v9, vcc_lo
	s_delay_alu instid0(VALU_DEP_1)
	v_add_f32_e32 v8, v8, v4
	ds_bpermute_b32 v9, v18, v8
	s_waitcnt lgkmcnt(0)
	v_add_f32_e32 v8, v8, v9
	ds_bpermute_b32 v9, v19, v8
	s_waitcnt lgkmcnt(0)
	;; [unrolled: 3-line block ×3, first 2 shown]
	v_add_f32_e32 v8, v8, v9
	s_delay_alu instid0(VALU_DEP_1) | instskip(SKIP_1) | instid1(VALU_DEP_2)
	v_div_scale_f32 v9, null, v8, v8, 1.0
	v_div_scale_f32 v12, vcc_lo, 1.0, v8, 1.0
	v_rcp_f32_e32 v10, v9
	s_waitcnt_depctr 0xfff
	v_fma_f32 v11, -v9, v10, 1.0
	s_delay_alu instid0(VALU_DEP_1) | instskip(NEXT) | instid1(VALU_DEP_1)
	v_fmac_f32_e32 v10, v11, v10
	v_mul_f32_e32 v11, v12, v10
	s_delay_alu instid0(VALU_DEP_1) | instskip(NEXT) | instid1(VALU_DEP_1)
	v_fma_f32 v13, -v9, v11, v12
	v_fmac_f32_e32 v11, v13, v10
	s_delay_alu instid0(VALU_DEP_1) | instskip(NEXT) | instid1(VALU_DEP_1)
	v_fma_f32 v9, -v9, v11, v12
	v_div_fmas_f32 v9, v9, v10, v11
	s_delay_alu instid0(VALU_DEP_1) | instskip(NEXT) | instid1(VALU_DEP_1)
	v_div_fixup_f32 v8, v9, v8, 1.0
	v_mul_f32_e32 v0, v8, v0
	v_mul_f32_e32 v5, v8, v5
	v_mul_f32_e32 v9, v8, v1
	v_mul_f32_e32 v6, v8, v6
	v_mul_f32_e32 v10, v8, v2
	v_cmp_class_f32_e64 vcc_lo, v0, 0x1f8
	v_mul_f32_e32 v7, v8, v7
	v_mul_f32_e32 v11, v8, v3
	;; [unrolled: 1-line block ×3, first 2 shown]
	v_cndmask_b32_e32 v0, 0, v0, vcc_lo
	v_cmp_class_f32_e64 vcc_lo, v5, 0x1f8
	v_cndmask_b32_e32 v1, 0, v5, vcc_lo
	v_cmp_class_f32_e64 vcc_lo, v9, 0x1f8
	;; [unrolled: 2-line block ×7, first 2 shown]
	v_cndmask_b32_e32 v7, 0, v8, vcc_lo
	s_cbranch_scc1 .LBB79_27
; %bb.4:
	v_lshlrev_b32_e32 v12, 2, v21
	s_clause 0x1
	global_load_b128 v[8:11], v12, s[2:3]
	global_load_b128 v[12:15], v12, s[2:3] offset:16
	s_waitcnt vmcnt(1)
	v_dual_add_f32 v11, v11, v3 :: v_dual_add_f32 v8, v8, v0
	v_dual_add_f32 v9, v9, v1 :: v_dual_add_f32 v10, v10, v2
	s_waitcnt vmcnt(0)
	v_dual_add_f32 v13, v13, v5 :: v_dual_add_f32 v12, v12, v4
	v_dual_add_f32 v15, v15, v7 :: v_dual_add_f32 v14, v14, v6
	s_cbranch_execnz .LBB79_6
.LBB79_5:
	v_dual_mov_b32 v15, v7 :: v_dual_mov_b32 v14, v6
	v_dual_mov_b32 v13, v5 :: v_dual_mov_b32 v12, v4
	v_dual_mov_b32 v11, v3 :: v_dual_mov_b32 v10, v2
	v_dual_mov_b32 v9, v1 :: v_dual_mov_b32 v8, v0
.LBB79_6:
	s_load_b128 s[4:7], s[0:1], 0x30
	v_cmp_eq_u32_e64 s2, 0, v17
	s_waitcnt lgkmcnt(0)
	s_bitcmp1_b32 s7, 0
	s_mov_b32 s7, 0
	s_cselect_b32 vcc_lo, -1, 0
	s_cmp_gt_i32 s4, 0
	s_cselect_b32 s3, -1, 0
	s_cmp_lt_i32 s4, 1
	s_cbranch_scc1 .LBB79_28
; %bb.7:
	s_load_b128 s[8:11], s[0:1], 0x20
	v_mul_lo_u32 v23, v16, s4
	v_mov_b32_e32 v22, 0
	v_mov_b32_e32 v24, v16
	s_branch .LBB79_10
.LBB79_8:                               ;   in Loop: Header=BB79_10 Depth=1
	s_or_b32 exec_lo, exec_lo, s1
.LBB79_9:                               ;   in Loop: Header=BB79_10 Depth=1
	v_add_nc_u32_e32 v24, s14, v24
	s_cmp_eq_u32 s4, s7
	s_cbranch_scc1 .LBB79_29
.LBB79_10:                              ; =>This Inner Loop Header: Depth=1
	v_cmp_gt_f32_e64 s0, v9, v8
	s_mov_b32 s17, exec_lo
	s_delay_alu instid0(VALU_DEP_1) | instskip(SKIP_2) | instid1(VALU_DEP_3)
	v_cndmask_b32_e64 v25, v8, v9, s0
	v_cndmask_b32_e64 v26, 0, 1, s0
	;; [unrolled: 1-line block ×3, first 2 shown]
	v_cmp_gt_f32_e64 s1, v10, v25
	s_delay_alu instid0(VALU_DEP_1) | instskip(NEXT) | instid1(VALU_DEP_4)
	v_cndmask_b32_e64 v25, v25, v10, s1
	v_cndmask_b32_e64 v26, v26, 2, s1
	s_delay_alu instid0(VALU_DEP_4) | instskip(NEXT) | instid1(VALU_DEP_3)
	v_cndmask_b32_e64 v27, v27, v2, s1
	v_cmp_gt_f32_e64 s0, v11, v25
	s_delay_alu instid0(VALU_DEP_1) | instskip(NEXT) | instid1(VALU_DEP_4)
	v_cndmask_b32_e64 v25, v25, v11, s0
	v_cndmask_b32_e64 v26, v26, 3, s0
	s_delay_alu instid0(VALU_DEP_4) | instskip(NEXT) | instid1(VALU_DEP_3)
	v_cndmask_b32_e64 v27, v27, v3, s0
	;; [unrolled: 6-line block ×4, first 2 shown]
	v_cmp_gt_f32_e64 s1, v14, v25
	s_delay_alu instid0(VALU_DEP_1) | instskip(NEXT) | instid1(VALU_DEP_4)
	v_cndmask_b32_e64 v25, v25, v14, s1
	v_cndmask_b32_e64 v26, v26, 6, s1
	s_waitcnt lgkmcnt(0)
	v_cndmask_b32_e64 v28, v27, v6, s1
	s_delay_alu instid0(VALU_DEP_3) | instskip(NEXT) | instid1(VALU_DEP_1)
	v_cmp_gt_f32_e64 s0, v15, v25
	v_cndmask_b32_e64 v27, v25, v15, s0
	v_cndmask_b32_e64 v25, v26, 7, s0
	s_delay_alu instid0(VALU_DEP_4)
	v_cndmask_b32_e64 v26, v28, v7, s0
	ds_bpermute_b32 v28, v18, v27
	v_or_b32_e32 v25, v21, v25
	ds_bpermute_b32 v30, v18, v26
	ds_bpermute_b32 v29, v18, v25
	s_waitcnt lgkmcnt(0)
	v_cmp_lt_f32_e64 s16, v27, v28
	v_cmpx_nlt_f32_e32 v27, v28
; %bb.11:                               ;   in Loop: Header=BB79_10 Depth=1
	v_cmp_eq_f32_e64 s0, v27, v28
	v_cmp_lt_i32_e64 s1, v29, v25
	s_delay_alu instid0(VALU_DEP_1) | instskip(SKIP_2) | instid1(SALU_CYCLE_1)
	s_and_b32 s0, s0, s1
	s_and_not1_b32 s1, s16, exec_lo
	s_and_b32 s0, s0, exec_lo
	s_or_b32 s16, s1, s0
; %bb.12:                               ;   in Loop: Header=BB79_10 Depth=1
	s_or_b32 exec_lo, exec_lo, s17
	s_and_saveexec_b32 s0, s16
; %bb.13:                               ;   in Loop: Header=BB79_10 Depth=1
	v_dual_mov_b32 v26, v30 :: v_dual_mov_b32 v27, v28
	v_mov_b32_e32 v25, v29
; %bb.14:                               ;   in Loop: Header=BB79_10 Depth=1
	s_or_b32 exec_lo, exec_lo, s0
	ds_bpermute_b32 v29, v19, v27
	ds_bpermute_b32 v30, v19, v26
	;; [unrolled: 1-line block ×3, first 2 shown]
	s_mov_b32 s17, exec_lo
	s_waitcnt lgkmcnt(2)
	v_cmp_lt_f32_e64 s16, v27, v29
	v_cmpx_nlt_f32_e32 v27, v29
	s_cbranch_execz .LBB79_16
; %bb.15:                               ;   in Loop: Header=BB79_10 Depth=1
	v_cmp_eq_f32_e64 s0, v27, v29
	s_waitcnt lgkmcnt(0)
	v_cmp_lt_i32_e64 s1, v28, v25
	s_delay_alu instid0(VALU_DEP_1) | instskip(SKIP_2) | instid1(SALU_CYCLE_1)
	s_and_b32 s0, s0, s1
	s_and_not1_b32 s1, s16, exec_lo
	s_and_b32 s0, s0, exec_lo
	s_or_b32 s16, s1, s0
.LBB79_16:                              ;   in Loop: Header=BB79_10 Depth=1
	s_or_b32 exec_lo, exec_lo, s17
	s_delay_alu instid0(VALU_DEP_2)
	s_and_saveexec_b32 s0, s16
	s_cbranch_execz .LBB79_18
; %bb.17:                               ;   in Loop: Header=BB79_10 Depth=1
	s_waitcnt lgkmcnt(1)
	v_dual_mov_b32 v26, v30 :: v_dual_mov_b32 v27, v29
	s_waitcnt lgkmcnt(0)
	v_mov_b32_e32 v25, v28
.LBB79_18:                              ;   in Loop: Header=BB79_10 Depth=1
	s_or_b32 exec_lo, exec_lo, s0
	s_waitcnt lgkmcnt(1)
	ds_bpermute_b32 v30, v20, v27
	ds_bpermute_b32 v29, v20, v26
	s_waitcnt lgkmcnt(2)
	ds_bpermute_b32 v28, v20, v25
	s_mov_b32 s17, exec_lo
	s_waitcnt lgkmcnt(2)
	v_cmp_lt_f32_e64 s16, v27, v30
	v_cmpx_nlt_f32_e32 v27, v30
	s_cbranch_execnz .LBB79_22
; %bb.19:                               ;   in Loop: Header=BB79_10 Depth=1
	s_or_b32 exec_lo, exec_lo, s17
	s_delay_alu instid0(VALU_DEP_2)
	s_and_saveexec_b32 s0, s16
	s_cbranch_execnz .LBB79_23
.LBB79_20:                              ;   in Loop: Header=BB79_10 Depth=1
	s_or_b32 exec_lo, exec_lo, s0
	s_and_saveexec_b32 s16, s2
	s_cbranch_execnz .LBB79_24
.LBB79_21:                              ;   in Loop: Header=BB79_10 Depth=1
	s_or_b32 exec_lo, exec_lo, s16
	s_add_i32 s7, s7, 1
	s_delay_alu instid0(SALU_CYCLE_1)
	s_cmp_ge_i32 s7, s4
	s_cbranch_scc1 .LBB79_9
	s_branch .LBB79_25
.LBB79_22:                              ;   in Loop: Header=BB79_10 Depth=1
	v_cmp_eq_f32_e64 s0, v27, v30
	s_waitcnt lgkmcnt(0)
	v_cmp_lt_i32_e64 s1, v28, v25
	s_delay_alu instid0(VALU_DEP_1) | instskip(SKIP_2) | instid1(SALU_CYCLE_1)
	s_and_b32 s0, s0, s1
	s_and_not1_b32 s1, s16, exec_lo
	s_and_b32 s0, s0, exec_lo
	s_or_b32 s16, s1, s0
	s_or_b32 exec_lo, exec_lo, s17
	s_and_saveexec_b32 s0, s16
	s_cbranch_execz .LBB79_20
.LBB79_23:                              ;   in Loop: Header=BB79_10 Depth=1
	s_waitcnt lgkmcnt(0)
	v_dual_mov_b32 v26, v29 :: v_dual_mov_b32 v25, v28
	s_or_b32 exec_lo, exec_lo, s0
	s_and_saveexec_b32 s16, s2
	s_cbranch_execz .LBB79_21
.LBB79_24:                              ;   in Loop: Header=BB79_10 Depth=1
	s_delay_alu instid0(VALU_DEP_1)
	v_dual_add_f32 v34, v22, v26 :: v_dual_add_nc_u32 v27, s7, v23
	v_cmp_le_i32_e64 s0, s5, v25
	v_cmp_gt_i32_e64 s1, s6, v25
	s_waitcnt lgkmcnt(1)
	v_subrev_nc_u32_e32 v29, s5, v25
	s_waitcnt lgkmcnt(0)
	v_ashrrev_i32_e32 v28, 31, v27
	v_cndmask_b32_e32 v22, v22, v34, vcc_lo
	s_and_b32 s0, s0, s1
	s_delay_alu instid0(SALU_CYCLE_1) | instskip(NEXT) | instid1(VALU_DEP_2)
	s_and_b32 s0, s15, s0
	v_lshlrev_b64 v[27:28], 2, v[27:28]
	v_cndmask_b32_e64 v33, 64, v29, s0
	s_delay_alu instid0(VALU_DEP_2) | instskip(NEXT) | instid1(VALU_DEP_1)
	v_add_co_u32 v29, s0, s12, v27
	v_add_co_ci_u32_e64 v30, s0, s13, v28, s0
	v_add_co_u32 v31, s0, s8, v27
	s_delay_alu instid0(VALU_DEP_1) | instskip(SKIP_1) | instid1(VALU_DEP_1)
	v_add_co_ci_u32_e64 v32, s0, s9, v28, s0
	v_add_co_u32 v27, s0, s10, v27
	v_add_co_ci_u32_e64 v28, s0, s11, v28, s0
	global_store_b32 v[29:30], v26, off
	global_store_b32 v[31:32], v33, off
	;; [unrolled: 1-line block ×3, first 2 shown]
	s_or_b32 exec_lo, exec_lo, s16
	s_add_i32 s7, s7, 1
	s_delay_alu instid0(SALU_CYCLE_1)
	s_cmp_ge_i32 s7, s4
	s_cbranch_scc1 .LBB79_9
.LBB79_25:                              ;   in Loop: Header=BB79_10 Depth=1
	v_ashrrev_i32_e32 v27, 31, v25
	s_mov_b32 s1, exec_lo
	s_delay_alu instid0(VALU_DEP_1) | instskip(NEXT) | instid1(VALU_DEP_1)
	v_lshrrev_b32_e32 v26, 29, v27
	v_add_nc_u32_e32 v26, v25, v26
	s_delay_alu instid0(VALU_DEP_1) | instskip(SKIP_1) | instid1(VALU_DEP_1)
	v_ashrrev_i32_e32 v26, 3, v26
	s_waitcnt lgkmcnt(0)
	v_lshrrev_b32_e32 v28, 29, v26
	s_delay_alu instid0(VALU_DEP_1) | instskip(NEXT) | instid1(VALU_DEP_1)
	v_add_nc_u32_e32 v28, v26, v28
	v_and_b32_e32 v28, -8, v28
	s_delay_alu instid0(VALU_DEP_1) | instskip(NEXT) | instid1(VALU_DEP_1)
	v_sub_nc_u32_e32 v28, v26, v28
	v_cmpx_eq_u32_e64 v17, v28
	s_cbranch_execz .LBB79_8
; %bb.26:                               ;   in Loop: Header=BB79_10 Depth=1
	v_lshrrev_b32_e32 v27, 26, v27
	v_lshlrev_b32_e32 v26, 3, v26
	s_delay_alu instid0(VALU_DEP_2) | instskip(NEXT) | instid1(VALU_DEP_2)
	v_add_nc_u32_e32 v27, v25, v27
	v_sub_nc_u32_e32 v25, v25, v26
	s_delay_alu instid0(VALU_DEP_2) | instskip(NEXT) | instid1(VALU_DEP_1)
	v_ashrrev_i32_e32 v26, 6, v27
	v_lshl_add_u32 v25, v26, 3, v25
	s_delay_alu instid0(VALU_DEP_1) | instskip(NEXT) | instid1(VALU_DEP_1)
	v_cmp_ne_u32_e64 s0, 7, v25
	v_cndmask_b32_e64 v15, 0xc61c4000, v15, s0
	v_cmp_ne_u32_e64 s0, 6, v25
	s_delay_alu instid0(VALU_DEP_1) | instskip(SKIP_1) | instid1(VALU_DEP_1)
	v_cndmask_b32_e64 v14, 0xc61c4000, v14, s0
	v_cmp_ne_u32_e64 s0, 5, v25
	v_cndmask_b32_e64 v13, 0xc61c4000, v13, s0
	v_cmp_ne_u32_e64 s0, 4, v25
	s_delay_alu instid0(VALU_DEP_1) | instskip(SKIP_1) | instid1(VALU_DEP_1)
	v_cndmask_b32_e64 v12, 0xc61c4000, v12, s0
	;; [unrolled: 5-line block ×3, first 2 shown]
	v_cmp_ne_u32_e64 s0, 1, v25
	v_cndmask_b32_e64 v9, 0xc61c4000, v9, s0
	v_cmp_ne_u32_e64 s0, 0, v25
	s_delay_alu instid0(VALU_DEP_1)
	v_cndmask_b32_e64 v8, 0xc61c4000, v8, s0
	s_branch .LBB79_8
.LBB79_27:
                                        ; implicit-def: $vgpr8_vgpr9_vgpr10_vgpr11_vgpr12_vgpr13_vgpr14_vgpr15
	s_and_not1_b32 vcc_lo, exec_lo, s8
	s_cbranch_vccz .LBB79_5
	s_branch .LBB79_6
.LBB79_28:
	v_mov_b32_e32 v22, 0
.LBB79_29:
	v_cmp_eq_u32_e64 s0, 0, v17
	s_delay_alu instid0(VALU_DEP_1) | instskip(NEXT) | instid1(SALU_CYCLE_1)
	s_and_b32 s0, s0, vcc_lo
	s_and_b32 exec_lo, exec_lo, s0
	s_cbranch_execz .LBB79_33
; %bb.30:
	s_and_not1_b32 vcc_lo, exec_lo, s3
	s_cbranch_vccnz .LBB79_33
; %bb.31:
	v_mul_lo_u32 v0, v16, s4
	v_cmp_lt_f32_e32 vcc_lo, 0, v22
	v_cndmask_b32_e32 v2, 1.0, v22, vcc_lo
	s_delay_alu instid0(VALU_DEP_3) | instskip(NEXT) | instid1(VALU_DEP_1)
	v_ashrrev_i32_e32 v1, 31, v0
	v_lshlrev_b64 v[0:1], 2, v[0:1]
	s_delay_alu instid0(VALU_DEP_1) | instskip(NEXT) | instid1(VALU_DEP_2)
	v_add_co_u32 v0, vcc_lo, s12, v0
	v_add_co_ci_u32_e32 v1, vcc_lo, s13, v1, vcc_lo
	.p2align	6
.LBB79_32:                              ; =>This Inner Loop Header: Depth=1
	global_load_b32 v3, v[0:1], off
	s_add_i32 s4, s4, -1
	s_delay_alu instid0(SALU_CYCLE_1) | instskip(SKIP_3) | instid1(VALU_DEP_2)
	s_cmp_lg_u32 s4, 0
	s_waitcnt vmcnt(0)
	v_div_scale_f32 v4, null, v2, v2, v3
	v_div_scale_f32 v7, vcc_lo, v3, v2, v3
	v_rcp_f32_e32 v5, v4
	s_waitcnt_depctr 0xfff
	v_fma_f32 v6, -v4, v5, 1.0
	s_delay_alu instid0(VALU_DEP_1) | instskip(NEXT) | instid1(VALU_DEP_1)
	v_fmac_f32_e32 v5, v6, v5
	v_mul_f32_e32 v6, v7, v5
	s_delay_alu instid0(VALU_DEP_1) | instskip(NEXT) | instid1(VALU_DEP_1)
	v_fma_f32 v8, -v4, v6, v7
	v_fmac_f32_e32 v6, v8, v5
	s_delay_alu instid0(VALU_DEP_1) | instskip(NEXT) | instid1(VALU_DEP_1)
	v_fma_f32 v4, -v4, v6, v7
	v_div_fmas_f32 v4, v4, v5, v6
	s_delay_alu instid0(VALU_DEP_1)
	v_div_fixup_f32 v3, v4, v2, v3
	global_store_b32 v[0:1], v3, off
	v_add_co_u32 v0, vcc_lo, v0, 4
	v_add_co_ci_u32_e32 v1, vcc_lo, 0, v1, vcc_lo
	s_cbranch_scc1 .LBB79_32
.LBB79_33:
	s_nop 0
	s_sendmsg sendmsg(MSG_DEALLOC_VGPRS)
	s_endpgm
	.section	.rodata,"a",@progbits
	.p2align	6, 0x0
	.amdhsa_kernel _ZN4vllm3moe10topkGatingILi8ELi64ELi4ELi16ELi32Ei6__halfLNS0_11ScoringFuncE0EEEvPKT5_PKbPfiPT4_PiiiibPKf
		.amdhsa_group_segment_fixed_size 0
		.amdhsa_private_segment_fixed_size 0
		.amdhsa_kernarg_size 72
		.amdhsa_user_sgpr_count 15
		.amdhsa_user_sgpr_dispatch_ptr 0
		.amdhsa_user_sgpr_queue_ptr 0
		.amdhsa_user_sgpr_kernarg_segment_ptr 1
		.amdhsa_user_sgpr_dispatch_id 0
		.amdhsa_user_sgpr_private_segment_size 0
		.amdhsa_wavefront_size32 1
		.amdhsa_uses_dynamic_stack 0
		.amdhsa_enable_private_segment 0
		.amdhsa_system_sgpr_workgroup_id_x 1
		.amdhsa_system_sgpr_workgroup_id_y 0
		.amdhsa_system_sgpr_workgroup_id_z 0
		.amdhsa_system_sgpr_workgroup_info 0
		.amdhsa_system_vgpr_workitem_id 1
		.amdhsa_next_free_vgpr 37
		.amdhsa_next_free_sgpr 18
		.amdhsa_reserve_vcc 1
		.amdhsa_float_round_mode_32 0
		.amdhsa_float_round_mode_16_64 0
		.amdhsa_float_denorm_mode_32 3
		.amdhsa_float_denorm_mode_16_64 3
		.amdhsa_dx10_clamp 1
		.amdhsa_ieee_mode 1
		.amdhsa_fp16_overflow 0
		.amdhsa_workgroup_processor_mode 1
		.amdhsa_memory_ordered 1
		.amdhsa_forward_progress 0
		.amdhsa_shared_vgpr_count 0
		.amdhsa_exception_fp_ieee_invalid_op 0
		.amdhsa_exception_fp_denorm_src 0
		.amdhsa_exception_fp_ieee_div_zero 0
		.amdhsa_exception_fp_ieee_overflow 0
		.amdhsa_exception_fp_ieee_underflow 0
		.amdhsa_exception_fp_ieee_inexact 0
		.amdhsa_exception_int_div_zero 0
	.end_amdhsa_kernel
	.section	.text._ZN4vllm3moe10topkGatingILi8ELi64ELi4ELi16ELi32Ei6__halfLNS0_11ScoringFuncE0EEEvPKT5_PKbPfiPT4_PiiiibPKf,"axG",@progbits,_ZN4vllm3moe10topkGatingILi8ELi64ELi4ELi16ELi32Ei6__halfLNS0_11ScoringFuncE0EEEvPKT5_PKbPfiPT4_PiiiibPKf,comdat
.Lfunc_end79:
	.size	_ZN4vllm3moe10topkGatingILi8ELi64ELi4ELi16ELi32Ei6__halfLNS0_11ScoringFuncE0EEEvPKT5_PKbPfiPT4_PiiiibPKf, .Lfunc_end79-_ZN4vllm3moe10topkGatingILi8ELi64ELi4ELi16ELi32Ei6__halfLNS0_11ScoringFuncE0EEEvPKT5_PKbPfiPT4_PiiiibPKf
                                        ; -- End function
	.section	.AMDGPU.csdata,"",@progbits
; Kernel info:
; codeLenInByte = 3180
; NumSgprs: 20
; NumVgprs: 37
; ScratchSize: 0
; MemoryBound: 0
; FloatMode: 240
; IeeeMode: 1
; LDSByteSize: 0 bytes/workgroup (compile time only)
; SGPRBlocks: 2
; VGPRBlocks: 4
; NumSGPRsForWavesPerEU: 20
; NumVGPRsForWavesPerEU: 37
; Occupancy: 16
; WaveLimiterHint : 0
; COMPUTE_PGM_RSRC2:SCRATCH_EN: 0
; COMPUTE_PGM_RSRC2:USER_SGPR: 15
; COMPUTE_PGM_RSRC2:TRAP_HANDLER: 0
; COMPUTE_PGM_RSRC2:TGID_X_EN: 1
; COMPUTE_PGM_RSRC2:TGID_Y_EN: 0
; COMPUTE_PGM_RSRC2:TGID_Z_EN: 0
; COMPUTE_PGM_RSRC2:TIDIG_COMP_CNT: 1
	.section	.text._ZN4vllm3moe10topkGatingILi8ELi128ELi4ELi16ELi64Ei6__halfLNS0_11ScoringFuncE0EEEvPKT5_PKbPfiPT4_PiiiibPKf,"axG",@progbits,_ZN4vllm3moe10topkGatingILi8ELi128ELi4ELi16ELi64Ei6__halfLNS0_11ScoringFuncE0EEEvPKT5_PKbPfiPT4_PiiiibPKf,comdat
	.protected	_ZN4vllm3moe10topkGatingILi8ELi128ELi4ELi16ELi64Ei6__halfLNS0_11ScoringFuncE0EEEvPKT5_PKbPfiPT4_PiiiibPKf ; -- Begin function _ZN4vllm3moe10topkGatingILi8ELi128ELi4ELi16ELi64Ei6__halfLNS0_11ScoringFuncE0EEEvPKT5_PKbPfiPT4_PiiiibPKf
	.globl	_ZN4vllm3moe10topkGatingILi8ELi128ELi4ELi16ELi64Ei6__halfLNS0_11ScoringFuncE0EEEvPKT5_PKbPfiPT4_PiiiibPKf
	.p2align	8
	.type	_ZN4vllm3moe10topkGatingILi8ELi128ELi4ELi16ELi64Ei6__halfLNS0_11ScoringFuncE0EEEvPKT5_PKbPfiPT4_PiiiibPKf,@function
_ZN4vllm3moe10topkGatingILi8ELi128ELi4ELi16ELi64Ei6__halfLNS0_11ScoringFuncE0EEEvPKT5_PKbPfiPT4_PiiiibPKf: ; @_ZN4vllm3moe10topkGatingILi8ELi128ELi4ELi16ELi64Ei6__halfLNS0_11ScoringFuncE0EEEvPKT5_PKbPfiPT4_PiiiibPKf
; %bb.0:
	s_load_b32 s14, s[0:1], 0x18
	v_bfe_u32 v1, v0, 10, 10
	v_and_b32_e32 v0, 0x3ff, v0
	s_lshl_b32 s2, s15, 4
	s_delay_alu instid0(VALU_DEP_2) | instskip(NEXT) | instid1(VALU_DEP_2)
	v_lshlrev_b32_e32 v1, 2, v1
	v_lshrrev_b32_e32 v2, 4, v0
	s_delay_alu instid0(VALU_DEP_1) | instskip(SKIP_2) | instid1(VALU_DEP_1)
	v_add3_u32 v16, s2, v1, v2
	s_mov_b32 s2, exec_lo
	s_waitcnt lgkmcnt(0)
	v_cmpx_gt_i32_e64 s14, v16
	s_cbranch_execz .LBB80_37
; %bb.1:
	s_clause 0x1
	s_load_b128 s[4:7], s[0:1], 0x0
	s_load_b64 s[12:13], s[0:1], 0x10
	s_mov_b32 s8, -1
	s_mov_b32 s15, -1
	s_waitcnt lgkmcnt(0)
	s_cmp_eq_u64 s[6:7], 0
	s_cbranch_scc1 .LBB80_3
; %bb.2:
	v_ashrrev_i32_e32 v2, 31, v16
	v_add_co_u32 v1, vcc_lo, s6, v16
	s_delay_alu instid0(VALU_DEP_2) | instskip(SKIP_3) | instid1(VALU_DEP_1)
	v_add_co_ci_u32_e32 v2, vcc_lo, s7, v2, vcc_lo
	global_load_u8 v1, v[1:2], off
	s_waitcnt vmcnt(0)
	v_and_b32_e32 v1, 1, v1
	v_cmp_eq_u32_e32 vcc_lo, 1, v1
	s_xor_b32 s2, vcc_lo, -1
	s_delay_alu instid0(SALU_CYCLE_1)
	s_or_not1_b32 s15, s2, exec_lo
.LBB80_3:
	v_lshlrev_b32_e32 v1, 7, v16
	v_and_b32_e32 v17, 15, v0
	v_mbcnt_lo_u32_b32 v4, -1, 0
	s_load_b64 s[2:3], s[0:1], 0x40
	s_delay_alu instid0(VALU_DEP_3) | instskip(NEXT) | instid1(VALU_DEP_2)
	v_ashrrev_i32_e32 v2, 31, v1
	v_and_b32_e32 v6, 16, v4
	v_xor_b32_e32 v8, 8, v4
	v_xor_b32_e32 v12, 4, v4
	s_delay_alu instid0(VALU_DEP_4) | instskip(SKIP_1) | instid1(VALU_DEP_2)
	v_lshlrev_b64 v[0:1], 1, v[1:2]
	v_lshlrev_b32_e32 v2, 4, v17
	v_add_co_u32 v0, vcc_lo, s4, v0
	s_delay_alu instid0(VALU_DEP_3) | instskip(NEXT) | instid1(VALU_DEP_2)
	v_add_co_ci_u32_e32 v1, vcc_lo, s5, v1, vcc_lo
	v_add_co_u32 v0, vcc_lo, v0, v2
	s_delay_alu instid0(VALU_DEP_2)
	v_add_co_ci_u32_e32 v1, vcc_lo, 0, v1, vcc_lo
	s_waitcnt lgkmcnt(0)
	s_cmp_eq_u64 s[2:3], 0
	global_load_b128 v[0:3], v[0:1], off
	s_waitcnt vmcnt(0)
	v_lshrrev_b32_e32 v5, 16, v0
	v_cvt_f32_f16_e32 v0, v0
	v_lshrrev_b32_e32 v7, 16, v1
	v_cvt_f32_f16_e32 v1, v1
	v_lshrrev_b32_e32 v9, 16, v2
	v_cvt_f32_f16_e32 v5, v5
	v_add_nc_u32_e32 v6, 16, v6
	v_cvt_f32_f16_e32 v7, v7
	v_cvt_f32_f16_e32 v2, v2
	v_lshrrev_b32_e32 v11, 16, v3
	v_max_f32_e32 v10, v0, v5
	v_cvt_f32_f16_e32 v9, v9
	v_cmp_lt_i32_e32 vcc_lo, v8, v6
	v_cvt_f32_f16_e32 v3, v3
	v_cvt_f32_f16_e32 v11, v11
	v_max3_f32 v10, v10, v1, v7
	v_cndmask_b32_e32 v8, v4, v8, vcc_lo
	v_cmp_lt_i32_e32 vcc_lo, v12, v6
	s_delay_alu instid0(VALU_DEP_3) | instskip(NEXT) | instid1(VALU_DEP_3)
	v_max3_f32 v10, v10, v2, v9
	v_lshlrev_b32_e32 v18, 2, v8
	v_cndmask_b32_e32 v12, v4, v12, vcc_lo
	s_delay_alu instid0(VALU_DEP_3) | instskip(SKIP_4) | instid1(VALU_DEP_2)
	v_max3_f32 v8, v10, v3, v11
	ds_bpermute_b32 v10, v18, v8
	s_waitcnt lgkmcnt(0)
	v_dual_max_f32 v10, v10, v10 :: v_dual_lshlrev_b32 v19, 2, v12
	v_xor_b32_e32 v12, 2, v4
	v_max_f32_e32 v8, v8, v10
	s_delay_alu instid0(VALU_DEP_2) | instskip(SKIP_2) | instid1(VALU_DEP_1)
	v_cmp_lt_i32_e32 vcc_lo, v12, v6
	ds_bpermute_b32 v10, v19, v8
	v_cndmask_b32_e32 v12, v4, v12, vcc_lo
	v_lshlrev_b32_e32 v20, 2, v12
	v_xor_b32_e32 v12, 1, v4
	s_delay_alu instid0(VALU_DEP_1) | instskip(SKIP_2) | instid1(VALU_DEP_1)
	v_cmp_lt_i32_e32 vcc_lo, v12, v6
	v_cndmask_b32_e32 v4, v4, v12, vcc_lo
	s_waitcnt lgkmcnt(0)
	v_dual_max_f32 v10, v10, v10 :: v_dual_lshlrev_b32 v21, 2, v4
	s_delay_alu instid0(VALU_DEP_1) | instskip(SKIP_3) | instid1(VALU_DEP_1)
	v_max_f32_e32 v8, v8, v10
	ds_bpermute_b32 v10, v20, v8
	s_waitcnt lgkmcnt(0)
	v_max_f32_e32 v6, v10, v10
	v_max_f32_e32 v4, v8, v6
	ds_bpermute_b32 v6, v21, v4
	s_waitcnt lgkmcnt(0)
	v_max_f32_e32 v6, v6, v6
	s_delay_alu instid0(VALU_DEP_1) | instskip(NEXT) | instid1(VALU_DEP_1)
	v_max_f32_e32 v4, v4, v6
	v_sub_f32_e32 v5, v5, v4
	v_sub_f32_e32 v6, v7, v4
	;; [unrolled: 1-line block ×5, first 2 shown]
	v_mul_f32_e32 v9, 0x3fb8aa3b, v5
	s_delay_alu instid0(VALU_DEP_4) | instskip(NEXT) | instid1(VALU_DEP_3)
	v_mul_f32_e32 v13, 0x3fb8aa3b, v7
	v_mul_f32_e32 v14, 0x3fb8aa3b, v3
	s_delay_alu instid0(VALU_DEP_3) | instskip(SKIP_1) | instid1(VALU_DEP_4)
	v_fma_f32 v24, 0x3fb8aa3b, v5, -v9
	v_rndne_f32_e32 v25, v9
	v_fma_f32 v32, 0x3fb8aa3b, v7, -v13
	v_rndne_f32_e32 v33, v13
	v_fma_f32 v34, 0x3fb8aa3b, v3, -v14
	v_fmac_f32_e32 v24, 0x32a5705f, v5
	s_delay_alu instid0(VALU_DEP_4) | instskip(NEXT) | instid1(VALU_DEP_4)
	v_dual_sub_f32 v9, v9, v25 :: v_dual_fmac_f32 v32, 0x32a5705f, v7
	v_sub_f32_e32 v13, v13, v33
	v_mul_f32_e32 v10, 0x3fb8aa3b, v1
	v_cvt_i32_f32_e32 v25, v25
	s_delay_alu instid0(VALU_DEP_4)
	v_add_f32_e32 v9, v9, v24
	v_cvt_i32_f32_e32 v33, v33
	v_add_f32_e32 v13, v13, v32
	v_fma_f32 v26, 0x3fb8aa3b, v1, -v10
	v_rndne_f32_e32 v27, v10
	v_exp_f32_e32 v9, v9
	v_rndne_f32_e32 v35, v14
	v_exp_f32_e32 v13, v13
	v_fmac_f32_e32 v26, 0x32a5705f, v1
	v_sub_f32_e32 v10, v10, v27
	v_cvt_i32_f32_e32 v27, v27
	v_fmac_f32_e32 v34, 0x32a5705f, v3
	v_sub_f32_e32 v14, v14, v35
	s_delay_alu instid0(VALU_DEP_4) | instskip(NEXT) | instid1(TRANS32_DEP_2)
	v_add_f32_e32 v10, v10, v26
	v_ldexp_f32 v9, v9, v25
	v_sub_f32_e32 v0, v0, v4
	s_delay_alu instid0(TRANS32_DEP_1) | instskip(SKIP_2) | instid1(VALU_DEP_3)
	v_ldexp_f32 v13, v13, v33
	v_add_f32_e32 v14, v14, v34
	v_exp_f32_e32 v10, v10
	v_mul_f32_e32 v8, 0x3fb8aa3b, v0
	v_cmp_ngt_f32_e32 vcc_lo, 0xc2ce8ed0, v0
	s_delay_alu instid0(VALU_DEP_3) | instskip(NEXT) | instid1(VALU_DEP_2)
	v_exp_f32_e32 v14, v14
	v_fma_f32 v22, 0x3fb8aa3b, v0, -v8
	v_rndne_f32_e32 v23, v8
	s_waitcnt_depctr 0xfff
	v_ldexp_f32 v10, v10, v27
	v_fmac_f32_e32 v22, 0x32a5705f, v0
	v_sub_f32_e32 v8, v8, v23
	v_cvt_i32_f32_e32 v23, v23
	s_delay_alu instid0(VALU_DEP_2) | instskip(SKIP_1) | instid1(VALU_DEP_2)
	v_add_f32_e32 v8, v8, v22
	v_cvt_i32_f32_e32 v22, v35
	v_exp_f32_e32 v8, v8
	s_delay_alu instid0(VALU_DEP_1) | instskip(SKIP_3) | instid1(VALU_DEP_1)
	v_ldexp_f32 v14, v14, v22
	v_lshlrev_b32_e32 v22, 3, v17
	s_waitcnt_depctr 0xfff
	v_ldexp_f32 v8, v8, v23
	v_cndmask_b32_e32 v8, 0, v8, vcc_lo
	v_cmp_ngt_f32_e32 vcc_lo, 0xc2ce8ed0, v5
	v_cndmask_b32_e32 v9, 0, v9, vcc_lo
	v_cmp_ngt_f32_e32 vcc_lo, 0xc2ce8ed0, v1
	v_cndmask_b32_e32 v10, 0, v10, vcc_lo
	v_cmp_nlt_f32_e32 vcc_lo, 0x42b17218, v0
	v_sub_f32_e32 v2, v2, v4
	v_cndmask_b32_e32 v0, 0x7f800000, v8, vcc_lo
	v_cmp_nlt_f32_e32 vcc_lo, 0x42b17218, v5
	v_dual_cndmask_b32 v5, 0x7f800000, v9 :: v_dual_sub_f32 v4, v11, v4
	v_mul_f32_e32 v11, 0x3fb8aa3b, v6
	v_cmp_ngt_f32_e32 vcc_lo, 0xc2ce8ed0, v6
	s_delay_alu instid0(VALU_DEP_3) | instskip(NEXT) | instid1(VALU_DEP_4)
	v_add_f32_e32 v9, v0, v5
	v_mul_f32_e32 v15, 0x3fb8aa3b, v4
	s_delay_alu instid0(VALU_DEP_4) | instskip(SKIP_1) | instid1(VALU_DEP_3)
	v_fma_f32 v28, 0x3fb8aa3b, v6, -v11
	v_rndne_f32_e32 v29, v11
	v_fma_f32 v36, 0x3fb8aa3b, v4, -v15
	s_delay_alu instid0(VALU_DEP_2) | instskip(SKIP_2) | instid1(VALU_DEP_4)
	v_dual_fmac_f32 v28, 0x32a5705f, v6 :: v_dual_sub_f32 v11, v11, v29
	v_cvt_i32_f32_e32 v29, v29
	v_rndne_f32_e32 v37, v15
	v_fmac_f32_e32 v36, 0x32a5705f, v4
	s_delay_alu instid0(VALU_DEP_4) | instskip(NEXT) | instid1(VALU_DEP_3)
	v_add_f32_e32 v11, v11, v28
	v_sub_f32_e32 v15, v15, v37
	v_cvt_i32_f32_e32 v24, v37
	s_delay_alu instid0(VALU_DEP_3) | instskip(NEXT) | instid1(VALU_DEP_2)
	v_exp_f32_e32 v11, v11
	v_add_f32_e32 v15, v15, v36
	s_delay_alu instid0(VALU_DEP_1) | instskip(SKIP_2) | instid1(VALU_DEP_1)
	v_exp_f32_e32 v15, v15
	s_waitcnt_depctr 0xfff
	v_ldexp_f32 v11, v11, v29
	v_cndmask_b32_e32 v8, 0, v11, vcc_lo
	v_cmp_nlt_f32_e32 vcc_lo, 0x42b17218, v1
	v_ldexp_f32 v15, v15, v24
	v_cndmask_b32_e32 v1, 0x7f800000, v10, vcc_lo
	v_mul_f32_e32 v12, 0x3fb8aa3b, v2
	v_cmp_ngt_f32_e32 vcc_lo, 0xc2ce8ed0, v2
	s_delay_alu instid0(VALU_DEP_2) | instskip(SKIP_1) | instid1(VALU_DEP_2)
	v_fma_f32 v30, 0x3fb8aa3b, v2, -v12
	v_rndne_f32_e32 v31, v12
	v_fmac_f32_e32 v30, 0x32a5705f, v2
	s_delay_alu instid0(VALU_DEP_2) | instskip(SKIP_1) | instid1(VALU_DEP_2)
	v_sub_f32_e32 v12, v12, v31
	v_cvt_i32_f32_e32 v31, v31
	v_add_f32_e32 v12, v12, v30
	s_delay_alu instid0(VALU_DEP_1) | instskip(SKIP_2) | instid1(VALU_DEP_1)
	v_exp_f32_e32 v12, v12
	s_waitcnt_depctr 0xfff
	v_ldexp_f32 v12, v12, v31
	v_cndmask_b32_e32 v10, 0, v12, vcc_lo
	v_cmp_nlt_f32_e32 vcc_lo, 0x42b17218, v6
	v_cndmask_b32_e32 v6, 0x7f800000, v8, vcc_lo
	v_cmp_ngt_f32_e32 vcc_lo, 0xc2ce8ed0, v7
	v_add_f32_e32 v8, v9, v1
	v_cndmask_b32_e32 v9, 0, v13, vcc_lo
	v_cmp_nlt_f32_e32 vcc_lo, 0x42b17218, v2
	s_delay_alu instid0(VALU_DEP_3) | instskip(SKIP_2) | instid1(VALU_DEP_2)
	v_add_f32_e32 v8, v8, v6
	v_cndmask_b32_e32 v2, 0x7f800000, v10, vcc_lo
	v_cmp_ngt_f32_e32 vcc_lo, 0xc2ce8ed0, v3
	v_add_f32_e32 v8, v8, v2
	v_cndmask_b32_e32 v10, 0, v14, vcc_lo
	v_cmp_nlt_f32_e32 vcc_lo, 0x42b17218, v7
	v_cndmask_b32_e32 v7, 0x7f800000, v9, vcc_lo
	v_cmp_ngt_f32_e32 vcc_lo, 0xc2ce8ed0, v4
	s_delay_alu instid0(VALU_DEP_2) | instskip(SKIP_4) | instid1(VALU_DEP_2)
	v_add_f32_e32 v8, v8, v7
	v_cndmask_b32_e32 v9, 0, v15, vcc_lo
	v_cmp_nlt_f32_e32 vcc_lo, 0x42b17218, v3
	v_cndmask_b32_e32 v3, 0x7f800000, v10, vcc_lo
	v_cmp_nlt_f32_e32 vcc_lo, 0x42b17218, v4
	v_add_f32_e32 v8, v8, v3
	v_cndmask_b32_e32 v4, 0x7f800000, v9, vcc_lo
	s_delay_alu instid0(VALU_DEP_1)
	v_add_f32_e32 v8, v8, v4
	ds_bpermute_b32 v9, v18, v8
	s_waitcnt lgkmcnt(0)
	v_add_f32_e32 v8, v8, v9
	ds_bpermute_b32 v9, v19, v8
	s_waitcnt lgkmcnt(0)
	;; [unrolled: 3-line block ×4, first 2 shown]
	v_add_f32_e32 v8, v8, v9
	s_delay_alu instid0(VALU_DEP_1) | instskip(SKIP_1) | instid1(VALU_DEP_2)
	v_div_scale_f32 v9, null, v8, v8, 1.0
	v_div_scale_f32 v12, vcc_lo, 1.0, v8, 1.0
	v_rcp_f32_e32 v10, v9
	s_waitcnt_depctr 0xfff
	v_fma_f32 v11, -v9, v10, 1.0
	s_delay_alu instid0(VALU_DEP_1) | instskip(NEXT) | instid1(VALU_DEP_1)
	v_fmac_f32_e32 v10, v11, v10
	v_mul_f32_e32 v11, v12, v10
	s_delay_alu instid0(VALU_DEP_1) | instskip(NEXT) | instid1(VALU_DEP_1)
	v_fma_f32 v13, -v9, v11, v12
	v_fmac_f32_e32 v11, v13, v10
	s_delay_alu instid0(VALU_DEP_1) | instskip(NEXT) | instid1(VALU_DEP_1)
	v_fma_f32 v9, -v9, v11, v12
	v_div_fmas_f32 v9, v9, v10, v11
	s_delay_alu instid0(VALU_DEP_1) | instskip(NEXT) | instid1(VALU_DEP_1)
	v_div_fixup_f32 v8, v9, v8, 1.0
	v_mul_f32_e32 v0, v8, v0
	v_mul_f32_e32 v5, v8, v5
	;; [unrolled: 1-line block ×5, first 2 shown]
	v_cmp_class_f32_e64 vcc_lo, v0, 0x1f8
	v_mul_f32_e32 v7, v8, v7
	v_mul_f32_e32 v11, v8, v3
	;; [unrolled: 1-line block ×3, first 2 shown]
	v_cndmask_b32_e32 v0, 0, v0, vcc_lo
	v_cmp_class_f32_e64 vcc_lo, v5, 0x1f8
	v_cndmask_b32_e32 v1, 0, v5, vcc_lo
	v_cmp_class_f32_e64 vcc_lo, v9, 0x1f8
	;; [unrolled: 2-line block ×7, first 2 shown]
	v_cndmask_b32_e32 v7, 0, v8, vcc_lo
	s_cbranch_scc1 .LBB80_31
; %bb.4:
	v_lshlrev_b32_e32 v12, 2, v22
	s_clause 0x1
	global_load_b128 v[8:11], v12, s[2:3]
	global_load_b128 v[12:15], v12, s[2:3] offset:16
	s_waitcnt vmcnt(1)
	v_dual_add_f32 v9, v9, v1 :: v_dual_add_f32 v8, v8, v0
	v_dual_add_f32 v11, v11, v3 :: v_dual_add_f32 v10, v10, v2
	s_waitcnt vmcnt(0)
	v_dual_add_f32 v13, v13, v5 :: v_dual_add_f32 v12, v12, v4
	v_dual_add_f32 v15, v15, v7 :: v_dual_add_f32 v14, v14, v6
	s_cbranch_execnz .LBB80_6
.LBB80_5:
	v_dual_mov_b32 v15, v7 :: v_dual_mov_b32 v14, v6
	v_dual_mov_b32 v13, v5 :: v_dual_mov_b32 v12, v4
	;; [unrolled: 1-line block ×4, first 2 shown]
.LBB80_6:
	s_load_b128 s[4:7], s[0:1], 0x30
	v_cmp_eq_u32_e64 s2, 0, v17
	s_waitcnt lgkmcnt(0)
	s_bitcmp1_b32 s7, 0
	s_mov_b32 s7, 0
	s_cselect_b32 vcc_lo, -1, 0
	s_cmp_gt_i32 s4, 0
	s_cselect_b32 s3, -1, 0
	s_cmp_lt_i32 s4, 1
	s_cbranch_scc1 .LBB80_32
; %bb.7:
	s_load_b128 s[8:11], s[0:1], 0x20
	v_mul_lo_u32 v24, v16, s4
	v_mov_b32_e32 v23, 0
	v_mov_b32_e32 v25, v16
	s_branch .LBB80_10
.LBB80_8:                               ;   in Loop: Header=BB80_10 Depth=1
	s_or_b32 exec_lo, exec_lo, s1
.LBB80_9:                               ;   in Loop: Header=BB80_10 Depth=1
	v_add_nc_u32_e32 v25, s14, v25
	s_cmp_eq_u32 s4, s7
	s_cbranch_scc1 .LBB80_33
.LBB80_10:                              ; =>This Inner Loop Header: Depth=1
	v_cmp_gt_f32_e64 s0, v9, v8
	s_mov_b32 s17, exec_lo
	s_delay_alu instid0(VALU_DEP_1) | instskip(SKIP_2) | instid1(VALU_DEP_3)
	v_cndmask_b32_e64 v26, v8, v9, s0
	v_cndmask_b32_e64 v27, 0, 1, s0
	;; [unrolled: 1-line block ×3, first 2 shown]
	v_cmp_gt_f32_e64 s1, v10, v26
	s_delay_alu instid0(VALU_DEP_1) | instskip(NEXT) | instid1(VALU_DEP_4)
	v_cndmask_b32_e64 v26, v26, v10, s1
	v_cndmask_b32_e64 v27, v27, 2, s1
	s_delay_alu instid0(VALU_DEP_4) | instskip(NEXT) | instid1(VALU_DEP_3)
	v_cndmask_b32_e64 v28, v28, v2, s1
	v_cmp_gt_f32_e64 s0, v11, v26
	s_delay_alu instid0(VALU_DEP_1) | instskip(NEXT) | instid1(VALU_DEP_4)
	v_cndmask_b32_e64 v26, v26, v11, s0
	v_cndmask_b32_e64 v27, v27, 3, s0
	s_delay_alu instid0(VALU_DEP_4) | instskip(NEXT) | instid1(VALU_DEP_3)
	v_cndmask_b32_e64 v28, v28, v3, s0
	;; [unrolled: 6-line block ×4, first 2 shown]
	v_cmp_gt_f32_e64 s1, v14, v26
	s_delay_alu instid0(VALU_DEP_1) | instskip(NEXT) | instid1(VALU_DEP_4)
	v_cndmask_b32_e64 v26, v26, v14, s1
	v_cndmask_b32_e64 v27, v27, 6, s1
	s_waitcnt lgkmcnt(0)
	v_cndmask_b32_e64 v29, v28, v6, s1
	s_delay_alu instid0(VALU_DEP_3) | instskip(NEXT) | instid1(VALU_DEP_1)
	v_cmp_gt_f32_e64 s0, v15, v26
	v_cndmask_b32_e64 v28, v26, v15, s0
	v_cndmask_b32_e64 v26, v27, 7, s0
	s_delay_alu instid0(VALU_DEP_4)
	v_cndmask_b32_e64 v27, v29, v7, s0
	ds_bpermute_b32 v29, v18, v28
	v_or_b32_e32 v26, v22, v26
	ds_bpermute_b32 v31, v18, v27
	ds_bpermute_b32 v30, v18, v26
	s_waitcnt lgkmcnt(0)
	v_cmp_lt_f32_e64 s16, v28, v29
	v_cmpx_nlt_f32_e32 v28, v29
; %bb.11:                               ;   in Loop: Header=BB80_10 Depth=1
	v_cmp_eq_f32_e64 s0, v28, v29
	v_cmp_lt_i32_e64 s1, v30, v26
	s_delay_alu instid0(VALU_DEP_1) | instskip(SKIP_2) | instid1(SALU_CYCLE_1)
	s_and_b32 s0, s0, s1
	s_and_not1_b32 s1, s16, exec_lo
	s_and_b32 s0, s0, exec_lo
	s_or_b32 s16, s1, s0
; %bb.12:                               ;   in Loop: Header=BB80_10 Depth=1
	s_or_b32 exec_lo, exec_lo, s17
	s_and_saveexec_b32 s0, s16
; %bb.13:                               ;   in Loop: Header=BB80_10 Depth=1
	v_dual_mov_b32 v27, v31 :: v_dual_mov_b32 v28, v29
	v_mov_b32_e32 v26, v30
; %bb.14:                               ;   in Loop: Header=BB80_10 Depth=1
	s_or_b32 exec_lo, exec_lo, s0
	ds_bpermute_b32 v30, v19, v28
	ds_bpermute_b32 v31, v19, v27
	ds_bpermute_b32 v29, v19, v26
	s_mov_b32 s17, exec_lo
	s_waitcnt lgkmcnt(2)
	v_cmp_lt_f32_e64 s16, v28, v30
	v_cmpx_nlt_f32_e32 v28, v30
	s_cbranch_execz .LBB80_16
; %bb.15:                               ;   in Loop: Header=BB80_10 Depth=1
	v_cmp_eq_f32_e64 s0, v28, v30
	s_waitcnt lgkmcnt(0)
	v_cmp_lt_i32_e64 s1, v29, v26
	s_delay_alu instid0(VALU_DEP_1) | instskip(SKIP_2) | instid1(SALU_CYCLE_1)
	s_and_b32 s0, s0, s1
	s_and_not1_b32 s1, s16, exec_lo
	s_and_b32 s0, s0, exec_lo
	s_or_b32 s16, s1, s0
.LBB80_16:                              ;   in Loop: Header=BB80_10 Depth=1
	s_or_b32 exec_lo, exec_lo, s17
	s_delay_alu instid0(VALU_DEP_2)
	s_and_saveexec_b32 s0, s16
	s_cbranch_execz .LBB80_18
; %bb.17:                               ;   in Loop: Header=BB80_10 Depth=1
	s_waitcnt lgkmcnt(1)
	v_dual_mov_b32 v27, v31 :: v_dual_mov_b32 v28, v30
	s_waitcnt lgkmcnt(0)
	v_mov_b32_e32 v26, v29
.LBB80_18:                              ;   in Loop: Header=BB80_10 Depth=1
	s_or_b32 exec_lo, exec_lo, s0
	ds_bpermute_b32 v30, v20, v28
	s_waitcnt lgkmcnt(2)
	ds_bpermute_b32 v31, v20, v27
	s_waitcnt lgkmcnt(2)
	ds_bpermute_b32 v29, v20, v26
	s_mov_b32 s17, exec_lo
	s_waitcnt lgkmcnt(2)
	v_cmp_lt_f32_e64 s16, v28, v30
	v_cmpx_nlt_f32_e32 v28, v30
	s_cbranch_execz .LBB80_20
; %bb.19:                               ;   in Loop: Header=BB80_10 Depth=1
	v_cmp_eq_f32_e64 s0, v28, v30
	s_waitcnt lgkmcnt(0)
	v_cmp_lt_i32_e64 s1, v29, v26
	s_delay_alu instid0(VALU_DEP_1) | instskip(SKIP_2) | instid1(SALU_CYCLE_1)
	s_and_b32 s0, s0, s1
	s_and_not1_b32 s1, s16, exec_lo
	s_and_b32 s0, s0, exec_lo
	s_or_b32 s16, s1, s0
.LBB80_20:                              ;   in Loop: Header=BB80_10 Depth=1
	s_or_b32 exec_lo, exec_lo, s17
	s_delay_alu instid0(VALU_DEP_2)
	s_and_saveexec_b32 s0, s16
	s_cbranch_execz .LBB80_22
; %bb.21:                               ;   in Loop: Header=BB80_10 Depth=1
	s_waitcnt lgkmcnt(1)
	v_dual_mov_b32 v27, v31 :: v_dual_mov_b32 v28, v30
	s_waitcnt lgkmcnt(0)
	v_mov_b32_e32 v26, v29
.LBB80_22:                              ;   in Loop: Header=BB80_10 Depth=1
	s_or_b32 exec_lo, exec_lo, s0
	s_waitcnt lgkmcnt(1)
	ds_bpermute_b32 v31, v21, v28
	ds_bpermute_b32 v30, v21, v27
	s_waitcnt lgkmcnt(2)
	ds_bpermute_b32 v29, v21, v26
	s_mov_b32 s17, exec_lo
	s_waitcnt lgkmcnt(2)
	v_cmp_lt_f32_e64 s16, v28, v31
	v_cmpx_nlt_f32_e32 v28, v31
	s_cbranch_execnz .LBB80_26
; %bb.23:                               ;   in Loop: Header=BB80_10 Depth=1
	s_or_b32 exec_lo, exec_lo, s17
	s_delay_alu instid0(VALU_DEP_2)
	s_and_saveexec_b32 s0, s16
	s_cbranch_execnz .LBB80_27
.LBB80_24:                              ;   in Loop: Header=BB80_10 Depth=1
	s_or_b32 exec_lo, exec_lo, s0
	s_and_saveexec_b32 s16, s2
	s_cbranch_execnz .LBB80_28
.LBB80_25:                              ;   in Loop: Header=BB80_10 Depth=1
	s_or_b32 exec_lo, exec_lo, s16
	s_add_i32 s7, s7, 1
	s_delay_alu instid0(SALU_CYCLE_1)
	s_cmp_ge_i32 s7, s4
	s_cbranch_scc1 .LBB80_9
	s_branch .LBB80_29
.LBB80_26:                              ;   in Loop: Header=BB80_10 Depth=1
	v_cmp_eq_f32_e64 s0, v28, v31
	s_waitcnt lgkmcnt(0)
	v_cmp_lt_i32_e64 s1, v29, v26
	s_delay_alu instid0(VALU_DEP_1) | instskip(SKIP_2) | instid1(SALU_CYCLE_1)
	s_and_b32 s0, s0, s1
	s_and_not1_b32 s1, s16, exec_lo
	s_and_b32 s0, s0, exec_lo
	s_or_b32 s16, s1, s0
	s_or_b32 exec_lo, exec_lo, s17
	s_and_saveexec_b32 s0, s16
	s_cbranch_execz .LBB80_24
.LBB80_27:                              ;   in Loop: Header=BB80_10 Depth=1
	s_waitcnt lgkmcnt(0)
	v_dual_mov_b32 v27, v30 :: v_dual_mov_b32 v26, v29
	s_or_b32 exec_lo, exec_lo, s0
	s_and_saveexec_b32 s16, s2
	s_cbranch_execz .LBB80_25
.LBB80_28:                              ;   in Loop: Header=BB80_10 Depth=1
	s_delay_alu instid0(VALU_DEP_1)
	v_dual_add_f32 v35, v23, v27 :: v_dual_add_nc_u32 v28, s7, v24
	v_cmp_le_i32_e64 s0, s5, v26
	v_cmp_gt_i32_e64 s1, s6, v26
	s_waitcnt lgkmcnt(1)
	v_subrev_nc_u32_e32 v30, s5, v26
	s_waitcnt lgkmcnt(0)
	v_ashrrev_i32_e32 v29, 31, v28
	v_cndmask_b32_e32 v23, v23, v35, vcc_lo
	s_and_b32 s0, s0, s1
	s_delay_alu instid0(SALU_CYCLE_1) | instskip(NEXT) | instid1(VALU_DEP_2)
	s_and_b32 s0, s15, s0
	v_lshlrev_b64 v[28:29], 2, v[28:29]
	v_cndmask_b32_e64 v34, 0x80, v30, s0
	s_delay_alu instid0(VALU_DEP_2) | instskip(NEXT) | instid1(VALU_DEP_1)
	v_add_co_u32 v30, s0, s12, v28
	v_add_co_ci_u32_e64 v31, s0, s13, v29, s0
	v_add_co_u32 v32, s0, s8, v28
	s_delay_alu instid0(VALU_DEP_1) | instskip(SKIP_1) | instid1(VALU_DEP_1)
	v_add_co_ci_u32_e64 v33, s0, s9, v29, s0
	v_add_co_u32 v28, s0, s10, v28
	v_add_co_ci_u32_e64 v29, s0, s11, v29, s0
	global_store_b32 v[30:31], v27, off
	global_store_b32 v[32:33], v34, off
	;; [unrolled: 1-line block ×3, first 2 shown]
	s_or_b32 exec_lo, exec_lo, s16
	s_add_i32 s7, s7, 1
	s_delay_alu instid0(SALU_CYCLE_1)
	s_cmp_ge_i32 s7, s4
	s_cbranch_scc1 .LBB80_9
.LBB80_29:                              ;   in Loop: Header=BB80_10 Depth=1
	v_ashrrev_i32_e32 v28, 31, v26
	s_mov_b32 s1, exec_lo
	s_delay_alu instid0(VALU_DEP_1) | instskip(NEXT) | instid1(VALU_DEP_1)
	v_lshrrev_b32_e32 v27, 29, v28
	v_add_nc_u32_e32 v27, v26, v27
	s_delay_alu instid0(VALU_DEP_1) | instskip(SKIP_1) | instid1(VALU_DEP_1)
	v_ashrrev_i32_e32 v27, 3, v27
	s_waitcnt lgkmcnt(0)
	v_lshrrev_b32_e32 v29, 28, v27
	s_delay_alu instid0(VALU_DEP_1) | instskip(NEXT) | instid1(VALU_DEP_1)
	v_add_nc_u32_e32 v29, v27, v29
	v_and_b32_e32 v29, -16, v29
	s_delay_alu instid0(VALU_DEP_1) | instskip(NEXT) | instid1(VALU_DEP_1)
	v_sub_nc_u32_e32 v29, v27, v29
	v_cmpx_eq_u32_e64 v17, v29
	s_cbranch_execz .LBB80_8
; %bb.30:                               ;   in Loop: Header=BB80_10 Depth=1
	v_lshrrev_b32_e32 v28, 25, v28
	v_lshlrev_b32_e32 v27, 3, v27
	s_delay_alu instid0(VALU_DEP_2) | instskip(NEXT) | instid1(VALU_DEP_2)
	v_add_nc_u32_e32 v28, v26, v28
	v_sub_nc_u32_e32 v26, v26, v27
	s_delay_alu instid0(VALU_DEP_2) | instskip(NEXT) | instid1(VALU_DEP_1)
	v_ashrrev_i32_e32 v27, 7, v28
	v_lshl_add_u32 v26, v27, 3, v26
	s_delay_alu instid0(VALU_DEP_1) | instskip(NEXT) | instid1(VALU_DEP_1)
	v_cmp_ne_u32_e64 s0, 7, v26
	v_cndmask_b32_e64 v15, 0xc61c4000, v15, s0
	v_cmp_ne_u32_e64 s0, 6, v26
	s_delay_alu instid0(VALU_DEP_1) | instskip(SKIP_1) | instid1(VALU_DEP_1)
	v_cndmask_b32_e64 v14, 0xc61c4000, v14, s0
	v_cmp_ne_u32_e64 s0, 5, v26
	v_cndmask_b32_e64 v13, 0xc61c4000, v13, s0
	v_cmp_ne_u32_e64 s0, 4, v26
	s_delay_alu instid0(VALU_DEP_1) | instskip(SKIP_1) | instid1(VALU_DEP_1)
	v_cndmask_b32_e64 v12, 0xc61c4000, v12, s0
	v_cmp_ne_u32_e64 s0, 3, v26
	v_cndmask_b32_e64 v11, 0xc61c4000, v11, s0
	v_cmp_ne_u32_e64 s0, 2, v26
	s_delay_alu instid0(VALU_DEP_1) | instskip(SKIP_1) | instid1(VALU_DEP_1)
	v_cndmask_b32_e64 v10, 0xc61c4000, v10, s0
	v_cmp_ne_u32_e64 s0, 1, v26
	v_cndmask_b32_e64 v9, 0xc61c4000, v9, s0
	v_cmp_ne_u32_e64 s0, 0, v26
	s_delay_alu instid0(VALU_DEP_1)
	v_cndmask_b32_e64 v8, 0xc61c4000, v8, s0
	s_branch .LBB80_8
.LBB80_31:
                                        ; implicit-def: $vgpr8_vgpr9_vgpr10_vgpr11_vgpr12_vgpr13_vgpr14_vgpr15
	s_and_not1_b32 vcc_lo, exec_lo, s8
	s_cbranch_vccz .LBB80_5
	s_branch .LBB80_6
.LBB80_32:
	v_mov_b32_e32 v23, 0
.LBB80_33:
	v_cmp_eq_u32_e64 s0, 0, v17
	s_delay_alu instid0(VALU_DEP_1) | instskip(NEXT) | instid1(SALU_CYCLE_1)
	s_and_b32 s0, s0, vcc_lo
	s_and_b32 exec_lo, exec_lo, s0
	s_cbranch_execz .LBB80_37
; %bb.34:
	s_and_not1_b32 vcc_lo, exec_lo, s3
	s_cbranch_vccnz .LBB80_37
; %bb.35:
	v_mul_lo_u32 v0, v16, s4
	v_cmp_lt_f32_e32 vcc_lo, 0, v23
	v_cndmask_b32_e32 v2, 1.0, v23, vcc_lo
	s_delay_alu instid0(VALU_DEP_3) | instskip(NEXT) | instid1(VALU_DEP_1)
	v_ashrrev_i32_e32 v1, 31, v0
	v_lshlrev_b64 v[0:1], 2, v[0:1]
	s_delay_alu instid0(VALU_DEP_1) | instskip(NEXT) | instid1(VALU_DEP_2)
	v_add_co_u32 v0, vcc_lo, s12, v0
	v_add_co_ci_u32_e32 v1, vcc_lo, s13, v1, vcc_lo
	.p2align	6
.LBB80_36:                              ; =>This Inner Loop Header: Depth=1
	global_load_b32 v3, v[0:1], off
	s_add_i32 s4, s4, -1
	s_delay_alu instid0(SALU_CYCLE_1) | instskip(SKIP_3) | instid1(VALU_DEP_2)
	s_cmp_lg_u32 s4, 0
	s_waitcnt vmcnt(0)
	v_div_scale_f32 v4, null, v2, v2, v3
	v_div_scale_f32 v7, vcc_lo, v3, v2, v3
	v_rcp_f32_e32 v5, v4
	s_waitcnt_depctr 0xfff
	v_fma_f32 v6, -v4, v5, 1.0
	s_delay_alu instid0(VALU_DEP_1) | instskip(NEXT) | instid1(VALU_DEP_1)
	v_fmac_f32_e32 v5, v6, v5
	v_mul_f32_e32 v6, v7, v5
	s_delay_alu instid0(VALU_DEP_1) | instskip(NEXT) | instid1(VALU_DEP_1)
	v_fma_f32 v8, -v4, v6, v7
	v_fmac_f32_e32 v6, v8, v5
	s_delay_alu instid0(VALU_DEP_1) | instskip(NEXT) | instid1(VALU_DEP_1)
	v_fma_f32 v4, -v4, v6, v7
	v_div_fmas_f32 v4, v4, v5, v6
	s_delay_alu instid0(VALU_DEP_1)
	v_div_fixup_f32 v3, v4, v2, v3
	global_store_b32 v[0:1], v3, off
	v_add_co_u32 v0, vcc_lo, v0, 4
	v_add_co_ci_u32_e32 v1, vcc_lo, 0, v1, vcc_lo
	s_cbranch_scc1 .LBB80_36
.LBB80_37:
	s_nop 0
	s_sendmsg sendmsg(MSG_DEALLOC_VGPRS)
	s_endpgm
	.section	.rodata,"a",@progbits
	.p2align	6, 0x0
	.amdhsa_kernel _ZN4vllm3moe10topkGatingILi8ELi128ELi4ELi16ELi64Ei6__halfLNS0_11ScoringFuncE0EEEvPKT5_PKbPfiPT4_PiiiibPKf
		.amdhsa_group_segment_fixed_size 0
		.amdhsa_private_segment_fixed_size 0
		.amdhsa_kernarg_size 72
		.amdhsa_user_sgpr_count 15
		.amdhsa_user_sgpr_dispatch_ptr 0
		.amdhsa_user_sgpr_queue_ptr 0
		.amdhsa_user_sgpr_kernarg_segment_ptr 1
		.amdhsa_user_sgpr_dispatch_id 0
		.amdhsa_user_sgpr_private_segment_size 0
		.amdhsa_wavefront_size32 1
		.amdhsa_uses_dynamic_stack 0
		.amdhsa_enable_private_segment 0
		.amdhsa_system_sgpr_workgroup_id_x 1
		.amdhsa_system_sgpr_workgroup_id_y 0
		.amdhsa_system_sgpr_workgroup_id_z 0
		.amdhsa_system_sgpr_workgroup_info 0
		.amdhsa_system_vgpr_workitem_id 1
		.amdhsa_next_free_vgpr 38
		.amdhsa_next_free_sgpr 18
		.amdhsa_reserve_vcc 1
		.amdhsa_float_round_mode_32 0
		.amdhsa_float_round_mode_16_64 0
		.amdhsa_float_denorm_mode_32 3
		.amdhsa_float_denorm_mode_16_64 3
		.amdhsa_dx10_clamp 1
		.amdhsa_ieee_mode 1
		.amdhsa_fp16_overflow 0
		.amdhsa_workgroup_processor_mode 1
		.amdhsa_memory_ordered 1
		.amdhsa_forward_progress 0
		.amdhsa_shared_vgpr_count 0
		.amdhsa_exception_fp_ieee_invalid_op 0
		.amdhsa_exception_fp_denorm_src 0
		.amdhsa_exception_fp_ieee_div_zero 0
		.amdhsa_exception_fp_ieee_overflow 0
		.amdhsa_exception_fp_ieee_underflow 0
		.amdhsa_exception_fp_ieee_inexact 0
		.amdhsa_exception_int_div_zero 0
	.end_amdhsa_kernel
	.section	.text._ZN4vllm3moe10topkGatingILi8ELi128ELi4ELi16ELi64Ei6__halfLNS0_11ScoringFuncE0EEEvPKT5_PKbPfiPT4_PiiiibPKf,"axG",@progbits,_ZN4vllm3moe10topkGatingILi8ELi128ELi4ELi16ELi64Ei6__halfLNS0_11ScoringFuncE0EEEvPKT5_PKbPfiPT4_PiiiibPKf,comdat
.Lfunc_end80:
	.size	_ZN4vllm3moe10topkGatingILi8ELi128ELi4ELi16ELi64Ei6__halfLNS0_11ScoringFuncE0EEEvPKT5_PKbPfiPT4_PiiiibPKf, .Lfunc_end80-_ZN4vllm3moe10topkGatingILi8ELi128ELi4ELi16ELi64Ei6__halfLNS0_11ScoringFuncE0EEEvPKT5_PKbPfiPT4_PiiiibPKf
                                        ; -- End function
	.section	.AMDGPU.csdata,"",@progbits
; Kernel info:
; codeLenInByte = 3416
; NumSgprs: 20
; NumVgprs: 38
; ScratchSize: 0
; MemoryBound: 0
; FloatMode: 240
; IeeeMode: 1
; LDSByteSize: 0 bytes/workgroup (compile time only)
; SGPRBlocks: 2
; VGPRBlocks: 4
; NumSGPRsForWavesPerEU: 20
; NumVGPRsForWavesPerEU: 38
; Occupancy: 16
; WaveLimiterHint : 0
; COMPUTE_PGM_RSRC2:SCRATCH_EN: 0
; COMPUTE_PGM_RSRC2:USER_SGPR: 15
; COMPUTE_PGM_RSRC2:TRAP_HANDLER: 0
; COMPUTE_PGM_RSRC2:TGID_X_EN: 1
; COMPUTE_PGM_RSRC2:TGID_Y_EN: 0
; COMPUTE_PGM_RSRC2:TGID_Z_EN: 0
; COMPUTE_PGM_RSRC2:TIDIG_COMP_CNT: 1
	.section	.text._ZN4vllm3moe10topkGatingILi8ELi128ELi4ELi16ELi32Ei6__halfLNS0_11ScoringFuncE0EEEvPKT5_PKbPfiPT4_PiiiibPKf,"axG",@progbits,_ZN4vllm3moe10topkGatingILi8ELi128ELi4ELi16ELi32Ei6__halfLNS0_11ScoringFuncE0EEEvPKT5_PKbPfiPT4_PiiiibPKf,comdat
	.protected	_ZN4vllm3moe10topkGatingILi8ELi128ELi4ELi16ELi32Ei6__halfLNS0_11ScoringFuncE0EEEvPKT5_PKbPfiPT4_PiiiibPKf ; -- Begin function _ZN4vllm3moe10topkGatingILi8ELi128ELi4ELi16ELi32Ei6__halfLNS0_11ScoringFuncE0EEEvPKT5_PKbPfiPT4_PiiiibPKf
	.globl	_ZN4vllm3moe10topkGatingILi8ELi128ELi4ELi16ELi32Ei6__halfLNS0_11ScoringFuncE0EEEvPKT5_PKbPfiPT4_PiiiibPKf
	.p2align	8
	.type	_ZN4vllm3moe10topkGatingILi8ELi128ELi4ELi16ELi32Ei6__halfLNS0_11ScoringFuncE0EEEvPKT5_PKbPfiPT4_PiiiibPKf,@function
_ZN4vllm3moe10topkGatingILi8ELi128ELi4ELi16ELi32Ei6__halfLNS0_11ScoringFuncE0EEEvPKT5_PKbPfiPT4_PiiiibPKf: ; @_ZN4vllm3moe10topkGatingILi8ELi128ELi4ELi16ELi32Ei6__halfLNS0_11ScoringFuncE0EEEvPKT5_PKbPfiPT4_PiiiibPKf
; %bb.0:
	s_load_b32 s14, s[0:1], 0x18
	v_bfe_u32 v1, v0, 10, 10
	v_and_b32_e32 v0, 0x3ff, v0
	s_lshl_b32 s2, s15, 3
	s_delay_alu instid0(VALU_DEP_2) | instskip(NEXT) | instid1(VALU_DEP_2)
	v_lshlrev_b32_e32 v1, 1, v1
	v_lshrrev_b32_e32 v2, 4, v0
	s_delay_alu instid0(VALU_DEP_1) | instskip(SKIP_2) | instid1(VALU_DEP_1)
	v_add3_u32 v16, s2, v1, v2
	s_mov_b32 s2, exec_lo
	s_waitcnt lgkmcnt(0)
	v_cmpx_gt_i32_e64 s14, v16
	s_cbranch_execz .LBB81_37
; %bb.1:
	s_clause 0x1
	s_load_b128 s[4:7], s[0:1], 0x0
	s_load_b64 s[12:13], s[0:1], 0x10
	s_mov_b32 s8, -1
	s_mov_b32 s15, -1
	s_waitcnt lgkmcnt(0)
	s_cmp_eq_u64 s[6:7], 0
	s_cbranch_scc1 .LBB81_3
; %bb.2:
	v_ashrrev_i32_e32 v2, 31, v16
	v_add_co_u32 v1, vcc_lo, s6, v16
	s_delay_alu instid0(VALU_DEP_2) | instskip(SKIP_3) | instid1(VALU_DEP_1)
	v_add_co_ci_u32_e32 v2, vcc_lo, s7, v2, vcc_lo
	global_load_u8 v1, v[1:2], off
	s_waitcnt vmcnt(0)
	v_and_b32_e32 v1, 1, v1
	v_cmp_eq_u32_e32 vcc_lo, 1, v1
	s_xor_b32 s2, vcc_lo, -1
	s_delay_alu instid0(SALU_CYCLE_1)
	s_or_not1_b32 s15, s2, exec_lo
.LBB81_3:
	v_lshlrev_b32_e32 v1, 7, v16
	v_and_b32_e32 v17, 15, v0
	v_mbcnt_lo_u32_b32 v4, -1, 0
	s_load_b64 s[2:3], s[0:1], 0x40
	s_delay_alu instid0(VALU_DEP_3) | instskip(NEXT) | instid1(VALU_DEP_2)
	v_ashrrev_i32_e32 v2, 31, v1
	v_and_b32_e32 v6, 16, v4
	v_xor_b32_e32 v8, 8, v4
	v_xor_b32_e32 v12, 4, v4
	s_delay_alu instid0(VALU_DEP_4) | instskip(SKIP_1) | instid1(VALU_DEP_2)
	v_lshlrev_b64 v[0:1], 1, v[1:2]
	v_lshlrev_b32_e32 v2, 4, v17
	v_add_co_u32 v0, vcc_lo, s4, v0
	s_delay_alu instid0(VALU_DEP_3) | instskip(NEXT) | instid1(VALU_DEP_2)
	v_add_co_ci_u32_e32 v1, vcc_lo, s5, v1, vcc_lo
	v_add_co_u32 v0, vcc_lo, v0, v2
	s_delay_alu instid0(VALU_DEP_2)
	v_add_co_ci_u32_e32 v1, vcc_lo, 0, v1, vcc_lo
	s_waitcnt lgkmcnt(0)
	s_cmp_eq_u64 s[2:3], 0
	global_load_b128 v[0:3], v[0:1], off
	s_waitcnt vmcnt(0)
	v_lshrrev_b32_e32 v5, 16, v0
	v_cvt_f32_f16_e32 v0, v0
	v_lshrrev_b32_e32 v7, 16, v1
	v_cvt_f32_f16_e32 v1, v1
	v_lshrrev_b32_e32 v9, 16, v2
	v_cvt_f32_f16_e32 v5, v5
	v_add_nc_u32_e32 v6, 16, v6
	v_cvt_f32_f16_e32 v7, v7
	v_cvt_f32_f16_e32 v2, v2
	v_lshrrev_b32_e32 v11, 16, v3
	v_max_f32_e32 v10, v0, v5
	v_cvt_f32_f16_e32 v9, v9
	v_cmp_lt_i32_e32 vcc_lo, v8, v6
	v_cvt_f32_f16_e32 v3, v3
	v_cvt_f32_f16_e32 v11, v11
	v_max3_f32 v10, v10, v1, v7
	v_cndmask_b32_e32 v8, v4, v8, vcc_lo
	v_cmp_lt_i32_e32 vcc_lo, v12, v6
	s_delay_alu instid0(VALU_DEP_3) | instskip(NEXT) | instid1(VALU_DEP_3)
	v_max3_f32 v10, v10, v2, v9
	v_lshlrev_b32_e32 v18, 2, v8
	v_cndmask_b32_e32 v12, v4, v12, vcc_lo
	s_delay_alu instid0(VALU_DEP_3) | instskip(SKIP_4) | instid1(VALU_DEP_2)
	v_max3_f32 v8, v10, v3, v11
	ds_bpermute_b32 v10, v18, v8
	s_waitcnt lgkmcnt(0)
	v_dual_max_f32 v10, v10, v10 :: v_dual_lshlrev_b32 v19, 2, v12
	v_xor_b32_e32 v12, 2, v4
	v_max_f32_e32 v8, v8, v10
	s_delay_alu instid0(VALU_DEP_2) | instskip(SKIP_2) | instid1(VALU_DEP_1)
	v_cmp_lt_i32_e32 vcc_lo, v12, v6
	ds_bpermute_b32 v10, v19, v8
	v_cndmask_b32_e32 v12, v4, v12, vcc_lo
	v_lshlrev_b32_e32 v20, 2, v12
	v_xor_b32_e32 v12, 1, v4
	s_delay_alu instid0(VALU_DEP_1) | instskip(SKIP_2) | instid1(VALU_DEP_1)
	v_cmp_lt_i32_e32 vcc_lo, v12, v6
	v_cndmask_b32_e32 v4, v4, v12, vcc_lo
	s_waitcnt lgkmcnt(0)
	v_dual_max_f32 v10, v10, v10 :: v_dual_lshlrev_b32 v21, 2, v4
	s_delay_alu instid0(VALU_DEP_1) | instskip(SKIP_3) | instid1(VALU_DEP_1)
	v_max_f32_e32 v8, v8, v10
	ds_bpermute_b32 v10, v20, v8
	s_waitcnt lgkmcnt(0)
	v_max_f32_e32 v6, v10, v10
	v_max_f32_e32 v4, v8, v6
	ds_bpermute_b32 v6, v21, v4
	s_waitcnt lgkmcnt(0)
	v_max_f32_e32 v6, v6, v6
	s_delay_alu instid0(VALU_DEP_1) | instskip(NEXT) | instid1(VALU_DEP_1)
	v_max_f32_e32 v4, v4, v6
	v_sub_f32_e32 v5, v5, v4
	v_sub_f32_e32 v6, v7, v4
	;; [unrolled: 1-line block ×5, first 2 shown]
	v_mul_f32_e32 v9, 0x3fb8aa3b, v5
	s_delay_alu instid0(VALU_DEP_4) | instskip(NEXT) | instid1(VALU_DEP_3)
	v_mul_f32_e32 v13, 0x3fb8aa3b, v7
	v_mul_f32_e32 v14, 0x3fb8aa3b, v3
	s_delay_alu instid0(VALU_DEP_3) | instskip(SKIP_1) | instid1(VALU_DEP_4)
	v_fma_f32 v24, 0x3fb8aa3b, v5, -v9
	v_rndne_f32_e32 v25, v9
	v_fma_f32 v32, 0x3fb8aa3b, v7, -v13
	v_rndne_f32_e32 v33, v13
	v_fma_f32 v34, 0x3fb8aa3b, v3, -v14
	v_fmac_f32_e32 v24, 0x32a5705f, v5
	s_delay_alu instid0(VALU_DEP_4) | instskip(NEXT) | instid1(VALU_DEP_4)
	v_dual_sub_f32 v9, v9, v25 :: v_dual_fmac_f32 v32, 0x32a5705f, v7
	v_sub_f32_e32 v13, v13, v33
	v_mul_f32_e32 v10, 0x3fb8aa3b, v1
	v_cvt_i32_f32_e32 v25, v25
	s_delay_alu instid0(VALU_DEP_4)
	v_add_f32_e32 v9, v9, v24
	v_cvt_i32_f32_e32 v33, v33
	v_add_f32_e32 v13, v13, v32
	v_fma_f32 v26, 0x3fb8aa3b, v1, -v10
	v_rndne_f32_e32 v27, v10
	v_exp_f32_e32 v9, v9
	v_rndne_f32_e32 v35, v14
	v_exp_f32_e32 v13, v13
	v_fmac_f32_e32 v26, 0x32a5705f, v1
	v_sub_f32_e32 v10, v10, v27
	v_cvt_i32_f32_e32 v27, v27
	v_fmac_f32_e32 v34, 0x32a5705f, v3
	v_sub_f32_e32 v14, v14, v35
	s_delay_alu instid0(VALU_DEP_4) | instskip(NEXT) | instid1(TRANS32_DEP_2)
	v_add_f32_e32 v10, v10, v26
	v_ldexp_f32 v9, v9, v25
	v_sub_f32_e32 v0, v0, v4
	s_delay_alu instid0(TRANS32_DEP_1) | instskip(SKIP_2) | instid1(VALU_DEP_3)
	v_ldexp_f32 v13, v13, v33
	v_add_f32_e32 v14, v14, v34
	v_exp_f32_e32 v10, v10
	v_mul_f32_e32 v8, 0x3fb8aa3b, v0
	v_cmp_ngt_f32_e32 vcc_lo, 0xc2ce8ed0, v0
	s_delay_alu instid0(VALU_DEP_3) | instskip(NEXT) | instid1(VALU_DEP_2)
	v_exp_f32_e32 v14, v14
	v_fma_f32 v22, 0x3fb8aa3b, v0, -v8
	v_rndne_f32_e32 v23, v8
	s_waitcnt_depctr 0xfff
	v_ldexp_f32 v10, v10, v27
	v_fmac_f32_e32 v22, 0x32a5705f, v0
	v_sub_f32_e32 v8, v8, v23
	v_cvt_i32_f32_e32 v23, v23
	s_delay_alu instid0(VALU_DEP_2) | instskip(SKIP_1) | instid1(VALU_DEP_2)
	v_add_f32_e32 v8, v8, v22
	v_cvt_i32_f32_e32 v22, v35
	v_exp_f32_e32 v8, v8
	s_delay_alu instid0(VALU_DEP_1) | instskip(SKIP_3) | instid1(VALU_DEP_1)
	v_ldexp_f32 v14, v14, v22
	v_lshlrev_b32_e32 v22, 3, v17
	s_waitcnt_depctr 0xfff
	v_ldexp_f32 v8, v8, v23
	v_cndmask_b32_e32 v8, 0, v8, vcc_lo
	v_cmp_ngt_f32_e32 vcc_lo, 0xc2ce8ed0, v5
	v_cndmask_b32_e32 v9, 0, v9, vcc_lo
	v_cmp_ngt_f32_e32 vcc_lo, 0xc2ce8ed0, v1
	v_cndmask_b32_e32 v10, 0, v10, vcc_lo
	v_cmp_nlt_f32_e32 vcc_lo, 0x42b17218, v0
	v_sub_f32_e32 v2, v2, v4
	v_cndmask_b32_e32 v0, 0x7f800000, v8, vcc_lo
	v_cmp_nlt_f32_e32 vcc_lo, 0x42b17218, v5
	v_dual_cndmask_b32 v5, 0x7f800000, v9 :: v_dual_sub_f32 v4, v11, v4
	v_mul_f32_e32 v11, 0x3fb8aa3b, v6
	v_cmp_ngt_f32_e32 vcc_lo, 0xc2ce8ed0, v6
	s_delay_alu instid0(VALU_DEP_3) | instskip(NEXT) | instid1(VALU_DEP_4)
	v_add_f32_e32 v9, v0, v5
	v_mul_f32_e32 v15, 0x3fb8aa3b, v4
	s_delay_alu instid0(VALU_DEP_4) | instskip(SKIP_1) | instid1(VALU_DEP_3)
	v_fma_f32 v28, 0x3fb8aa3b, v6, -v11
	v_rndne_f32_e32 v29, v11
	v_fma_f32 v36, 0x3fb8aa3b, v4, -v15
	s_delay_alu instid0(VALU_DEP_2) | instskip(SKIP_2) | instid1(VALU_DEP_4)
	v_dual_fmac_f32 v28, 0x32a5705f, v6 :: v_dual_sub_f32 v11, v11, v29
	v_cvt_i32_f32_e32 v29, v29
	v_rndne_f32_e32 v37, v15
	v_fmac_f32_e32 v36, 0x32a5705f, v4
	s_delay_alu instid0(VALU_DEP_4) | instskip(NEXT) | instid1(VALU_DEP_3)
	v_add_f32_e32 v11, v11, v28
	v_sub_f32_e32 v15, v15, v37
	v_cvt_i32_f32_e32 v24, v37
	s_delay_alu instid0(VALU_DEP_3) | instskip(NEXT) | instid1(VALU_DEP_2)
	v_exp_f32_e32 v11, v11
	v_add_f32_e32 v15, v15, v36
	s_delay_alu instid0(VALU_DEP_1) | instskip(SKIP_2) | instid1(VALU_DEP_1)
	v_exp_f32_e32 v15, v15
	s_waitcnt_depctr 0xfff
	v_ldexp_f32 v11, v11, v29
	v_cndmask_b32_e32 v8, 0, v11, vcc_lo
	v_cmp_nlt_f32_e32 vcc_lo, 0x42b17218, v1
	v_ldexp_f32 v15, v15, v24
	v_cndmask_b32_e32 v1, 0x7f800000, v10, vcc_lo
	v_mul_f32_e32 v12, 0x3fb8aa3b, v2
	v_cmp_ngt_f32_e32 vcc_lo, 0xc2ce8ed0, v2
	s_delay_alu instid0(VALU_DEP_2) | instskip(SKIP_1) | instid1(VALU_DEP_2)
	v_fma_f32 v30, 0x3fb8aa3b, v2, -v12
	v_rndne_f32_e32 v31, v12
	v_fmac_f32_e32 v30, 0x32a5705f, v2
	s_delay_alu instid0(VALU_DEP_2) | instskip(SKIP_1) | instid1(VALU_DEP_2)
	v_sub_f32_e32 v12, v12, v31
	v_cvt_i32_f32_e32 v31, v31
	v_add_f32_e32 v12, v12, v30
	s_delay_alu instid0(VALU_DEP_1) | instskip(SKIP_2) | instid1(VALU_DEP_1)
	v_exp_f32_e32 v12, v12
	s_waitcnt_depctr 0xfff
	v_ldexp_f32 v12, v12, v31
	v_cndmask_b32_e32 v10, 0, v12, vcc_lo
	v_cmp_nlt_f32_e32 vcc_lo, 0x42b17218, v6
	v_cndmask_b32_e32 v6, 0x7f800000, v8, vcc_lo
	v_cmp_ngt_f32_e32 vcc_lo, 0xc2ce8ed0, v7
	v_add_f32_e32 v8, v9, v1
	v_cndmask_b32_e32 v9, 0, v13, vcc_lo
	v_cmp_nlt_f32_e32 vcc_lo, 0x42b17218, v2
	s_delay_alu instid0(VALU_DEP_3) | instskip(SKIP_2) | instid1(VALU_DEP_2)
	v_add_f32_e32 v8, v8, v6
	v_cndmask_b32_e32 v2, 0x7f800000, v10, vcc_lo
	v_cmp_ngt_f32_e32 vcc_lo, 0xc2ce8ed0, v3
	v_add_f32_e32 v8, v8, v2
	v_cndmask_b32_e32 v10, 0, v14, vcc_lo
	v_cmp_nlt_f32_e32 vcc_lo, 0x42b17218, v7
	v_cndmask_b32_e32 v7, 0x7f800000, v9, vcc_lo
	v_cmp_ngt_f32_e32 vcc_lo, 0xc2ce8ed0, v4
	s_delay_alu instid0(VALU_DEP_2) | instskip(SKIP_4) | instid1(VALU_DEP_2)
	v_add_f32_e32 v8, v8, v7
	v_cndmask_b32_e32 v9, 0, v15, vcc_lo
	v_cmp_nlt_f32_e32 vcc_lo, 0x42b17218, v3
	v_cndmask_b32_e32 v3, 0x7f800000, v10, vcc_lo
	v_cmp_nlt_f32_e32 vcc_lo, 0x42b17218, v4
	v_add_f32_e32 v8, v8, v3
	v_cndmask_b32_e32 v4, 0x7f800000, v9, vcc_lo
	s_delay_alu instid0(VALU_DEP_1)
	v_add_f32_e32 v8, v8, v4
	ds_bpermute_b32 v9, v18, v8
	s_waitcnt lgkmcnt(0)
	v_add_f32_e32 v8, v8, v9
	ds_bpermute_b32 v9, v19, v8
	s_waitcnt lgkmcnt(0)
	;; [unrolled: 3-line block ×4, first 2 shown]
	v_add_f32_e32 v8, v8, v9
	s_delay_alu instid0(VALU_DEP_1) | instskip(SKIP_1) | instid1(VALU_DEP_2)
	v_div_scale_f32 v9, null, v8, v8, 1.0
	v_div_scale_f32 v12, vcc_lo, 1.0, v8, 1.0
	v_rcp_f32_e32 v10, v9
	s_waitcnt_depctr 0xfff
	v_fma_f32 v11, -v9, v10, 1.0
	s_delay_alu instid0(VALU_DEP_1) | instskip(NEXT) | instid1(VALU_DEP_1)
	v_fmac_f32_e32 v10, v11, v10
	v_mul_f32_e32 v11, v12, v10
	s_delay_alu instid0(VALU_DEP_1) | instskip(NEXT) | instid1(VALU_DEP_1)
	v_fma_f32 v13, -v9, v11, v12
	v_fmac_f32_e32 v11, v13, v10
	s_delay_alu instid0(VALU_DEP_1) | instskip(NEXT) | instid1(VALU_DEP_1)
	v_fma_f32 v9, -v9, v11, v12
	v_div_fmas_f32 v9, v9, v10, v11
	s_delay_alu instid0(VALU_DEP_1) | instskip(NEXT) | instid1(VALU_DEP_1)
	v_div_fixup_f32 v8, v9, v8, 1.0
	v_mul_f32_e32 v0, v8, v0
	v_mul_f32_e32 v5, v8, v5
	;; [unrolled: 1-line block ×5, first 2 shown]
	v_cmp_class_f32_e64 vcc_lo, v0, 0x1f8
	v_mul_f32_e32 v7, v8, v7
	v_mul_f32_e32 v11, v8, v3
	;; [unrolled: 1-line block ×3, first 2 shown]
	v_cndmask_b32_e32 v0, 0, v0, vcc_lo
	v_cmp_class_f32_e64 vcc_lo, v5, 0x1f8
	v_cndmask_b32_e32 v1, 0, v5, vcc_lo
	v_cmp_class_f32_e64 vcc_lo, v9, 0x1f8
	;; [unrolled: 2-line block ×7, first 2 shown]
	v_cndmask_b32_e32 v7, 0, v8, vcc_lo
	s_cbranch_scc1 .LBB81_31
; %bb.4:
	v_lshlrev_b32_e32 v12, 2, v22
	s_clause 0x1
	global_load_b128 v[8:11], v12, s[2:3]
	global_load_b128 v[12:15], v12, s[2:3] offset:16
	s_waitcnt vmcnt(1)
	v_dual_add_f32 v9, v9, v1 :: v_dual_add_f32 v8, v8, v0
	v_dual_add_f32 v11, v11, v3 :: v_dual_add_f32 v10, v10, v2
	s_waitcnt vmcnt(0)
	v_dual_add_f32 v13, v13, v5 :: v_dual_add_f32 v12, v12, v4
	v_dual_add_f32 v15, v15, v7 :: v_dual_add_f32 v14, v14, v6
	s_cbranch_execnz .LBB81_6
.LBB81_5:
	v_dual_mov_b32 v15, v7 :: v_dual_mov_b32 v14, v6
	v_dual_mov_b32 v13, v5 :: v_dual_mov_b32 v12, v4
	;; [unrolled: 1-line block ×4, first 2 shown]
.LBB81_6:
	s_load_b128 s[4:7], s[0:1], 0x30
	v_cmp_eq_u32_e64 s2, 0, v17
	s_waitcnt lgkmcnt(0)
	s_bitcmp1_b32 s7, 0
	s_mov_b32 s7, 0
	s_cselect_b32 vcc_lo, -1, 0
	s_cmp_gt_i32 s4, 0
	s_cselect_b32 s3, -1, 0
	s_cmp_lt_i32 s4, 1
	s_cbranch_scc1 .LBB81_32
; %bb.7:
	s_load_b128 s[8:11], s[0:1], 0x20
	v_mul_lo_u32 v24, v16, s4
	v_mov_b32_e32 v23, 0
	v_mov_b32_e32 v25, v16
	s_branch .LBB81_10
.LBB81_8:                               ;   in Loop: Header=BB81_10 Depth=1
	s_or_b32 exec_lo, exec_lo, s1
.LBB81_9:                               ;   in Loop: Header=BB81_10 Depth=1
	v_add_nc_u32_e32 v25, s14, v25
	s_cmp_eq_u32 s4, s7
	s_cbranch_scc1 .LBB81_33
.LBB81_10:                              ; =>This Inner Loop Header: Depth=1
	v_cmp_gt_f32_e64 s0, v9, v8
	s_mov_b32 s17, exec_lo
	s_delay_alu instid0(VALU_DEP_1) | instskip(SKIP_2) | instid1(VALU_DEP_3)
	v_cndmask_b32_e64 v26, v8, v9, s0
	v_cndmask_b32_e64 v27, 0, 1, s0
	;; [unrolled: 1-line block ×3, first 2 shown]
	v_cmp_gt_f32_e64 s1, v10, v26
	s_delay_alu instid0(VALU_DEP_1) | instskip(NEXT) | instid1(VALU_DEP_4)
	v_cndmask_b32_e64 v26, v26, v10, s1
	v_cndmask_b32_e64 v27, v27, 2, s1
	s_delay_alu instid0(VALU_DEP_4) | instskip(NEXT) | instid1(VALU_DEP_3)
	v_cndmask_b32_e64 v28, v28, v2, s1
	v_cmp_gt_f32_e64 s0, v11, v26
	s_delay_alu instid0(VALU_DEP_1) | instskip(NEXT) | instid1(VALU_DEP_4)
	v_cndmask_b32_e64 v26, v26, v11, s0
	v_cndmask_b32_e64 v27, v27, 3, s0
	s_delay_alu instid0(VALU_DEP_4) | instskip(NEXT) | instid1(VALU_DEP_3)
	v_cndmask_b32_e64 v28, v28, v3, s0
	;; [unrolled: 6-line block ×4, first 2 shown]
	v_cmp_gt_f32_e64 s1, v14, v26
	s_delay_alu instid0(VALU_DEP_1) | instskip(NEXT) | instid1(VALU_DEP_4)
	v_cndmask_b32_e64 v26, v26, v14, s1
	v_cndmask_b32_e64 v27, v27, 6, s1
	s_waitcnt lgkmcnt(0)
	v_cndmask_b32_e64 v29, v28, v6, s1
	s_delay_alu instid0(VALU_DEP_3) | instskip(NEXT) | instid1(VALU_DEP_1)
	v_cmp_gt_f32_e64 s0, v15, v26
	v_cndmask_b32_e64 v28, v26, v15, s0
	v_cndmask_b32_e64 v26, v27, 7, s0
	s_delay_alu instid0(VALU_DEP_4)
	v_cndmask_b32_e64 v27, v29, v7, s0
	ds_bpermute_b32 v29, v18, v28
	v_or_b32_e32 v26, v22, v26
	ds_bpermute_b32 v31, v18, v27
	ds_bpermute_b32 v30, v18, v26
	s_waitcnt lgkmcnt(0)
	v_cmp_lt_f32_e64 s16, v28, v29
	v_cmpx_nlt_f32_e32 v28, v29
; %bb.11:                               ;   in Loop: Header=BB81_10 Depth=1
	v_cmp_eq_f32_e64 s0, v28, v29
	v_cmp_lt_i32_e64 s1, v30, v26
	s_delay_alu instid0(VALU_DEP_1) | instskip(SKIP_2) | instid1(SALU_CYCLE_1)
	s_and_b32 s0, s0, s1
	s_and_not1_b32 s1, s16, exec_lo
	s_and_b32 s0, s0, exec_lo
	s_or_b32 s16, s1, s0
; %bb.12:                               ;   in Loop: Header=BB81_10 Depth=1
	s_or_b32 exec_lo, exec_lo, s17
	s_and_saveexec_b32 s0, s16
; %bb.13:                               ;   in Loop: Header=BB81_10 Depth=1
	v_dual_mov_b32 v27, v31 :: v_dual_mov_b32 v28, v29
	v_mov_b32_e32 v26, v30
; %bb.14:                               ;   in Loop: Header=BB81_10 Depth=1
	s_or_b32 exec_lo, exec_lo, s0
	ds_bpermute_b32 v30, v19, v28
	ds_bpermute_b32 v31, v19, v27
	;; [unrolled: 1-line block ×3, first 2 shown]
	s_mov_b32 s17, exec_lo
	s_waitcnt lgkmcnt(2)
	v_cmp_lt_f32_e64 s16, v28, v30
	v_cmpx_nlt_f32_e32 v28, v30
	s_cbranch_execz .LBB81_16
; %bb.15:                               ;   in Loop: Header=BB81_10 Depth=1
	v_cmp_eq_f32_e64 s0, v28, v30
	s_waitcnt lgkmcnt(0)
	v_cmp_lt_i32_e64 s1, v29, v26
	s_delay_alu instid0(VALU_DEP_1) | instskip(SKIP_2) | instid1(SALU_CYCLE_1)
	s_and_b32 s0, s0, s1
	s_and_not1_b32 s1, s16, exec_lo
	s_and_b32 s0, s0, exec_lo
	s_or_b32 s16, s1, s0
.LBB81_16:                              ;   in Loop: Header=BB81_10 Depth=1
	s_or_b32 exec_lo, exec_lo, s17
	s_delay_alu instid0(VALU_DEP_2)
	s_and_saveexec_b32 s0, s16
	s_cbranch_execz .LBB81_18
; %bb.17:                               ;   in Loop: Header=BB81_10 Depth=1
	s_waitcnt lgkmcnt(1)
	v_dual_mov_b32 v27, v31 :: v_dual_mov_b32 v28, v30
	s_waitcnt lgkmcnt(0)
	v_mov_b32_e32 v26, v29
.LBB81_18:                              ;   in Loop: Header=BB81_10 Depth=1
	s_or_b32 exec_lo, exec_lo, s0
	ds_bpermute_b32 v30, v20, v28
	s_waitcnt lgkmcnt(2)
	ds_bpermute_b32 v31, v20, v27
	s_waitcnt lgkmcnt(2)
	ds_bpermute_b32 v29, v20, v26
	s_mov_b32 s17, exec_lo
	s_waitcnt lgkmcnt(2)
	v_cmp_lt_f32_e64 s16, v28, v30
	v_cmpx_nlt_f32_e32 v28, v30
	s_cbranch_execz .LBB81_20
; %bb.19:                               ;   in Loop: Header=BB81_10 Depth=1
	v_cmp_eq_f32_e64 s0, v28, v30
	s_waitcnt lgkmcnt(0)
	v_cmp_lt_i32_e64 s1, v29, v26
	s_delay_alu instid0(VALU_DEP_1) | instskip(SKIP_2) | instid1(SALU_CYCLE_1)
	s_and_b32 s0, s0, s1
	s_and_not1_b32 s1, s16, exec_lo
	s_and_b32 s0, s0, exec_lo
	s_or_b32 s16, s1, s0
.LBB81_20:                              ;   in Loop: Header=BB81_10 Depth=1
	s_or_b32 exec_lo, exec_lo, s17
	s_delay_alu instid0(VALU_DEP_2)
	s_and_saveexec_b32 s0, s16
	s_cbranch_execz .LBB81_22
; %bb.21:                               ;   in Loop: Header=BB81_10 Depth=1
	s_waitcnt lgkmcnt(1)
	v_dual_mov_b32 v27, v31 :: v_dual_mov_b32 v28, v30
	s_waitcnt lgkmcnt(0)
	v_mov_b32_e32 v26, v29
.LBB81_22:                              ;   in Loop: Header=BB81_10 Depth=1
	s_or_b32 exec_lo, exec_lo, s0
	s_waitcnt lgkmcnt(1)
	ds_bpermute_b32 v31, v21, v28
	ds_bpermute_b32 v30, v21, v27
	s_waitcnt lgkmcnt(2)
	ds_bpermute_b32 v29, v21, v26
	s_mov_b32 s17, exec_lo
	s_waitcnt lgkmcnt(2)
	v_cmp_lt_f32_e64 s16, v28, v31
	v_cmpx_nlt_f32_e32 v28, v31
	s_cbranch_execnz .LBB81_26
; %bb.23:                               ;   in Loop: Header=BB81_10 Depth=1
	s_or_b32 exec_lo, exec_lo, s17
	s_delay_alu instid0(VALU_DEP_2)
	s_and_saveexec_b32 s0, s16
	s_cbranch_execnz .LBB81_27
.LBB81_24:                              ;   in Loop: Header=BB81_10 Depth=1
	s_or_b32 exec_lo, exec_lo, s0
	s_and_saveexec_b32 s16, s2
	s_cbranch_execnz .LBB81_28
.LBB81_25:                              ;   in Loop: Header=BB81_10 Depth=1
	s_or_b32 exec_lo, exec_lo, s16
	s_add_i32 s7, s7, 1
	s_delay_alu instid0(SALU_CYCLE_1)
	s_cmp_ge_i32 s7, s4
	s_cbranch_scc1 .LBB81_9
	s_branch .LBB81_29
.LBB81_26:                              ;   in Loop: Header=BB81_10 Depth=1
	v_cmp_eq_f32_e64 s0, v28, v31
	s_waitcnt lgkmcnt(0)
	v_cmp_lt_i32_e64 s1, v29, v26
	s_delay_alu instid0(VALU_DEP_1) | instskip(SKIP_2) | instid1(SALU_CYCLE_1)
	s_and_b32 s0, s0, s1
	s_and_not1_b32 s1, s16, exec_lo
	s_and_b32 s0, s0, exec_lo
	s_or_b32 s16, s1, s0
	s_or_b32 exec_lo, exec_lo, s17
	s_and_saveexec_b32 s0, s16
	s_cbranch_execz .LBB81_24
.LBB81_27:                              ;   in Loop: Header=BB81_10 Depth=1
	s_waitcnt lgkmcnt(0)
	v_dual_mov_b32 v27, v30 :: v_dual_mov_b32 v26, v29
	s_or_b32 exec_lo, exec_lo, s0
	s_and_saveexec_b32 s16, s2
	s_cbranch_execz .LBB81_25
.LBB81_28:                              ;   in Loop: Header=BB81_10 Depth=1
	s_delay_alu instid0(VALU_DEP_1)
	v_dual_add_f32 v35, v23, v27 :: v_dual_add_nc_u32 v28, s7, v24
	v_cmp_le_i32_e64 s0, s5, v26
	v_cmp_gt_i32_e64 s1, s6, v26
	s_waitcnt lgkmcnt(1)
	v_subrev_nc_u32_e32 v30, s5, v26
	s_waitcnt lgkmcnt(0)
	v_ashrrev_i32_e32 v29, 31, v28
	v_cndmask_b32_e32 v23, v23, v35, vcc_lo
	s_and_b32 s0, s0, s1
	s_delay_alu instid0(SALU_CYCLE_1) | instskip(NEXT) | instid1(VALU_DEP_2)
	s_and_b32 s0, s15, s0
	v_lshlrev_b64 v[28:29], 2, v[28:29]
	v_cndmask_b32_e64 v34, 0x80, v30, s0
	s_delay_alu instid0(VALU_DEP_2) | instskip(NEXT) | instid1(VALU_DEP_1)
	v_add_co_u32 v30, s0, s12, v28
	v_add_co_ci_u32_e64 v31, s0, s13, v29, s0
	v_add_co_u32 v32, s0, s8, v28
	s_delay_alu instid0(VALU_DEP_1) | instskip(SKIP_1) | instid1(VALU_DEP_1)
	v_add_co_ci_u32_e64 v33, s0, s9, v29, s0
	v_add_co_u32 v28, s0, s10, v28
	v_add_co_ci_u32_e64 v29, s0, s11, v29, s0
	global_store_b32 v[30:31], v27, off
	global_store_b32 v[32:33], v34, off
	;; [unrolled: 1-line block ×3, first 2 shown]
	s_or_b32 exec_lo, exec_lo, s16
	s_add_i32 s7, s7, 1
	s_delay_alu instid0(SALU_CYCLE_1)
	s_cmp_ge_i32 s7, s4
	s_cbranch_scc1 .LBB81_9
.LBB81_29:                              ;   in Loop: Header=BB81_10 Depth=1
	v_ashrrev_i32_e32 v28, 31, v26
	s_mov_b32 s1, exec_lo
	s_delay_alu instid0(VALU_DEP_1) | instskip(NEXT) | instid1(VALU_DEP_1)
	v_lshrrev_b32_e32 v27, 29, v28
	v_add_nc_u32_e32 v27, v26, v27
	s_delay_alu instid0(VALU_DEP_1) | instskip(SKIP_1) | instid1(VALU_DEP_1)
	v_ashrrev_i32_e32 v27, 3, v27
	s_waitcnt lgkmcnt(0)
	v_lshrrev_b32_e32 v29, 28, v27
	s_delay_alu instid0(VALU_DEP_1) | instskip(NEXT) | instid1(VALU_DEP_1)
	v_add_nc_u32_e32 v29, v27, v29
	v_and_b32_e32 v29, -16, v29
	s_delay_alu instid0(VALU_DEP_1) | instskip(NEXT) | instid1(VALU_DEP_1)
	v_sub_nc_u32_e32 v29, v27, v29
	v_cmpx_eq_u32_e64 v17, v29
	s_cbranch_execz .LBB81_8
; %bb.30:                               ;   in Loop: Header=BB81_10 Depth=1
	v_lshrrev_b32_e32 v28, 25, v28
	v_lshlrev_b32_e32 v27, 3, v27
	s_delay_alu instid0(VALU_DEP_2) | instskip(NEXT) | instid1(VALU_DEP_2)
	v_add_nc_u32_e32 v28, v26, v28
	v_sub_nc_u32_e32 v26, v26, v27
	s_delay_alu instid0(VALU_DEP_2) | instskip(NEXT) | instid1(VALU_DEP_1)
	v_ashrrev_i32_e32 v27, 7, v28
	v_lshl_add_u32 v26, v27, 3, v26
	s_delay_alu instid0(VALU_DEP_1) | instskip(NEXT) | instid1(VALU_DEP_1)
	v_cmp_ne_u32_e64 s0, 7, v26
	v_cndmask_b32_e64 v15, 0xc61c4000, v15, s0
	v_cmp_ne_u32_e64 s0, 6, v26
	s_delay_alu instid0(VALU_DEP_1) | instskip(SKIP_1) | instid1(VALU_DEP_1)
	v_cndmask_b32_e64 v14, 0xc61c4000, v14, s0
	v_cmp_ne_u32_e64 s0, 5, v26
	v_cndmask_b32_e64 v13, 0xc61c4000, v13, s0
	v_cmp_ne_u32_e64 s0, 4, v26
	s_delay_alu instid0(VALU_DEP_1) | instskip(SKIP_1) | instid1(VALU_DEP_1)
	v_cndmask_b32_e64 v12, 0xc61c4000, v12, s0
	;; [unrolled: 5-line block ×3, first 2 shown]
	v_cmp_ne_u32_e64 s0, 1, v26
	v_cndmask_b32_e64 v9, 0xc61c4000, v9, s0
	v_cmp_ne_u32_e64 s0, 0, v26
	s_delay_alu instid0(VALU_DEP_1)
	v_cndmask_b32_e64 v8, 0xc61c4000, v8, s0
	s_branch .LBB81_8
.LBB81_31:
                                        ; implicit-def: $vgpr8_vgpr9_vgpr10_vgpr11_vgpr12_vgpr13_vgpr14_vgpr15
	s_and_not1_b32 vcc_lo, exec_lo, s8
	s_cbranch_vccz .LBB81_5
	s_branch .LBB81_6
.LBB81_32:
	v_mov_b32_e32 v23, 0
.LBB81_33:
	v_cmp_eq_u32_e64 s0, 0, v17
	s_delay_alu instid0(VALU_DEP_1) | instskip(NEXT) | instid1(SALU_CYCLE_1)
	s_and_b32 s0, s0, vcc_lo
	s_and_b32 exec_lo, exec_lo, s0
	s_cbranch_execz .LBB81_37
; %bb.34:
	s_and_not1_b32 vcc_lo, exec_lo, s3
	s_cbranch_vccnz .LBB81_37
; %bb.35:
	v_mul_lo_u32 v0, v16, s4
	v_cmp_lt_f32_e32 vcc_lo, 0, v23
	v_cndmask_b32_e32 v2, 1.0, v23, vcc_lo
	s_delay_alu instid0(VALU_DEP_3) | instskip(NEXT) | instid1(VALU_DEP_1)
	v_ashrrev_i32_e32 v1, 31, v0
	v_lshlrev_b64 v[0:1], 2, v[0:1]
	s_delay_alu instid0(VALU_DEP_1) | instskip(NEXT) | instid1(VALU_DEP_2)
	v_add_co_u32 v0, vcc_lo, s12, v0
	v_add_co_ci_u32_e32 v1, vcc_lo, s13, v1, vcc_lo
	.p2align	6
.LBB81_36:                              ; =>This Inner Loop Header: Depth=1
	global_load_b32 v3, v[0:1], off
	s_add_i32 s4, s4, -1
	s_delay_alu instid0(SALU_CYCLE_1) | instskip(SKIP_3) | instid1(VALU_DEP_2)
	s_cmp_lg_u32 s4, 0
	s_waitcnt vmcnt(0)
	v_div_scale_f32 v4, null, v2, v2, v3
	v_div_scale_f32 v7, vcc_lo, v3, v2, v3
	v_rcp_f32_e32 v5, v4
	s_waitcnt_depctr 0xfff
	v_fma_f32 v6, -v4, v5, 1.0
	s_delay_alu instid0(VALU_DEP_1) | instskip(NEXT) | instid1(VALU_DEP_1)
	v_fmac_f32_e32 v5, v6, v5
	v_mul_f32_e32 v6, v7, v5
	s_delay_alu instid0(VALU_DEP_1) | instskip(NEXT) | instid1(VALU_DEP_1)
	v_fma_f32 v8, -v4, v6, v7
	v_fmac_f32_e32 v6, v8, v5
	s_delay_alu instid0(VALU_DEP_1) | instskip(NEXT) | instid1(VALU_DEP_1)
	v_fma_f32 v4, -v4, v6, v7
	v_div_fmas_f32 v4, v4, v5, v6
	s_delay_alu instid0(VALU_DEP_1)
	v_div_fixup_f32 v3, v4, v2, v3
	global_store_b32 v[0:1], v3, off
	v_add_co_u32 v0, vcc_lo, v0, 4
	v_add_co_ci_u32_e32 v1, vcc_lo, 0, v1, vcc_lo
	s_cbranch_scc1 .LBB81_36
.LBB81_37:
	s_nop 0
	s_sendmsg sendmsg(MSG_DEALLOC_VGPRS)
	s_endpgm
	.section	.rodata,"a",@progbits
	.p2align	6, 0x0
	.amdhsa_kernel _ZN4vllm3moe10topkGatingILi8ELi128ELi4ELi16ELi32Ei6__halfLNS0_11ScoringFuncE0EEEvPKT5_PKbPfiPT4_PiiiibPKf
		.amdhsa_group_segment_fixed_size 0
		.amdhsa_private_segment_fixed_size 0
		.amdhsa_kernarg_size 72
		.amdhsa_user_sgpr_count 15
		.amdhsa_user_sgpr_dispatch_ptr 0
		.amdhsa_user_sgpr_queue_ptr 0
		.amdhsa_user_sgpr_kernarg_segment_ptr 1
		.amdhsa_user_sgpr_dispatch_id 0
		.amdhsa_user_sgpr_private_segment_size 0
		.amdhsa_wavefront_size32 1
		.amdhsa_uses_dynamic_stack 0
		.amdhsa_enable_private_segment 0
		.amdhsa_system_sgpr_workgroup_id_x 1
		.amdhsa_system_sgpr_workgroup_id_y 0
		.amdhsa_system_sgpr_workgroup_id_z 0
		.amdhsa_system_sgpr_workgroup_info 0
		.amdhsa_system_vgpr_workitem_id 1
		.amdhsa_next_free_vgpr 38
		.amdhsa_next_free_sgpr 18
		.amdhsa_reserve_vcc 1
		.amdhsa_float_round_mode_32 0
		.amdhsa_float_round_mode_16_64 0
		.amdhsa_float_denorm_mode_32 3
		.amdhsa_float_denorm_mode_16_64 3
		.amdhsa_dx10_clamp 1
		.amdhsa_ieee_mode 1
		.amdhsa_fp16_overflow 0
		.amdhsa_workgroup_processor_mode 1
		.amdhsa_memory_ordered 1
		.amdhsa_forward_progress 0
		.amdhsa_shared_vgpr_count 0
		.amdhsa_exception_fp_ieee_invalid_op 0
		.amdhsa_exception_fp_denorm_src 0
		.amdhsa_exception_fp_ieee_div_zero 0
		.amdhsa_exception_fp_ieee_overflow 0
		.amdhsa_exception_fp_ieee_underflow 0
		.amdhsa_exception_fp_ieee_inexact 0
		.amdhsa_exception_int_div_zero 0
	.end_amdhsa_kernel
	.section	.text._ZN4vllm3moe10topkGatingILi8ELi128ELi4ELi16ELi32Ei6__halfLNS0_11ScoringFuncE0EEEvPKT5_PKbPfiPT4_PiiiibPKf,"axG",@progbits,_ZN4vllm3moe10topkGatingILi8ELi128ELi4ELi16ELi32Ei6__halfLNS0_11ScoringFuncE0EEEvPKT5_PKbPfiPT4_PiiiibPKf,comdat
.Lfunc_end81:
	.size	_ZN4vllm3moe10topkGatingILi8ELi128ELi4ELi16ELi32Ei6__halfLNS0_11ScoringFuncE0EEEvPKT5_PKbPfiPT4_PiiiibPKf, .Lfunc_end81-_ZN4vllm3moe10topkGatingILi8ELi128ELi4ELi16ELi32Ei6__halfLNS0_11ScoringFuncE0EEEvPKT5_PKbPfiPT4_PiiiibPKf
                                        ; -- End function
	.section	.AMDGPU.csdata,"",@progbits
; Kernel info:
; codeLenInByte = 3416
; NumSgprs: 20
; NumVgprs: 38
; ScratchSize: 0
; MemoryBound: 0
; FloatMode: 240
; IeeeMode: 1
; LDSByteSize: 0 bytes/workgroup (compile time only)
; SGPRBlocks: 2
; VGPRBlocks: 4
; NumSGPRsForWavesPerEU: 20
; NumVGPRsForWavesPerEU: 38
; Occupancy: 16
; WaveLimiterHint : 0
; COMPUTE_PGM_RSRC2:SCRATCH_EN: 0
; COMPUTE_PGM_RSRC2:USER_SGPR: 15
; COMPUTE_PGM_RSRC2:TRAP_HANDLER: 0
; COMPUTE_PGM_RSRC2:TGID_X_EN: 1
; COMPUTE_PGM_RSRC2:TGID_Y_EN: 0
; COMPUTE_PGM_RSRC2:TGID_Z_EN: 0
; COMPUTE_PGM_RSRC2:TIDIG_COMP_CNT: 1
	.section	.text._ZN4vllm3moe10topkGatingILi8ELi256ELi4ELi16ELi64Ei6__halfLNS0_11ScoringFuncE0EEEvPKT5_PKbPfiPT4_PiiiibPKf,"axG",@progbits,_ZN4vllm3moe10topkGatingILi8ELi256ELi4ELi16ELi64Ei6__halfLNS0_11ScoringFuncE0EEEvPKT5_PKbPfiPT4_PiiiibPKf,comdat
	.protected	_ZN4vllm3moe10topkGatingILi8ELi256ELi4ELi16ELi64Ei6__halfLNS0_11ScoringFuncE0EEEvPKT5_PKbPfiPT4_PiiiibPKf ; -- Begin function _ZN4vllm3moe10topkGatingILi8ELi256ELi4ELi16ELi64Ei6__halfLNS0_11ScoringFuncE0EEEvPKT5_PKbPfiPT4_PiiiibPKf
	.globl	_ZN4vllm3moe10topkGatingILi8ELi256ELi4ELi16ELi64Ei6__halfLNS0_11ScoringFuncE0EEEvPKT5_PKbPfiPT4_PiiiibPKf
	.p2align	8
	.type	_ZN4vllm3moe10topkGatingILi8ELi256ELi4ELi16ELi64Ei6__halfLNS0_11ScoringFuncE0EEEvPKT5_PKbPfiPT4_PiiiibPKf,@function
_ZN4vllm3moe10topkGatingILi8ELi256ELi4ELi16ELi64Ei6__halfLNS0_11ScoringFuncE0EEEvPKT5_PKbPfiPT4_PiiiibPKf: ; @_ZN4vllm3moe10topkGatingILi8ELi256ELi4ELi16ELi64Ei6__halfLNS0_11ScoringFuncE0EEEvPKT5_PKbPfiPT4_PiiiibPKf
; %bb.0:
	s_load_b32 s14, s[0:1], 0x18
	v_bfe_u32 v1, v0, 10, 10
	v_and_b32_e32 v0, 0x3ff, v0
	s_lshl_b32 s2, s15, 3
	s_delay_alu instid0(VALU_DEP_2) | instskip(NEXT) | instid1(VALU_DEP_2)
	v_lshlrev_b32_e32 v1, 1, v1
	v_lshrrev_b32_e32 v2, 5, v0
	s_delay_alu instid0(VALU_DEP_1) | instskip(SKIP_2) | instid1(VALU_DEP_1)
	v_add3_u32 v16, s2, v1, v2
	s_mov_b32 s2, exec_lo
	s_waitcnt lgkmcnt(0)
	v_cmpx_gt_i32_e64 s14, v16
	s_cbranch_execz .LBB82_41
; %bb.1:
	s_clause 0x1
	s_load_b128 s[4:7], s[0:1], 0x0
	s_load_b64 s[12:13], s[0:1], 0x10
	s_mov_b32 s8, -1
	s_mov_b32 s15, -1
	s_waitcnt lgkmcnt(0)
	s_cmp_eq_u64 s[6:7], 0
	s_cbranch_scc1 .LBB82_3
; %bb.2:
	v_ashrrev_i32_e32 v2, 31, v16
	v_add_co_u32 v1, vcc_lo, s6, v16
	s_delay_alu instid0(VALU_DEP_2) | instskip(SKIP_3) | instid1(VALU_DEP_1)
	v_add_co_ci_u32_e32 v2, vcc_lo, s7, v2, vcc_lo
	global_load_u8 v1, v[1:2], off
	s_waitcnt vmcnt(0)
	v_and_b32_e32 v1, 1, v1
	v_cmp_eq_u32_e32 vcc_lo, 1, v1
	s_xor_b32 s2, vcc_lo, -1
	s_delay_alu instid0(SALU_CYCLE_1)
	s_or_not1_b32 s15, s2, exec_lo
.LBB82_3:
	v_lshlrev_b32_e32 v1, 8, v16
	v_and_b32_e32 v17, 31, v0
	v_mbcnt_lo_u32_b32 v6, -1, 0
	s_load_b64 s[2:3], s[0:1], 0x40
	s_delay_alu instid0(VALU_DEP_3) | instskip(NEXT) | instid1(VALU_DEP_2)
	v_ashrrev_i32_e32 v2, 31, v1
	v_xor_b32_e32 v11, 8, v6
	v_xor_b32_e32 v9, 16, v6
	s_delay_alu instid0(VALU_DEP_3) | instskip(SKIP_1) | instid1(VALU_DEP_2)
	v_lshlrev_b64 v[0:1], 1, v[1:2]
	v_lshlrev_b32_e32 v2, 4, v17
	v_add_co_u32 v0, vcc_lo, s4, v0
	s_delay_alu instid0(VALU_DEP_3) | instskip(NEXT) | instid1(VALU_DEP_2)
	v_add_co_ci_u32_e32 v1, vcc_lo, s5, v1, vcc_lo
	v_add_co_u32 v0, vcc_lo, v0, v2
	s_delay_alu instid0(VALU_DEP_2)
	v_add_co_ci_u32_e32 v1, vcc_lo, 0, v1, vcc_lo
	v_cmp_gt_i32_e32 vcc_lo, 32, v9
	s_waitcnt lgkmcnt(0)
	s_cmp_eq_u64 s[2:3], 0
	global_load_b128 v[0:3], v[0:1], off
	v_cndmask_b32_e32 v9, v6, v9, vcc_lo
	v_cmp_gt_i32_e32 vcc_lo, 32, v11
	v_cndmask_b32_e32 v11, v6, v11, vcc_lo
	s_delay_alu instid0(VALU_DEP_1) | instskip(SKIP_1) | instid1(VALU_DEP_1)
	v_lshlrev_b32_e32 v19, 2, v11
	v_xor_b32_e32 v11, 4, v6
	v_cmp_gt_i32_e32 vcc_lo, 32, v11
	v_dual_cndmask_b32 v11, v6, v11 :: v_dual_lshlrev_b32 v18, 2, v9
	s_delay_alu instid0(VALU_DEP_1) | instskip(SKIP_1) | instid1(VALU_DEP_1)
	v_lshlrev_b32_e32 v20, 2, v11
	v_xor_b32_e32 v11, 2, v6
	v_cmp_gt_i32_e32 vcc_lo, 32, v11
	v_cndmask_b32_e32 v11, v6, v11, vcc_lo
	s_delay_alu instid0(VALU_DEP_1) | instskip(SKIP_1) | instid1(VALU_DEP_1)
	v_lshlrev_b32_e32 v21, 2, v11
	v_xor_b32_e32 v11, 1, v6
	v_cmp_gt_i32_e32 vcc_lo, 32, v11
	v_cndmask_b32_e32 v6, v6, v11, vcc_lo
	s_delay_alu instid0(VALU_DEP_1)
	v_lshlrev_b32_e32 v22, 2, v6
	s_waitcnt vmcnt(0)
	v_lshrrev_b32_e32 v4, 16, v0
	v_cvt_f32_f16_e32 v0, v0
	v_lshrrev_b32_e32 v5, 16, v1
	v_cvt_f32_f16_e32 v1, v1
	;; [unrolled: 2-line block ×3, first 2 shown]
	v_cvt_f32_f16_e32 v2, v2
	v_cvt_f32_f16_e32 v5, v5
	v_lshrrev_b32_e32 v10, 16, v3
	v_cvt_f32_f16_e32 v7, v7
	v_max_f32_e32 v8, v0, v4
	v_cvt_f32_f16_e32 v3, v3
	s_delay_alu instid0(VALU_DEP_4) | instskip(NEXT) | instid1(VALU_DEP_3)
	v_cvt_f32_f16_e32 v10, v10
	v_max3_f32 v8, v8, v1, v5
	s_delay_alu instid0(VALU_DEP_1) | instskip(NEXT) | instid1(VALU_DEP_1)
	v_max3_f32 v8, v8, v2, v7
	v_max3_f32 v8, v8, v3, v10
	ds_bpermute_b32 v9, v18, v8
	s_waitcnt lgkmcnt(0)
	v_max_f32_e32 v9, v9, v9
	s_delay_alu instid0(VALU_DEP_1) | instskip(SKIP_3) | instid1(VALU_DEP_1)
	v_max_f32_e32 v8, v8, v9
	ds_bpermute_b32 v9, v19, v8
	s_waitcnt lgkmcnt(0)
	v_max_f32_e32 v9, v9, v9
	v_max_f32_e32 v8, v8, v9
	ds_bpermute_b32 v9, v20, v8
	s_waitcnt lgkmcnt(0)
	v_max_f32_e32 v9, v9, v9
	s_delay_alu instid0(VALU_DEP_1) | instskip(SKIP_3) | instid1(VALU_DEP_1)
	v_max_f32_e32 v8, v8, v9
	ds_bpermute_b32 v9, v21, v8
	s_waitcnt lgkmcnt(0)
	v_max_f32_e32 v9, v9, v9
	v_max_f32_e32 v6, v8, v9
	ds_bpermute_b32 v8, v22, v6
	s_waitcnt lgkmcnt(0)
	v_max_f32_e32 v8, v8, v8
	s_delay_alu instid0(VALU_DEP_1) | instskip(NEXT) | instid1(VALU_DEP_1)
	v_max_f32_e32 v6, v6, v8
	v_sub_f32_e32 v5, v5, v6
	s_delay_alu instid0(VALU_DEP_1) | instskip(NEXT) | instid1(VALU_DEP_1)
	v_dual_sub_f32 v4, v4, v6 :: v_dual_mul_f32 v11, 0x3fb8aa3b, v5
	v_dual_sub_f32 v0, v0, v6 :: v_dual_mul_f32 v9, 0x3fb8aa3b, v4
	v_sub_f32_e32 v1, v1, v6
	s_delay_alu instid0(VALU_DEP_3) | instskip(NEXT) | instid1(VALU_DEP_3)
	v_rndne_f32_e32 v30, v11
	v_mul_f32_e32 v8, 0x3fb8aa3b, v0
	s_delay_alu instid0(VALU_DEP_4) | instskip(SKIP_2) | instid1(VALU_DEP_4)
	v_fma_f32 v25, 0x3fb8aa3b, v4, -v9
	v_rndne_f32_e32 v26, v9
	v_cmp_ngt_f32_e32 vcc_lo, 0xc2ce8ed0, v0
	v_fma_f32 v23, 0x3fb8aa3b, v0, -v8
	v_rndne_f32_e32 v24, v8
	v_sub_f32_e32 v3, v3, v6
	v_sub_f32_e32 v9, v9, v26
	v_cvt_i32_f32_e32 v26, v26
	v_fmac_f32_e32 v23, 0x32a5705f, v0
	v_dual_sub_f32 v8, v8, v24 :: v_dual_sub_f32 v7, v7, v6
	v_mul_f32_e32 v14, 0x3fb8aa3b, v3
	v_sub_f32_e32 v2, v2, v6
	v_sub_f32_e32 v6, v10, v6
	v_mul_f32_e32 v10, 0x3fb8aa3b, v1
	v_dual_fmac_f32 v25, 0x32a5705f, v4 :: v_dual_add_f32 v8, v8, v23
	s_delay_alu instid0(VALU_DEP_4) | instskip(NEXT) | instid1(VALU_DEP_3)
	v_dual_mul_f32 v13, 0x3fb8aa3b, v7 :: v_dual_mul_f32 v12, 0x3fb8aa3b, v2
	v_fma_f32 v27, 0x3fb8aa3b, v1, -v10
	s_delay_alu instid0(VALU_DEP_3) | instskip(SKIP_4) | instid1(VALU_DEP_4)
	v_add_f32_e32 v9, v9, v25
	v_rndne_f32_e32 v28, v10
	v_mul_f32_e32 v15, 0x3fb8aa3b, v6
	v_fma_f32 v29, 0x3fb8aa3b, v5, -v11
	v_rndne_f32_e32 v36, v14
	v_dual_fmac_f32 v27, 0x32a5705f, v1 :: v_dual_sub_f32 v10, v10, v28
	v_exp_f32_e32 v8, v8
	v_fma_f32 v35, 0x3fb8aa3b, v3, -v14
	s_delay_alu instid0(VALU_DEP_3)
	v_sub_f32_e32 v14, v14, v36
	v_cvt_i32_f32_e32 v24, v24
	v_dual_fmac_f32 v29, 0x32a5705f, v5 :: v_dual_add_f32 v10, v10, v27
	v_exp_f32_e32 v9, v9
	v_fma_f32 v33, 0x3fb8aa3b, v7, -v13
	v_cvt_i32_f32_e32 v28, v28
	v_fma_f32 v31, 0x3fb8aa3b, v2, -v12
	v_exp_f32_e32 v10, v10
	v_ldexp_f32 v8, v8, v24
	v_fmac_f32_e32 v33, 0x32a5705f, v7
	v_rndne_f32_e32 v32, v12
	v_rndne_f32_e32 v34, v13
	v_rndne_f32_e32 v38, v15
	v_cndmask_b32_e32 v8, 0, v8, vcc_lo
	v_ldexp_f32 v9, v9, v26
	v_cmp_ngt_f32_e32 vcc_lo, 0xc2ce8ed0, v4
	v_sub_f32_e32 v12, v12, v32
	v_ldexp_f32 v10, v10, v28
	v_cvt_i32_f32_e32 v32, v32
	v_fma_f32 v37, 0x3fb8aa3b, v6, -v15
	v_cndmask_b32_e32 v9, 0, v9, vcc_lo
	v_cmp_ngt_f32_e32 vcc_lo, 0xc2ce8ed0, v1
	v_fmac_f32_e32 v35, 0x32a5705f, v3
	v_cvt_i32_f32_e32 v23, v36
	v_cvt_i32_f32_e32 v25, v38
	v_cndmask_b32_e32 v10, 0, v10, vcc_lo
	s_delay_alu instid0(VALU_DEP_4) | instskip(SKIP_3) | instid1(VALU_DEP_4)
	v_dual_fmac_f32 v31, 0x32a5705f, v2 :: v_dual_add_f32 v14, v14, v35
	v_sub_f32_e32 v11, v11, v30
	v_cmp_nlt_f32_e32 vcc_lo, 0x42b17218, v0
	v_cvt_i32_f32_e32 v30, v30
	v_dual_add_f32 v12, v12, v31 :: v_dual_sub_f32 v13, v13, v34
	v_cvt_i32_f32_e32 v34, v34
	v_cndmask_b32_e32 v0, 0x7f800000, v8, vcc_lo
	v_cmp_nlt_f32_e32 vcc_lo, 0x42b17218, v4
	s_delay_alu instid0(VALU_DEP_4) | instskip(SKIP_4) | instid1(VALU_DEP_2)
	v_exp_f32_e32 v12, v12
	v_sub_f32_e32 v15, v15, v38
	v_exp_f32_e32 v14, v14
	v_cndmask_b32_e32 v4, 0x7f800000, v9, vcc_lo
	v_cmp_ngt_f32_e32 vcc_lo, 0xc2ce8ed0, v5
	v_add_f32_e32 v9, v0, v4
	s_waitcnt_depctr 0xfff
	v_ldexp_f32 v12, v12, v32
	v_add_f32_e32 v11, v11, v29
	v_ldexp_f32 v14, v14, v23
	s_delay_alu instid0(VALU_DEP_2) | instskip(SKIP_2) | instid1(VALU_DEP_1)
	v_exp_f32_e32 v11, v11
	s_waitcnt_depctr 0xfff
	v_ldexp_f32 v11, v11, v30
	v_dual_fmac_f32 v37, 0x32a5705f, v6 :: v_dual_cndmask_b32 v8, 0, v11
	v_cmp_nlt_f32_e32 vcc_lo, 0x42b17218, v1
	v_cndmask_b32_e32 v1, 0x7f800000, v10, vcc_lo
	v_cmp_ngt_f32_e32 vcc_lo, 0xc2ce8ed0, v2
	v_dual_cndmask_b32 v10, 0, v12 :: v_dual_add_f32 v13, v13, v33
	v_cmp_nlt_f32_e32 vcc_lo, 0x42b17218, v5
	s_delay_alu instid0(VALU_DEP_2) | instskip(SKIP_2) | instid1(VALU_DEP_2)
	v_exp_f32_e32 v13, v13
	v_dual_cndmask_b32 v5, 0x7f800000, v8 :: v_dual_add_f32 v8, v9, v1
	v_cmp_ngt_f32_e32 vcc_lo, 0xc2ce8ed0, v7
	v_add_f32_e32 v8, v8, v5
	s_waitcnt_depctr 0xfff
	v_ldexp_f32 v13, v13, v34
	s_delay_alu instid0(VALU_DEP_1) | instskip(SKIP_3) | instid1(VALU_DEP_2)
	v_cndmask_b32_e32 v9, 0, v13, vcc_lo
	v_cmp_nlt_f32_e32 vcc_lo, 0x42b17218, v2
	v_cndmask_b32_e32 v2, 0x7f800000, v10, vcc_lo
	v_cmp_ngt_f32_e32 vcc_lo, 0xc2ce8ed0, v3
	v_dual_add_f32 v15, v15, v37 :: v_dual_add_f32 v8, v8, v2
	v_cndmask_b32_e32 v10, 0, v14, vcc_lo
	s_delay_alu instid0(VALU_DEP_2)
	v_exp_f32_e32 v15, v15
	v_cmp_nlt_f32_e32 vcc_lo, 0x42b17218, v7
	v_cndmask_b32_e32 v7, 0x7f800000, v9, vcc_lo
	v_cmp_ngt_f32_e32 vcc_lo, 0xc2ce8ed0, v6
	s_waitcnt_depctr 0xfff
	v_ldexp_f32 v15, v15, v25
	v_add_f32_e32 v8, v8, v7
	s_delay_alu instid0(VALU_DEP_2) | instskip(SKIP_3) | instid1(VALU_DEP_2)
	v_cndmask_b32_e32 v9, 0, v15, vcc_lo
	v_cmp_nlt_f32_e32 vcc_lo, 0x42b17218, v3
	v_cndmask_b32_e32 v3, 0x7f800000, v10, vcc_lo
	v_cmp_nlt_f32_e32 vcc_lo, 0x42b17218, v6
	v_add_f32_e32 v8, v8, v3
	v_cndmask_b32_e32 v6, 0x7f800000, v9, vcc_lo
	s_delay_alu instid0(VALU_DEP_1)
	v_add_f32_e32 v8, v8, v6
	ds_bpermute_b32 v9, v18, v8
	s_waitcnt lgkmcnt(0)
	v_add_f32_e32 v8, v8, v9
	ds_bpermute_b32 v9, v19, v8
	s_waitcnt lgkmcnt(0)
	v_add_f32_e32 v8, v8, v9
	ds_bpermute_b32 v9, v20, v8
	s_waitcnt lgkmcnt(0)
	v_add_f32_e32 v8, v8, v9
	ds_bpermute_b32 v9, v21, v8
	s_waitcnt lgkmcnt(0)
	v_add_f32_e32 v8, v8, v9
	ds_bpermute_b32 v9, v22, v8
	s_waitcnt lgkmcnt(0)
	v_add_f32_e32 v8, v8, v9
	s_delay_alu instid0(VALU_DEP_1) | instskip(SKIP_1) | instid1(VALU_DEP_2)
	v_div_scale_f32 v9, null, v8, v8, 1.0
	v_div_scale_f32 v12, vcc_lo, 1.0, v8, 1.0
	v_rcp_f32_e32 v10, v9
	s_waitcnt_depctr 0xfff
	v_fma_f32 v11, -v9, v10, 1.0
	s_delay_alu instid0(VALU_DEP_1) | instskip(NEXT) | instid1(VALU_DEP_1)
	v_fmac_f32_e32 v10, v11, v10
	v_mul_f32_e32 v11, v12, v10
	s_delay_alu instid0(VALU_DEP_1) | instskip(NEXT) | instid1(VALU_DEP_1)
	v_fma_f32 v13, -v9, v11, v12
	v_fmac_f32_e32 v11, v13, v10
	s_delay_alu instid0(VALU_DEP_1) | instskip(NEXT) | instid1(VALU_DEP_1)
	v_fma_f32 v9, -v9, v11, v12
	v_div_fmas_f32 v9, v9, v10, v11
	s_delay_alu instid0(VALU_DEP_1) | instskip(NEXT) | instid1(VALU_DEP_1)
	v_div_fixup_f32 v8, v9, v8, 1.0
	v_dual_mul_f32 v0, v8, v0 :: v_dual_lshlrev_b32 v23, 3, v17
	v_mul_f32_e32 v10, v8, v2
	v_mul_f32_e32 v5, v8, v5
	;; [unrolled: 1-line block ×4, first 2 shown]
	v_cmp_class_f32_e64 vcc_lo, v0, 0x1f8
	v_dual_mul_f32 v9, v8, v1 :: v_dual_cndmask_b32 v0, 0, v0
	s_delay_alu instid0(VALU_DEP_4) | instskip(SKIP_1) | instid1(VALU_DEP_3)
	v_cmp_class_f32_e64 vcc_lo, v4, 0x1f8
	v_cndmask_b32_e32 v1, 0, v4, vcc_lo
	v_cmp_class_f32_e64 vcc_lo, v9, 0x1f8
	v_mul_f32_e32 v7, v8, v7
	v_mul_f32_e32 v8, v8, v6
	v_cndmask_b32_e32 v2, 0, v9, vcc_lo
	v_cmp_class_f32_e64 vcc_lo, v5, 0x1f8
	v_cndmask_b32_e32 v3, 0, v5, vcc_lo
	v_cmp_class_f32_e64 vcc_lo, v10, 0x1f8
	;; [unrolled: 2-line block ×5, first 2 shown]
	v_cndmask_b32_e32 v7, 0, v8, vcc_lo
	s_cbranch_scc1 .LBB82_35
; %bb.4:
	v_lshlrev_b32_e32 v12, 2, v23
	s_clause 0x1
	global_load_b128 v[8:11], v12, s[2:3]
	global_load_b128 v[12:15], v12, s[2:3] offset:16
	s_waitcnt vmcnt(1)
	v_dual_add_f32 v9, v9, v1 :: v_dual_add_f32 v8, v8, v0
	v_dual_add_f32 v11, v11, v3 :: v_dual_add_f32 v10, v10, v2
	s_waitcnt vmcnt(0)
	v_dual_add_f32 v13, v13, v5 :: v_dual_add_f32 v12, v12, v4
	v_dual_add_f32 v15, v15, v7 :: v_dual_add_f32 v14, v14, v6
	s_cbranch_execnz .LBB82_6
.LBB82_5:
	v_dual_mov_b32 v15, v7 :: v_dual_mov_b32 v14, v6
	v_dual_mov_b32 v13, v5 :: v_dual_mov_b32 v12, v4
	;; [unrolled: 1-line block ×4, first 2 shown]
.LBB82_6:
	s_load_b128 s[4:7], s[0:1], 0x30
	v_cmp_eq_u32_e64 s2, 0, v17
	s_waitcnt lgkmcnt(0)
	s_bitcmp1_b32 s7, 0
	s_mov_b32 s7, 0
	s_cselect_b32 vcc_lo, -1, 0
	s_cmp_gt_i32 s4, 0
	s_cselect_b32 s3, -1, 0
	s_cmp_lt_i32 s4, 1
	s_cbranch_scc1 .LBB82_36
; %bb.7:
	s_load_b128 s[8:11], s[0:1], 0x20
	v_mul_lo_u32 v25, v16, s4
	v_mov_b32_e32 v24, 0
	v_mov_b32_e32 v26, v16
	s_branch .LBB82_10
.LBB82_8:                               ;   in Loop: Header=BB82_10 Depth=1
	s_or_b32 exec_lo, exec_lo, s1
.LBB82_9:                               ;   in Loop: Header=BB82_10 Depth=1
	v_add_nc_u32_e32 v26, s14, v26
	s_cmp_eq_u32 s4, s7
	s_cbranch_scc1 .LBB82_37
.LBB82_10:                              ; =>This Inner Loop Header: Depth=1
	v_cmp_gt_f32_e64 s0, v9, v8
	s_mov_b32 s17, exec_lo
	s_delay_alu instid0(VALU_DEP_1) | instskip(SKIP_2) | instid1(VALU_DEP_3)
	v_cndmask_b32_e64 v27, v8, v9, s0
	v_cndmask_b32_e64 v28, 0, 1, s0
	;; [unrolled: 1-line block ×3, first 2 shown]
	v_cmp_gt_f32_e64 s1, v10, v27
	s_delay_alu instid0(VALU_DEP_1) | instskip(NEXT) | instid1(VALU_DEP_4)
	v_cndmask_b32_e64 v27, v27, v10, s1
	v_cndmask_b32_e64 v28, v28, 2, s1
	s_delay_alu instid0(VALU_DEP_4) | instskip(NEXT) | instid1(VALU_DEP_3)
	v_cndmask_b32_e64 v29, v29, v2, s1
	v_cmp_gt_f32_e64 s0, v11, v27
	s_delay_alu instid0(VALU_DEP_1) | instskip(NEXT) | instid1(VALU_DEP_4)
	v_cndmask_b32_e64 v27, v27, v11, s0
	v_cndmask_b32_e64 v28, v28, 3, s0
	s_delay_alu instid0(VALU_DEP_4) | instskip(NEXT) | instid1(VALU_DEP_3)
	v_cndmask_b32_e64 v29, v29, v3, s0
	;; [unrolled: 6-line block ×4, first 2 shown]
	v_cmp_gt_f32_e64 s1, v14, v27
	s_delay_alu instid0(VALU_DEP_1) | instskip(NEXT) | instid1(VALU_DEP_4)
	v_cndmask_b32_e64 v27, v27, v14, s1
	v_cndmask_b32_e64 v28, v28, 6, s1
	s_waitcnt lgkmcnt(0)
	v_cndmask_b32_e64 v30, v29, v6, s1
	s_delay_alu instid0(VALU_DEP_3) | instskip(NEXT) | instid1(VALU_DEP_1)
	v_cmp_gt_f32_e64 s0, v15, v27
	v_cndmask_b32_e64 v29, v27, v15, s0
	v_cndmask_b32_e64 v27, v28, 7, s0
	s_delay_alu instid0(VALU_DEP_4)
	v_cndmask_b32_e64 v28, v30, v7, s0
	ds_bpermute_b32 v30, v18, v29
	v_or_b32_e32 v27, v23, v27
	ds_bpermute_b32 v32, v18, v28
	ds_bpermute_b32 v31, v18, v27
	s_waitcnt lgkmcnt(0)
	v_cmp_lt_f32_e64 s16, v29, v30
	v_cmpx_nlt_f32_e32 v29, v30
; %bb.11:                               ;   in Loop: Header=BB82_10 Depth=1
	v_cmp_eq_f32_e64 s0, v29, v30
	v_cmp_lt_i32_e64 s1, v31, v27
	s_delay_alu instid0(VALU_DEP_1) | instskip(SKIP_2) | instid1(SALU_CYCLE_1)
	s_and_b32 s0, s0, s1
	s_and_not1_b32 s1, s16, exec_lo
	s_and_b32 s0, s0, exec_lo
	s_or_b32 s16, s1, s0
; %bb.12:                               ;   in Loop: Header=BB82_10 Depth=1
	s_or_b32 exec_lo, exec_lo, s17
	s_and_saveexec_b32 s0, s16
; %bb.13:                               ;   in Loop: Header=BB82_10 Depth=1
	v_dual_mov_b32 v28, v32 :: v_dual_mov_b32 v29, v30
	v_mov_b32_e32 v27, v31
; %bb.14:                               ;   in Loop: Header=BB82_10 Depth=1
	s_or_b32 exec_lo, exec_lo, s0
	ds_bpermute_b32 v31, v19, v29
	ds_bpermute_b32 v32, v19, v28
	;; [unrolled: 1-line block ×3, first 2 shown]
	s_mov_b32 s17, exec_lo
	s_waitcnt lgkmcnt(2)
	v_cmp_lt_f32_e64 s16, v29, v31
	v_cmpx_nlt_f32_e32 v29, v31
	s_cbranch_execz .LBB82_16
; %bb.15:                               ;   in Loop: Header=BB82_10 Depth=1
	v_cmp_eq_f32_e64 s0, v29, v31
	s_waitcnt lgkmcnt(0)
	v_cmp_lt_i32_e64 s1, v30, v27
	s_delay_alu instid0(VALU_DEP_1) | instskip(SKIP_2) | instid1(SALU_CYCLE_1)
	s_and_b32 s0, s0, s1
	s_and_not1_b32 s1, s16, exec_lo
	s_and_b32 s0, s0, exec_lo
	s_or_b32 s16, s1, s0
.LBB82_16:                              ;   in Loop: Header=BB82_10 Depth=1
	s_or_b32 exec_lo, exec_lo, s17
	s_delay_alu instid0(VALU_DEP_2)
	s_and_saveexec_b32 s0, s16
	s_cbranch_execz .LBB82_18
; %bb.17:                               ;   in Loop: Header=BB82_10 Depth=1
	s_waitcnt lgkmcnt(1)
	v_dual_mov_b32 v28, v32 :: v_dual_mov_b32 v29, v31
	s_waitcnt lgkmcnt(0)
	v_mov_b32_e32 v27, v30
.LBB82_18:                              ;   in Loop: Header=BB82_10 Depth=1
	s_or_b32 exec_lo, exec_lo, s0
	ds_bpermute_b32 v31, v20, v29
	s_waitcnt lgkmcnt(2)
	ds_bpermute_b32 v32, v20, v28
	s_waitcnt lgkmcnt(2)
	ds_bpermute_b32 v30, v20, v27
	s_mov_b32 s17, exec_lo
	s_waitcnt lgkmcnt(2)
	v_cmp_lt_f32_e64 s16, v29, v31
	v_cmpx_nlt_f32_e32 v29, v31
	s_cbranch_execz .LBB82_20
; %bb.19:                               ;   in Loop: Header=BB82_10 Depth=1
	v_cmp_eq_f32_e64 s0, v29, v31
	s_waitcnt lgkmcnt(0)
	v_cmp_lt_i32_e64 s1, v30, v27
	s_delay_alu instid0(VALU_DEP_1) | instskip(SKIP_2) | instid1(SALU_CYCLE_1)
	s_and_b32 s0, s0, s1
	s_and_not1_b32 s1, s16, exec_lo
	s_and_b32 s0, s0, exec_lo
	s_or_b32 s16, s1, s0
.LBB82_20:                              ;   in Loop: Header=BB82_10 Depth=1
	s_or_b32 exec_lo, exec_lo, s17
	s_delay_alu instid0(VALU_DEP_2)
	s_and_saveexec_b32 s0, s16
	s_cbranch_execz .LBB82_22
; %bb.21:                               ;   in Loop: Header=BB82_10 Depth=1
	s_waitcnt lgkmcnt(1)
	v_dual_mov_b32 v28, v32 :: v_dual_mov_b32 v29, v31
	s_waitcnt lgkmcnt(0)
	v_mov_b32_e32 v27, v30
.LBB82_22:                              ;   in Loop: Header=BB82_10 Depth=1
	s_or_b32 exec_lo, exec_lo, s0
	ds_bpermute_b32 v31, v21, v29
	s_waitcnt lgkmcnt(2)
	ds_bpermute_b32 v32, v21, v28
	s_waitcnt lgkmcnt(2)
	ds_bpermute_b32 v30, v21, v27
	s_mov_b32 s17, exec_lo
	s_waitcnt lgkmcnt(2)
	v_cmp_lt_f32_e64 s16, v29, v31
	v_cmpx_nlt_f32_e32 v29, v31
	s_cbranch_execz .LBB82_24
; %bb.23:                               ;   in Loop: Header=BB82_10 Depth=1
	v_cmp_eq_f32_e64 s0, v29, v31
	s_waitcnt lgkmcnt(0)
	v_cmp_lt_i32_e64 s1, v30, v27
	s_delay_alu instid0(VALU_DEP_1) | instskip(SKIP_2) | instid1(SALU_CYCLE_1)
	s_and_b32 s0, s0, s1
	s_and_not1_b32 s1, s16, exec_lo
	s_and_b32 s0, s0, exec_lo
	s_or_b32 s16, s1, s0
.LBB82_24:                              ;   in Loop: Header=BB82_10 Depth=1
	s_or_b32 exec_lo, exec_lo, s17
	s_delay_alu instid0(VALU_DEP_2)
	s_and_saveexec_b32 s0, s16
	s_cbranch_execz .LBB82_26
; %bb.25:                               ;   in Loop: Header=BB82_10 Depth=1
	s_waitcnt lgkmcnt(1)
	v_dual_mov_b32 v28, v32 :: v_dual_mov_b32 v29, v31
	s_waitcnt lgkmcnt(0)
	v_mov_b32_e32 v27, v30
.LBB82_26:                              ;   in Loop: Header=BB82_10 Depth=1
	s_or_b32 exec_lo, exec_lo, s0
	s_waitcnt lgkmcnt(1)
	ds_bpermute_b32 v32, v22, v29
	ds_bpermute_b32 v31, v22, v28
	s_waitcnt lgkmcnt(2)
	ds_bpermute_b32 v30, v22, v27
	s_mov_b32 s17, exec_lo
	s_waitcnt lgkmcnt(2)
	v_cmp_lt_f32_e64 s16, v29, v32
	v_cmpx_nlt_f32_e32 v29, v32
	s_cbranch_execnz .LBB82_30
; %bb.27:                               ;   in Loop: Header=BB82_10 Depth=1
	s_or_b32 exec_lo, exec_lo, s17
	s_delay_alu instid0(VALU_DEP_2)
	s_and_saveexec_b32 s0, s16
	s_cbranch_execnz .LBB82_31
.LBB82_28:                              ;   in Loop: Header=BB82_10 Depth=1
	s_or_b32 exec_lo, exec_lo, s0
	s_and_saveexec_b32 s16, s2
	s_cbranch_execnz .LBB82_32
.LBB82_29:                              ;   in Loop: Header=BB82_10 Depth=1
	s_or_b32 exec_lo, exec_lo, s16
	s_add_i32 s7, s7, 1
	s_delay_alu instid0(SALU_CYCLE_1)
	s_cmp_ge_i32 s7, s4
	s_cbranch_scc1 .LBB82_9
	s_branch .LBB82_33
.LBB82_30:                              ;   in Loop: Header=BB82_10 Depth=1
	v_cmp_eq_f32_e64 s0, v29, v32
	s_waitcnt lgkmcnt(0)
	v_cmp_lt_i32_e64 s1, v30, v27
	s_delay_alu instid0(VALU_DEP_1) | instskip(SKIP_2) | instid1(SALU_CYCLE_1)
	s_and_b32 s0, s0, s1
	s_and_not1_b32 s1, s16, exec_lo
	s_and_b32 s0, s0, exec_lo
	s_or_b32 s16, s1, s0
	s_or_b32 exec_lo, exec_lo, s17
	s_and_saveexec_b32 s0, s16
	s_cbranch_execz .LBB82_28
.LBB82_31:                              ;   in Loop: Header=BB82_10 Depth=1
	s_waitcnt lgkmcnt(0)
	v_dual_mov_b32 v28, v31 :: v_dual_mov_b32 v27, v30
	s_or_b32 exec_lo, exec_lo, s0
	s_and_saveexec_b32 s16, s2
	s_cbranch_execz .LBB82_29
.LBB82_32:                              ;   in Loop: Header=BB82_10 Depth=1
	s_delay_alu instid0(VALU_DEP_1)
	v_dual_add_f32 v36, v24, v28 :: v_dual_add_nc_u32 v29, s7, v25
	v_cmp_le_i32_e64 s0, s5, v27
	v_cmp_gt_i32_e64 s1, s6, v27
	s_waitcnt lgkmcnt(1)
	v_subrev_nc_u32_e32 v31, s5, v27
	s_waitcnt lgkmcnt(0)
	v_ashrrev_i32_e32 v30, 31, v29
	v_cndmask_b32_e32 v24, v24, v36, vcc_lo
	s_and_b32 s0, s0, s1
	s_delay_alu instid0(SALU_CYCLE_1) | instskip(NEXT) | instid1(VALU_DEP_2)
	s_and_b32 s0, s15, s0
	v_lshlrev_b64 v[29:30], 2, v[29:30]
	v_cndmask_b32_e64 v35, 0x100, v31, s0
	s_delay_alu instid0(VALU_DEP_2) | instskip(NEXT) | instid1(VALU_DEP_1)
	v_add_co_u32 v31, s0, s12, v29
	v_add_co_ci_u32_e64 v32, s0, s13, v30, s0
	v_add_co_u32 v33, s0, s8, v29
	s_delay_alu instid0(VALU_DEP_1) | instskip(SKIP_1) | instid1(VALU_DEP_1)
	v_add_co_ci_u32_e64 v34, s0, s9, v30, s0
	v_add_co_u32 v29, s0, s10, v29
	v_add_co_ci_u32_e64 v30, s0, s11, v30, s0
	global_store_b32 v[31:32], v28, off
	global_store_b32 v[33:34], v35, off
	;; [unrolled: 1-line block ×3, first 2 shown]
	s_or_b32 exec_lo, exec_lo, s16
	s_add_i32 s7, s7, 1
	s_delay_alu instid0(SALU_CYCLE_1)
	s_cmp_ge_i32 s7, s4
	s_cbranch_scc1 .LBB82_9
.LBB82_33:                              ;   in Loop: Header=BB82_10 Depth=1
	v_ashrrev_i32_e32 v28, 31, v27
	s_mov_b32 s1, exec_lo
	s_delay_alu instid0(VALU_DEP_1) | instskip(NEXT) | instid1(VALU_DEP_1)
	v_lshrrev_b32_e32 v29, 29, v28
	v_add_nc_u32_e32 v29, v27, v29
	s_waitcnt lgkmcnt(0)
	s_delay_alu instid0(VALU_DEP_1) | instskip(SKIP_1) | instid1(VALU_DEP_2)
	v_ashrrev_i32_e32 v30, 31, v29
	v_ashrrev_i32_e32 v29, 3, v29
	v_lshrrev_b32_e32 v30, 27, v30
	s_delay_alu instid0(VALU_DEP_1) | instskip(NEXT) | instid1(VALU_DEP_1)
	v_add_nc_u32_e32 v30, v29, v30
	v_and_b32_e32 v30, 0xffffffe0, v30
	s_delay_alu instid0(VALU_DEP_1) | instskip(NEXT) | instid1(VALU_DEP_1)
	v_sub_nc_u32_e32 v30, v29, v30
	v_cmpx_eq_u32_e64 v17, v30
	s_cbranch_execz .LBB82_8
; %bb.34:                               ;   in Loop: Header=BB82_10 Depth=1
	v_lshrrev_b32_e32 v28, 24, v28
	v_lshlrev_b32_e32 v29, 3, v29
	s_delay_alu instid0(VALU_DEP_2) | instskip(NEXT) | instid1(VALU_DEP_2)
	v_add_nc_u32_e32 v28, v27, v28
	v_sub_nc_u32_e32 v27, v27, v29
	s_delay_alu instid0(VALU_DEP_2) | instskip(NEXT) | instid1(VALU_DEP_1)
	v_ashrrev_i32_e32 v28, 8, v28
	v_lshl_add_u32 v27, v28, 3, v27
	s_delay_alu instid0(VALU_DEP_1) | instskip(NEXT) | instid1(VALU_DEP_1)
	v_cmp_ne_u32_e64 s0, 7, v27
	v_cndmask_b32_e64 v15, 0xc61c4000, v15, s0
	v_cmp_ne_u32_e64 s0, 6, v27
	s_delay_alu instid0(VALU_DEP_1) | instskip(SKIP_1) | instid1(VALU_DEP_1)
	v_cndmask_b32_e64 v14, 0xc61c4000, v14, s0
	v_cmp_ne_u32_e64 s0, 5, v27
	v_cndmask_b32_e64 v13, 0xc61c4000, v13, s0
	v_cmp_ne_u32_e64 s0, 4, v27
	s_delay_alu instid0(VALU_DEP_1) | instskip(SKIP_1) | instid1(VALU_DEP_1)
	v_cndmask_b32_e64 v12, 0xc61c4000, v12, s0
	;; [unrolled: 5-line block ×3, first 2 shown]
	v_cmp_ne_u32_e64 s0, 1, v27
	v_cndmask_b32_e64 v9, 0xc61c4000, v9, s0
	v_cmp_ne_u32_e64 s0, 0, v27
	s_delay_alu instid0(VALU_DEP_1)
	v_cndmask_b32_e64 v8, 0xc61c4000, v8, s0
	s_branch .LBB82_8
.LBB82_35:
                                        ; implicit-def: $vgpr8_vgpr9_vgpr10_vgpr11_vgpr12_vgpr13_vgpr14_vgpr15
	s_and_not1_b32 vcc_lo, exec_lo, s8
	s_cbranch_vccz .LBB82_5
	s_branch .LBB82_6
.LBB82_36:
	v_mov_b32_e32 v24, 0
.LBB82_37:
	v_cmp_eq_u32_e64 s0, 0, v17
	s_delay_alu instid0(VALU_DEP_1) | instskip(NEXT) | instid1(SALU_CYCLE_1)
	s_and_b32 s0, s0, vcc_lo
	s_and_b32 exec_lo, exec_lo, s0
	s_cbranch_execz .LBB82_41
; %bb.38:
	s_and_not1_b32 vcc_lo, exec_lo, s3
	s_cbranch_vccnz .LBB82_41
; %bb.39:
	v_mul_lo_u32 v0, v16, s4
	v_cmp_lt_f32_e32 vcc_lo, 0, v24
	v_cndmask_b32_e32 v2, 1.0, v24, vcc_lo
	s_delay_alu instid0(VALU_DEP_3) | instskip(NEXT) | instid1(VALU_DEP_1)
	v_ashrrev_i32_e32 v1, 31, v0
	v_lshlrev_b64 v[0:1], 2, v[0:1]
	s_delay_alu instid0(VALU_DEP_1) | instskip(NEXT) | instid1(VALU_DEP_2)
	v_add_co_u32 v0, vcc_lo, s12, v0
	v_add_co_ci_u32_e32 v1, vcc_lo, s13, v1, vcc_lo
	.p2align	6
.LBB82_40:                              ; =>This Inner Loop Header: Depth=1
	global_load_b32 v3, v[0:1], off
	s_add_i32 s4, s4, -1
	s_delay_alu instid0(SALU_CYCLE_1) | instskip(SKIP_3) | instid1(VALU_DEP_2)
	s_cmp_lg_u32 s4, 0
	s_waitcnt vmcnt(0)
	v_div_scale_f32 v4, null, v2, v2, v3
	v_div_scale_f32 v7, vcc_lo, v3, v2, v3
	v_rcp_f32_e32 v5, v4
	s_waitcnt_depctr 0xfff
	v_fma_f32 v6, -v4, v5, 1.0
	s_delay_alu instid0(VALU_DEP_1) | instskip(NEXT) | instid1(VALU_DEP_1)
	v_fmac_f32_e32 v5, v6, v5
	v_mul_f32_e32 v6, v7, v5
	s_delay_alu instid0(VALU_DEP_1) | instskip(NEXT) | instid1(VALU_DEP_1)
	v_fma_f32 v8, -v4, v6, v7
	v_fmac_f32_e32 v6, v8, v5
	s_delay_alu instid0(VALU_DEP_1) | instskip(NEXT) | instid1(VALU_DEP_1)
	v_fma_f32 v4, -v4, v6, v7
	v_div_fmas_f32 v4, v4, v5, v6
	s_delay_alu instid0(VALU_DEP_1)
	v_div_fixup_f32 v3, v4, v2, v3
	global_store_b32 v[0:1], v3, off
	v_add_co_u32 v0, vcc_lo, v0, 4
	v_add_co_ci_u32_e32 v1, vcc_lo, 0, v1, vcc_lo
	s_cbranch_scc1 .LBB82_40
.LBB82_41:
	s_nop 0
	s_sendmsg sendmsg(MSG_DEALLOC_VGPRS)
	s_endpgm
	.section	.rodata,"a",@progbits
	.p2align	6, 0x0
	.amdhsa_kernel _ZN4vllm3moe10topkGatingILi8ELi256ELi4ELi16ELi64Ei6__halfLNS0_11ScoringFuncE0EEEvPKT5_PKbPfiPT4_PiiiibPKf
		.amdhsa_group_segment_fixed_size 0
		.amdhsa_private_segment_fixed_size 0
		.amdhsa_kernarg_size 72
		.amdhsa_user_sgpr_count 15
		.amdhsa_user_sgpr_dispatch_ptr 0
		.amdhsa_user_sgpr_queue_ptr 0
		.amdhsa_user_sgpr_kernarg_segment_ptr 1
		.amdhsa_user_sgpr_dispatch_id 0
		.amdhsa_user_sgpr_private_segment_size 0
		.amdhsa_wavefront_size32 1
		.amdhsa_uses_dynamic_stack 0
		.amdhsa_enable_private_segment 0
		.amdhsa_system_sgpr_workgroup_id_x 1
		.amdhsa_system_sgpr_workgroup_id_y 0
		.amdhsa_system_sgpr_workgroup_id_z 0
		.amdhsa_system_sgpr_workgroup_info 0
		.amdhsa_system_vgpr_workitem_id 1
		.amdhsa_next_free_vgpr 39
		.amdhsa_next_free_sgpr 18
		.amdhsa_reserve_vcc 1
		.amdhsa_float_round_mode_32 0
		.amdhsa_float_round_mode_16_64 0
		.amdhsa_float_denorm_mode_32 3
		.amdhsa_float_denorm_mode_16_64 3
		.amdhsa_dx10_clamp 1
		.amdhsa_ieee_mode 1
		.amdhsa_fp16_overflow 0
		.amdhsa_workgroup_processor_mode 1
		.amdhsa_memory_ordered 1
		.amdhsa_forward_progress 0
		.amdhsa_shared_vgpr_count 0
		.amdhsa_exception_fp_ieee_invalid_op 0
		.amdhsa_exception_fp_denorm_src 0
		.amdhsa_exception_fp_ieee_div_zero 0
		.amdhsa_exception_fp_ieee_overflow 0
		.amdhsa_exception_fp_ieee_underflow 0
		.amdhsa_exception_fp_ieee_inexact 0
		.amdhsa_exception_int_div_zero 0
	.end_amdhsa_kernel
	.section	.text._ZN4vllm3moe10topkGatingILi8ELi256ELi4ELi16ELi64Ei6__halfLNS0_11ScoringFuncE0EEEvPKT5_PKbPfiPT4_PiiiibPKf,"axG",@progbits,_ZN4vllm3moe10topkGatingILi8ELi256ELi4ELi16ELi64Ei6__halfLNS0_11ScoringFuncE0EEEvPKT5_PKbPfiPT4_PiiiibPKf,comdat
.Lfunc_end82:
	.size	_ZN4vllm3moe10topkGatingILi8ELi256ELi4ELi16ELi64Ei6__halfLNS0_11ScoringFuncE0EEEvPKT5_PKbPfiPT4_PiiiibPKf, .Lfunc_end82-_ZN4vllm3moe10topkGatingILi8ELi256ELi4ELi16ELi64Ei6__halfLNS0_11ScoringFuncE0EEEvPKT5_PKbPfiPT4_PiiiibPKf
                                        ; -- End function
	.section	.AMDGPU.csdata,"",@progbits
; Kernel info:
; codeLenInByte = 3588
; NumSgprs: 20
; NumVgprs: 39
; ScratchSize: 0
; MemoryBound: 0
; FloatMode: 240
; IeeeMode: 1
; LDSByteSize: 0 bytes/workgroup (compile time only)
; SGPRBlocks: 2
; VGPRBlocks: 4
; NumSGPRsForWavesPerEU: 20
; NumVGPRsForWavesPerEU: 39
; Occupancy: 16
; WaveLimiterHint : 0
; COMPUTE_PGM_RSRC2:SCRATCH_EN: 0
; COMPUTE_PGM_RSRC2:USER_SGPR: 15
; COMPUTE_PGM_RSRC2:TRAP_HANDLER: 0
; COMPUTE_PGM_RSRC2:TGID_X_EN: 1
; COMPUTE_PGM_RSRC2:TGID_Y_EN: 0
; COMPUTE_PGM_RSRC2:TGID_Z_EN: 0
; COMPUTE_PGM_RSRC2:TIDIG_COMP_CNT: 1
	.section	.text._ZN4vllm3moe10topkGatingILi8ELi256ELi4ELi16ELi32Ei6__halfLNS0_11ScoringFuncE0EEEvPKT5_PKbPfiPT4_PiiiibPKf,"axG",@progbits,_ZN4vllm3moe10topkGatingILi8ELi256ELi4ELi16ELi32Ei6__halfLNS0_11ScoringFuncE0EEEvPKT5_PKbPfiPT4_PiiiibPKf,comdat
	.protected	_ZN4vllm3moe10topkGatingILi8ELi256ELi4ELi16ELi32Ei6__halfLNS0_11ScoringFuncE0EEEvPKT5_PKbPfiPT4_PiiiibPKf ; -- Begin function _ZN4vllm3moe10topkGatingILi8ELi256ELi4ELi16ELi32Ei6__halfLNS0_11ScoringFuncE0EEEvPKT5_PKbPfiPT4_PiiiibPKf
	.globl	_ZN4vllm3moe10topkGatingILi8ELi256ELi4ELi16ELi32Ei6__halfLNS0_11ScoringFuncE0EEEvPKT5_PKbPfiPT4_PiiiibPKf
	.p2align	8
	.type	_ZN4vllm3moe10topkGatingILi8ELi256ELi4ELi16ELi32Ei6__halfLNS0_11ScoringFuncE0EEEvPKT5_PKbPfiPT4_PiiiibPKf,@function
_ZN4vllm3moe10topkGatingILi8ELi256ELi4ELi16ELi32Ei6__halfLNS0_11ScoringFuncE0EEEvPKT5_PKbPfiPT4_PiiiibPKf: ; @_ZN4vllm3moe10topkGatingILi8ELi256ELi4ELi16ELi32Ei6__halfLNS0_11ScoringFuncE0EEEvPKT5_PKbPfiPT4_PiiiibPKf
; %bb.0:
	s_load_b32 s14, s[0:1], 0x18
	v_and_b32_e32 v1, 0x3ff, v0
	v_bfe_u32 v0, v0, 10, 10
	s_lshl_b32 s2, s15, 2
	s_delay_alu instid0(VALU_DEP_2) | instskip(NEXT) | instid1(VALU_DEP_1)
	v_lshrrev_b32_e32 v2, 5, v1
	v_add3_u32 v16, s2, v0, v2
	s_mov_b32 s2, exec_lo
	s_waitcnt lgkmcnt(0)
	s_delay_alu instid0(VALU_DEP_1)
	v_cmpx_gt_i32_e64 s14, v16
	s_cbranch_execz .LBB83_41
; %bb.1:
	s_clause 0x1
	s_load_b128 s[4:7], s[0:1], 0x0
	s_load_b64 s[12:13], s[0:1], 0x10
	s_mov_b32 s8, -1
	s_mov_b32 s15, -1
	s_waitcnt lgkmcnt(0)
	s_cmp_eq_u64 s[6:7], 0
	s_cbranch_scc1 .LBB83_3
; %bb.2:
	v_ashrrev_i32_e32 v0, 31, v16
	v_add_co_u32 v2, vcc_lo, s6, v16
	s_delay_alu instid0(VALU_DEP_2) | instskip(SKIP_3) | instid1(VALU_DEP_1)
	v_add_co_ci_u32_e32 v3, vcc_lo, s7, v0, vcc_lo
	global_load_u8 v0, v[2:3], off
	s_waitcnt vmcnt(0)
	v_and_b32_e32 v0, 1, v0
	v_cmp_eq_u32_e32 vcc_lo, 1, v0
	s_xor_b32 s2, vcc_lo, -1
	s_delay_alu instid0(SALU_CYCLE_1)
	s_or_not1_b32 s15, s2, exec_lo
.LBB83_3:
	v_mbcnt_lo_u32_b32 v6, -1, 0
	v_and_b32_e32 v17, 31, v1
	s_load_b64 s[2:3], s[0:1], 0x40
	s_delay_alu instid0(VALU_DEP_2) | instskip(SKIP_2) | instid1(VALU_DEP_2)
	v_xor_b32_e32 v9, 16, v6
	v_lshlrev_b32_e32 v2, 8, v16
	v_xor_b32_e32 v11, 8, v6
	v_ashrrev_i32_e32 v3, 31, v2
	s_delay_alu instid0(VALU_DEP_1) | instskip(SKIP_3) | instid1(VALU_DEP_2)
	v_lshlrev_b64 v[0:1], 1, v[2:3]
	v_lshlrev_b32_e32 v2, 4, v17
	s_waitcnt lgkmcnt(0)
	s_cmp_eq_u64 s[2:3], 0
	v_add_co_u32 v0, vcc_lo, s4, v0
	s_delay_alu instid0(VALU_DEP_3) | instskip(NEXT) | instid1(VALU_DEP_2)
	v_add_co_ci_u32_e32 v1, vcc_lo, s5, v1, vcc_lo
	v_add_co_u32 v0, vcc_lo, v0, v2
	s_delay_alu instid0(VALU_DEP_2)
	v_add_co_ci_u32_e32 v1, vcc_lo, 0, v1, vcc_lo
	v_cmp_gt_i32_e32 vcc_lo, 32, v9
	global_load_b128 v[0:3], v[0:1], off
	v_cndmask_b32_e32 v9, v6, v9, vcc_lo
	v_cmp_gt_i32_e32 vcc_lo, 32, v11
	v_cndmask_b32_e32 v11, v6, v11, vcc_lo
	s_waitcnt vmcnt(0)
	v_lshrrev_b32_e32 v4, 16, v0
	v_cvt_f32_f16_e32 v0, v0
	v_lshrrev_b32_e32 v5, 16, v1
	v_cvt_f32_f16_e32 v1, v1
	;; [unrolled: 2-line block ×3, first 2 shown]
	v_cvt_f32_f16_e32 v2, v2
	v_cvt_f32_f16_e32 v5, v5
	v_lshrrev_b32_e32 v10, 16, v3
	v_cvt_f32_f16_e32 v7, v7
	v_max_f32_e32 v8, v0, v4
	v_cvt_f32_f16_e32 v3, v3
	s_delay_alu instid0(VALU_DEP_4) | instskip(NEXT) | instid1(VALU_DEP_3)
	v_cvt_f32_f16_e32 v10, v10
	v_max3_f32 v8, v8, v1, v5
	s_delay_alu instid0(VALU_DEP_1) | instskip(NEXT) | instid1(VALU_DEP_1)
	v_max3_f32 v8, v8, v2, v7
	v_max3_f32 v8, v8, v3, v10
	v_lshlrev_b32_e32 v19, 2, v11
	v_xor_b32_e32 v11, 4, v6
	s_delay_alu instid0(VALU_DEP_1) | instskip(SKIP_4) | instid1(VALU_DEP_1)
	v_cmp_gt_i32_e32 vcc_lo, 32, v11
	v_dual_cndmask_b32 v11, v6, v11 :: v_dual_lshlrev_b32 v18, 2, v9
	ds_bpermute_b32 v9, v18, v8
	v_lshlrev_b32_e32 v20, 2, v11
	v_xor_b32_e32 v11, 2, v6
	v_cmp_gt_i32_e32 vcc_lo, 32, v11
	v_cndmask_b32_e32 v11, v6, v11, vcc_lo
	s_waitcnt lgkmcnt(0)
	v_max_f32_e32 v9, v9, v9
	s_delay_alu instid0(VALU_DEP_2) | instskip(SKIP_1) | instid1(VALU_DEP_3)
	v_lshlrev_b32_e32 v21, 2, v11
	v_xor_b32_e32 v11, 1, v6
	v_max_f32_e32 v8, v8, v9
	s_delay_alu instid0(VALU_DEP_2) | instskip(SKIP_3) | instid1(VALU_DEP_1)
	v_cmp_gt_i32_e32 vcc_lo, 32, v11
	ds_bpermute_b32 v9, v19, v8
	v_cndmask_b32_e32 v6, v6, v11, vcc_lo
	s_waitcnt lgkmcnt(0)
	v_dual_max_f32 v9, v9, v9 :: v_dual_lshlrev_b32 v22, 2, v6
	s_delay_alu instid0(VALU_DEP_1) | instskip(SKIP_3) | instid1(VALU_DEP_1)
	v_max_f32_e32 v8, v8, v9
	ds_bpermute_b32 v9, v20, v8
	s_waitcnt lgkmcnt(0)
	v_max_f32_e32 v9, v9, v9
	v_max_f32_e32 v8, v8, v9
	ds_bpermute_b32 v9, v21, v8
	s_waitcnt lgkmcnt(0)
	v_max_f32_e32 v9, v9, v9
	s_delay_alu instid0(VALU_DEP_1) | instskip(SKIP_3) | instid1(VALU_DEP_1)
	v_max_f32_e32 v6, v8, v9
	ds_bpermute_b32 v8, v22, v6
	s_waitcnt lgkmcnt(0)
	v_max_f32_e32 v8, v8, v8
	v_max_f32_e32 v6, v6, v8
	s_delay_alu instid0(VALU_DEP_1) | instskip(NEXT) | instid1(VALU_DEP_1)
	v_sub_f32_e32 v5, v5, v6
	v_mul_f32_e32 v11, 0x3fb8aa3b, v5
	v_sub_f32_e32 v1, v1, v6
	v_sub_f32_e32 v7, v7, v6
	v_sub_f32_e32 v4, v4, v6
	s_delay_alu instid0(VALU_DEP_4) | instskip(NEXT) | instid1(VALU_DEP_3)
	v_rndne_f32_e32 v30, v11
	v_dual_mul_f32 v13, 0x3fb8aa3b, v7 :: v_dual_sub_f32 v0, v0, v6
	s_delay_alu instid0(VALU_DEP_3) | instskip(NEXT) | instid1(VALU_DEP_2)
	v_mul_f32_e32 v9, 0x3fb8aa3b, v4
	v_rndne_f32_e32 v34, v13
	s_delay_alu instid0(VALU_DEP_3) | instskip(NEXT) | instid1(VALU_DEP_3)
	v_mul_f32_e32 v8, 0x3fb8aa3b, v0
	v_fma_f32 v25, 0x3fb8aa3b, v4, -v9
	v_rndne_f32_e32 v26, v9
	v_fma_f32 v29, 0x3fb8aa3b, v5, -v11
	v_cmp_ngt_f32_e32 vcc_lo, 0xc2ce8ed0, v0
	v_fma_f32 v23, 0x3fb8aa3b, v0, -v8
	v_sub_f32_e32 v2, v2, v6
	v_rndne_f32_e32 v24, v8
	v_sub_f32_e32 v3, v3, v6
	v_dual_sub_f32 v6, v10, v6 :: v_dual_fmac_f32 v25, 0x32a5705f, v4
	v_mul_f32_e32 v10, 0x3fb8aa3b, v1
	v_fmac_f32_e32 v23, 0x32a5705f, v0
	v_dual_sub_f32 v8, v8, v24 :: v_dual_sub_f32 v11, v11, v30
	v_fma_f32 v33, 0x3fb8aa3b, v7, -v13
	s_delay_alu instid0(VALU_DEP_4) | instskip(SKIP_1) | instid1(VALU_DEP_4)
	v_rndne_f32_e32 v28, v10
	v_fma_f32 v27, 0x3fb8aa3b, v1, -v10
	v_dual_add_f32 v8, v8, v23 :: v_dual_sub_f32 v9, v9, v26
	v_cvt_i32_f32_e32 v24, v24
	s_delay_alu instid0(VALU_DEP_4) | instskip(SKIP_1) | instid1(VALU_DEP_4)
	v_sub_f32_e32 v10, v10, v28
	v_mul_f32_e32 v12, 0x3fb8aa3b, v2
	v_exp_f32_e32 v8, v8
	v_dual_add_f32 v9, v9, v25 :: v_dual_mul_f32 v14, 0x3fb8aa3b, v3
	v_mul_f32_e32 v15, 0x3fb8aa3b, v6
	s_delay_alu instid0(VALU_DEP_3)
	v_fma_f32 v31, 0x3fb8aa3b, v2, -v12
	v_rndne_f32_e32 v32, v12
	v_fmac_f32_e32 v27, 0x32a5705f, v1
	v_exp_f32_e32 v9, v9
	v_cvt_i32_f32_e32 v26, v26
	v_rndne_f32_e32 v36, v14
	v_dual_sub_f32 v12, v12, v32 :: v_dual_fmac_f32 v31, 0x32a5705f, v2
	v_dual_add_f32 v10, v10, v27 :: v_dual_sub_f32 v13, v13, v34
	v_ldexp_f32 v8, v8, v24
	v_cvt_i32_f32_e32 v28, v28
	s_delay_alu instid0(VALU_DEP_4) | instskip(NEXT) | instid1(VALU_DEP_4)
	v_add_f32_e32 v12, v12, v31
	v_exp_f32_e32 v10, v10
	v_fmac_f32_e32 v29, 0x32a5705f, v5
	v_cvt_i32_f32_e32 v32, v32
	v_dual_fmac_f32 v33, 0x32a5705f, v7 :: v_dual_cndmask_b32 v8, 0, v8
	v_exp_f32_e32 v12, v12
	v_ldexp_f32 v9, v9, v26
	v_cmp_ngt_f32_e32 vcc_lo, 0xc2ce8ed0, v4
	v_fma_f32 v35, 0x3fb8aa3b, v3, -v14
	v_sub_f32_e32 v14, v14, v36
	s_delay_alu instid0(TRANS32_DEP_2)
	v_ldexp_f32 v10, v10, v28
	v_rndne_f32_e32 v38, v15
	v_cndmask_b32_e32 v9, 0, v9, vcc_lo
	v_cmp_ngt_f32_e32 vcc_lo, 0xc2ce8ed0, v1
	v_fmac_f32_e32 v35, 0x32a5705f, v3
	v_ldexp_f32 v12, v12, v32
	v_add_f32_e32 v11, v11, v29
	v_fma_f32 v37, 0x3fb8aa3b, v6, -v15
	v_cndmask_b32_e32 v10, 0, v10, vcc_lo
	v_cmp_nlt_f32_e32 vcc_lo, 0x42b17218, v0
	v_cvt_i32_f32_e32 v30, v30
	v_exp_f32_e32 v11, v11
	v_sub_f32_e32 v15, v15, v38
	v_cvt_i32_f32_e32 v34, v34
	v_cndmask_b32_e32 v0, 0x7f800000, v8, vcc_lo
	v_cmp_nlt_f32_e32 vcc_lo, 0x42b17218, v4
	v_dual_fmac_f32 v37, 0x32a5705f, v6 :: v_dual_add_f32 v14, v14, v35
	v_cvt_i32_f32_e32 v23, v36
	v_cvt_i32_f32_e32 v25, v38
	v_cndmask_b32_e32 v4, 0x7f800000, v9, vcc_lo
	s_delay_alu instid0(TRANS32_DEP_1) | instskip(SKIP_3) | instid1(VALU_DEP_3)
	v_ldexp_f32 v11, v11, v30
	v_cmp_ngt_f32_e32 vcc_lo, 0xc2ce8ed0, v5
	v_add_f32_e32 v13, v13, v33
	v_exp_f32_e32 v14, v14
	v_dual_add_f32 v9, v0, v4 :: v_dual_cndmask_b32 v8, 0, v11
	v_cmp_nlt_f32_e32 vcc_lo, 0x42b17218, v1
	s_delay_alu instid0(VALU_DEP_3)
	v_exp_f32_e32 v13, v13
	v_cndmask_b32_e32 v1, 0x7f800000, v10, vcc_lo
	v_cmp_ngt_f32_e32 vcc_lo, 0xc2ce8ed0, v2
	s_waitcnt_depctr 0xfff
	v_ldexp_f32 v14, v14, v23
	v_cndmask_b32_e32 v10, 0, v12, vcc_lo
	v_cmp_nlt_f32_e32 vcc_lo, 0x42b17218, v5
	v_ldexp_f32 v13, v13, v34
	v_dual_cndmask_b32 v5, 0x7f800000, v8 :: v_dual_add_f32 v8, v9, v1
	v_cmp_ngt_f32_e32 vcc_lo, 0xc2ce8ed0, v7
	s_delay_alu instid0(VALU_DEP_2) | instskip(NEXT) | instid1(VALU_DEP_4)
	v_add_f32_e32 v8, v8, v5
	v_cndmask_b32_e32 v9, 0, v13, vcc_lo
	v_cmp_nlt_f32_e32 vcc_lo, 0x42b17218, v2
	v_dual_add_f32 v15, v15, v37 :: v_dual_cndmask_b32 v2, 0x7f800000, v10
	s_delay_alu instid0(VALU_DEP_1) | instskip(SKIP_1) | instid1(VALU_DEP_2)
	v_exp_f32_e32 v15, v15
	v_cmp_ngt_f32_e32 vcc_lo, 0xc2ce8ed0, v3
	v_add_f32_e32 v8, v8, v2
	v_cndmask_b32_e32 v10, 0, v14, vcc_lo
	v_cmp_nlt_f32_e32 vcc_lo, 0x42b17218, v7
	s_waitcnt_depctr 0xfff
	v_ldexp_f32 v15, v15, v25
	v_cndmask_b32_e32 v7, 0x7f800000, v9, vcc_lo
	v_cmp_ngt_f32_e32 vcc_lo, 0xc2ce8ed0, v6
	s_delay_alu instid0(VALU_DEP_2) | instskip(NEXT) | instid1(VALU_DEP_4)
	v_add_f32_e32 v8, v8, v7
	v_cndmask_b32_e32 v9, 0, v15, vcc_lo
	v_cmp_nlt_f32_e32 vcc_lo, 0x42b17218, v3
	v_cndmask_b32_e32 v3, 0x7f800000, v10, vcc_lo
	v_cmp_nlt_f32_e32 vcc_lo, 0x42b17218, v6
	s_delay_alu instid0(VALU_DEP_2) | instskip(SKIP_1) | instid1(VALU_DEP_1)
	v_add_f32_e32 v8, v8, v3
	v_cndmask_b32_e32 v6, 0x7f800000, v9, vcc_lo
	v_add_f32_e32 v8, v8, v6
	ds_bpermute_b32 v9, v18, v8
	s_waitcnt lgkmcnt(0)
	v_add_f32_e32 v8, v8, v9
	ds_bpermute_b32 v9, v19, v8
	s_waitcnt lgkmcnt(0)
	;; [unrolled: 3-line block ×5, first 2 shown]
	v_add_f32_e32 v8, v8, v9
	s_delay_alu instid0(VALU_DEP_1) | instskip(SKIP_1) | instid1(VALU_DEP_2)
	v_div_scale_f32 v9, null, v8, v8, 1.0
	v_div_scale_f32 v12, vcc_lo, 1.0, v8, 1.0
	v_rcp_f32_e32 v10, v9
	s_waitcnt_depctr 0xfff
	v_fma_f32 v11, -v9, v10, 1.0
	s_delay_alu instid0(VALU_DEP_1) | instskip(NEXT) | instid1(VALU_DEP_1)
	v_fmac_f32_e32 v10, v11, v10
	v_mul_f32_e32 v11, v12, v10
	s_delay_alu instid0(VALU_DEP_1) | instskip(NEXT) | instid1(VALU_DEP_1)
	v_fma_f32 v13, -v9, v11, v12
	v_fmac_f32_e32 v11, v13, v10
	s_delay_alu instid0(VALU_DEP_1) | instskip(NEXT) | instid1(VALU_DEP_1)
	v_fma_f32 v9, -v9, v11, v12
	v_div_fmas_f32 v9, v9, v10, v11
	s_delay_alu instid0(VALU_DEP_1) | instskip(NEXT) | instid1(VALU_DEP_1)
	v_div_fixup_f32 v8, v9, v8, 1.0
	v_dual_mul_f32 v0, v8, v0 :: v_dual_lshlrev_b32 v23, 3, v17
	v_mul_f32_e32 v10, v8, v2
	v_mul_f32_e32 v5, v8, v5
	;; [unrolled: 1-line block ×4, first 2 shown]
	v_cmp_class_f32_e64 vcc_lo, v0, 0x1f8
	v_dual_mul_f32 v9, v8, v1 :: v_dual_cndmask_b32 v0, 0, v0
	s_delay_alu instid0(VALU_DEP_4) | instskip(SKIP_1) | instid1(VALU_DEP_3)
	v_cmp_class_f32_e64 vcc_lo, v4, 0x1f8
	v_cndmask_b32_e32 v1, 0, v4, vcc_lo
	v_cmp_class_f32_e64 vcc_lo, v9, 0x1f8
	v_mul_f32_e32 v7, v8, v7
	v_mul_f32_e32 v8, v8, v6
	v_cndmask_b32_e32 v2, 0, v9, vcc_lo
	v_cmp_class_f32_e64 vcc_lo, v5, 0x1f8
	v_cndmask_b32_e32 v3, 0, v5, vcc_lo
	v_cmp_class_f32_e64 vcc_lo, v10, 0x1f8
	;; [unrolled: 2-line block ×5, first 2 shown]
	v_cndmask_b32_e32 v7, 0, v8, vcc_lo
	s_cbranch_scc1 .LBB83_35
; %bb.4:
	v_lshlrev_b32_e32 v12, 2, v23
	s_clause 0x1
	global_load_b128 v[8:11], v12, s[2:3]
	global_load_b128 v[12:15], v12, s[2:3] offset:16
	s_waitcnt vmcnt(1)
	v_dual_add_f32 v9, v9, v1 :: v_dual_add_f32 v8, v8, v0
	v_dual_add_f32 v11, v11, v3 :: v_dual_add_f32 v10, v10, v2
	s_waitcnt vmcnt(0)
	v_dual_add_f32 v13, v13, v5 :: v_dual_add_f32 v12, v12, v4
	v_dual_add_f32 v15, v15, v7 :: v_dual_add_f32 v14, v14, v6
	s_cbranch_execnz .LBB83_6
.LBB83_5:
	v_dual_mov_b32 v15, v7 :: v_dual_mov_b32 v14, v6
	v_dual_mov_b32 v13, v5 :: v_dual_mov_b32 v12, v4
	;; [unrolled: 1-line block ×4, first 2 shown]
.LBB83_6:
	s_load_b128 s[4:7], s[0:1], 0x30
	v_cmp_eq_u32_e64 s2, 0, v17
	s_waitcnt lgkmcnt(0)
	s_bitcmp1_b32 s7, 0
	s_mov_b32 s7, 0
	s_cselect_b32 vcc_lo, -1, 0
	s_cmp_gt_i32 s4, 0
	s_cselect_b32 s3, -1, 0
	s_cmp_lt_i32 s4, 1
	s_cbranch_scc1 .LBB83_36
; %bb.7:
	s_load_b128 s[8:11], s[0:1], 0x20
	v_mul_lo_u32 v25, v16, s4
	v_mov_b32_e32 v24, 0
	v_mov_b32_e32 v26, v16
	s_branch .LBB83_10
.LBB83_8:                               ;   in Loop: Header=BB83_10 Depth=1
	s_or_b32 exec_lo, exec_lo, s1
.LBB83_9:                               ;   in Loop: Header=BB83_10 Depth=1
	v_add_nc_u32_e32 v26, s14, v26
	s_cmp_eq_u32 s4, s7
	s_cbranch_scc1 .LBB83_37
.LBB83_10:                              ; =>This Inner Loop Header: Depth=1
	v_cmp_gt_f32_e64 s0, v9, v8
	s_mov_b32 s17, exec_lo
	s_delay_alu instid0(VALU_DEP_1) | instskip(SKIP_2) | instid1(VALU_DEP_3)
	v_cndmask_b32_e64 v27, v8, v9, s0
	v_cndmask_b32_e64 v28, 0, 1, s0
	;; [unrolled: 1-line block ×3, first 2 shown]
	v_cmp_gt_f32_e64 s1, v10, v27
	s_delay_alu instid0(VALU_DEP_1) | instskip(NEXT) | instid1(VALU_DEP_4)
	v_cndmask_b32_e64 v27, v27, v10, s1
	v_cndmask_b32_e64 v28, v28, 2, s1
	s_delay_alu instid0(VALU_DEP_4) | instskip(NEXT) | instid1(VALU_DEP_3)
	v_cndmask_b32_e64 v29, v29, v2, s1
	v_cmp_gt_f32_e64 s0, v11, v27
	s_delay_alu instid0(VALU_DEP_1) | instskip(NEXT) | instid1(VALU_DEP_4)
	v_cndmask_b32_e64 v27, v27, v11, s0
	v_cndmask_b32_e64 v28, v28, 3, s0
	s_delay_alu instid0(VALU_DEP_4) | instskip(NEXT) | instid1(VALU_DEP_3)
	v_cndmask_b32_e64 v29, v29, v3, s0
	;; [unrolled: 6-line block ×4, first 2 shown]
	v_cmp_gt_f32_e64 s1, v14, v27
	s_delay_alu instid0(VALU_DEP_1) | instskip(NEXT) | instid1(VALU_DEP_4)
	v_cndmask_b32_e64 v27, v27, v14, s1
	v_cndmask_b32_e64 v28, v28, 6, s1
	s_waitcnt lgkmcnt(0)
	v_cndmask_b32_e64 v30, v29, v6, s1
	s_delay_alu instid0(VALU_DEP_3) | instskip(NEXT) | instid1(VALU_DEP_1)
	v_cmp_gt_f32_e64 s0, v15, v27
	v_cndmask_b32_e64 v29, v27, v15, s0
	v_cndmask_b32_e64 v27, v28, 7, s0
	s_delay_alu instid0(VALU_DEP_4)
	v_cndmask_b32_e64 v28, v30, v7, s0
	ds_bpermute_b32 v30, v18, v29
	v_or_b32_e32 v27, v23, v27
	ds_bpermute_b32 v32, v18, v28
	ds_bpermute_b32 v31, v18, v27
	s_waitcnt lgkmcnt(0)
	v_cmp_lt_f32_e64 s16, v29, v30
	v_cmpx_nlt_f32_e32 v29, v30
; %bb.11:                               ;   in Loop: Header=BB83_10 Depth=1
	v_cmp_eq_f32_e64 s0, v29, v30
	v_cmp_lt_i32_e64 s1, v31, v27
	s_delay_alu instid0(VALU_DEP_1) | instskip(SKIP_2) | instid1(SALU_CYCLE_1)
	s_and_b32 s0, s0, s1
	s_and_not1_b32 s1, s16, exec_lo
	s_and_b32 s0, s0, exec_lo
	s_or_b32 s16, s1, s0
; %bb.12:                               ;   in Loop: Header=BB83_10 Depth=1
	s_or_b32 exec_lo, exec_lo, s17
	s_and_saveexec_b32 s0, s16
; %bb.13:                               ;   in Loop: Header=BB83_10 Depth=1
	v_dual_mov_b32 v28, v32 :: v_dual_mov_b32 v29, v30
	v_mov_b32_e32 v27, v31
; %bb.14:                               ;   in Loop: Header=BB83_10 Depth=1
	s_or_b32 exec_lo, exec_lo, s0
	ds_bpermute_b32 v31, v19, v29
	ds_bpermute_b32 v32, v19, v28
	;; [unrolled: 1-line block ×3, first 2 shown]
	s_mov_b32 s17, exec_lo
	s_waitcnt lgkmcnt(2)
	v_cmp_lt_f32_e64 s16, v29, v31
	v_cmpx_nlt_f32_e32 v29, v31
	s_cbranch_execz .LBB83_16
; %bb.15:                               ;   in Loop: Header=BB83_10 Depth=1
	v_cmp_eq_f32_e64 s0, v29, v31
	s_waitcnt lgkmcnt(0)
	v_cmp_lt_i32_e64 s1, v30, v27
	s_delay_alu instid0(VALU_DEP_1) | instskip(SKIP_2) | instid1(SALU_CYCLE_1)
	s_and_b32 s0, s0, s1
	s_and_not1_b32 s1, s16, exec_lo
	s_and_b32 s0, s0, exec_lo
	s_or_b32 s16, s1, s0
.LBB83_16:                              ;   in Loop: Header=BB83_10 Depth=1
	s_or_b32 exec_lo, exec_lo, s17
	s_delay_alu instid0(VALU_DEP_2)
	s_and_saveexec_b32 s0, s16
	s_cbranch_execz .LBB83_18
; %bb.17:                               ;   in Loop: Header=BB83_10 Depth=1
	s_waitcnt lgkmcnt(1)
	v_dual_mov_b32 v28, v32 :: v_dual_mov_b32 v29, v31
	s_waitcnt lgkmcnt(0)
	v_mov_b32_e32 v27, v30
.LBB83_18:                              ;   in Loop: Header=BB83_10 Depth=1
	s_or_b32 exec_lo, exec_lo, s0
	ds_bpermute_b32 v31, v20, v29
	s_waitcnt lgkmcnt(2)
	ds_bpermute_b32 v32, v20, v28
	s_waitcnt lgkmcnt(2)
	ds_bpermute_b32 v30, v20, v27
	s_mov_b32 s17, exec_lo
	s_waitcnt lgkmcnt(2)
	v_cmp_lt_f32_e64 s16, v29, v31
	v_cmpx_nlt_f32_e32 v29, v31
	s_cbranch_execz .LBB83_20
; %bb.19:                               ;   in Loop: Header=BB83_10 Depth=1
	v_cmp_eq_f32_e64 s0, v29, v31
	s_waitcnt lgkmcnt(0)
	v_cmp_lt_i32_e64 s1, v30, v27
	s_delay_alu instid0(VALU_DEP_1) | instskip(SKIP_2) | instid1(SALU_CYCLE_1)
	s_and_b32 s0, s0, s1
	s_and_not1_b32 s1, s16, exec_lo
	s_and_b32 s0, s0, exec_lo
	s_or_b32 s16, s1, s0
.LBB83_20:                              ;   in Loop: Header=BB83_10 Depth=1
	s_or_b32 exec_lo, exec_lo, s17
	s_delay_alu instid0(VALU_DEP_2)
	s_and_saveexec_b32 s0, s16
	s_cbranch_execz .LBB83_22
; %bb.21:                               ;   in Loop: Header=BB83_10 Depth=1
	s_waitcnt lgkmcnt(1)
	v_dual_mov_b32 v28, v32 :: v_dual_mov_b32 v29, v31
	s_waitcnt lgkmcnt(0)
	v_mov_b32_e32 v27, v30
.LBB83_22:                              ;   in Loop: Header=BB83_10 Depth=1
	s_or_b32 exec_lo, exec_lo, s0
	ds_bpermute_b32 v31, v21, v29
	s_waitcnt lgkmcnt(2)
	ds_bpermute_b32 v32, v21, v28
	s_waitcnt lgkmcnt(2)
	ds_bpermute_b32 v30, v21, v27
	s_mov_b32 s17, exec_lo
	s_waitcnt lgkmcnt(2)
	v_cmp_lt_f32_e64 s16, v29, v31
	v_cmpx_nlt_f32_e32 v29, v31
	s_cbranch_execz .LBB83_24
; %bb.23:                               ;   in Loop: Header=BB83_10 Depth=1
	v_cmp_eq_f32_e64 s0, v29, v31
	s_waitcnt lgkmcnt(0)
	v_cmp_lt_i32_e64 s1, v30, v27
	s_delay_alu instid0(VALU_DEP_1) | instskip(SKIP_2) | instid1(SALU_CYCLE_1)
	s_and_b32 s0, s0, s1
	s_and_not1_b32 s1, s16, exec_lo
	s_and_b32 s0, s0, exec_lo
	s_or_b32 s16, s1, s0
.LBB83_24:                              ;   in Loop: Header=BB83_10 Depth=1
	s_or_b32 exec_lo, exec_lo, s17
	s_delay_alu instid0(VALU_DEP_2)
	s_and_saveexec_b32 s0, s16
	s_cbranch_execz .LBB83_26
; %bb.25:                               ;   in Loop: Header=BB83_10 Depth=1
	s_waitcnt lgkmcnt(1)
	v_dual_mov_b32 v28, v32 :: v_dual_mov_b32 v29, v31
	s_waitcnt lgkmcnt(0)
	v_mov_b32_e32 v27, v30
.LBB83_26:                              ;   in Loop: Header=BB83_10 Depth=1
	s_or_b32 exec_lo, exec_lo, s0
	s_waitcnt lgkmcnt(1)
	ds_bpermute_b32 v32, v22, v29
	ds_bpermute_b32 v31, v22, v28
	s_waitcnt lgkmcnt(2)
	ds_bpermute_b32 v30, v22, v27
	s_mov_b32 s17, exec_lo
	s_waitcnt lgkmcnt(2)
	v_cmp_lt_f32_e64 s16, v29, v32
	v_cmpx_nlt_f32_e32 v29, v32
	s_cbranch_execnz .LBB83_30
; %bb.27:                               ;   in Loop: Header=BB83_10 Depth=1
	s_or_b32 exec_lo, exec_lo, s17
	s_delay_alu instid0(VALU_DEP_2)
	s_and_saveexec_b32 s0, s16
	s_cbranch_execnz .LBB83_31
.LBB83_28:                              ;   in Loop: Header=BB83_10 Depth=1
	s_or_b32 exec_lo, exec_lo, s0
	s_and_saveexec_b32 s16, s2
	s_cbranch_execnz .LBB83_32
.LBB83_29:                              ;   in Loop: Header=BB83_10 Depth=1
	s_or_b32 exec_lo, exec_lo, s16
	s_add_i32 s7, s7, 1
	s_delay_alu instid0(SALU_CYCLE_1)
	s_cmp_ge_i32 s7, s4
	s_cbranch_scc1 .LBB83_9
	s_branch .LBB83_33
.LBB83_30:                              ;   in Loop: Header=BB83_10 Depth=1
	v_cmp_eq_f32_e64 s0, v29, v32
	s_waitcnt lgkmcnt(0)
	v_cmp_lt_i32_e64 s1, v30, v27
	s_delay_alu instid0(VALU_DEP_1) | instskip(SKIP_2) | instid1(SALU_CYCLE_1)
	s_and_b32 s0, s0, s1
	s_and_not1_b32 s1, s16, exec_lo
	s_and_b32 s0, s0, exec_lo
	s_or_b32 s16, s1, s0
	s_or_b32 exec_lo, exec_lo, s17
	s_and_saveexec_b32 s0, s16
	s_cbranch_execz .LBB83_28
.LBB83_31:                              ;   in Loop: Header=BB83_10 Depth=1
	s_waitcnt lgkmcnt(0)
	v_dual_mov_b32 v28, v31 :: v_dual_mov_b32 v27, v30
	s_or_b32 exec_lo, exec_lo, s0
	s_and_saveexec_b32 s16, s2
	s_cbranch_execz .LBB83_29
.LBB83_32:                              ;   in Loop: Header=BB83_10 Depth=1
	s_delay_alu instid0(VALU_DEP_1)
	v_dual_add_f32 v36, v24, v28 :: v_dual_add_nc_u32 v29, s7, v25
	v_cmp_le_i32_e64 s0, s5, v27
	v_cmp_gt_i32_e64 s1, s6, v27
	s_waitcnt lgkmcnt(1)
	v_subrev_nc_u32_e32 v31, s5, v27
	s_waitcnt lgkmcnt(0)
	v_ashrrev_i32_e32 v30, 31, v29
	v_cndmask_b32_e32 v24, v24, v36, vcc_lo
	s_and_b32 s0, s0, s1
	s_delay_alu instid0(SALU_CYCLE_1) | instskip(NEXT) | instid1(VALU_DEP_2)
	s_and_b32 s0, s15, s0
	v_lshlrev_b64 v[29:30], 2, v[29:30]
	v_cndmask_b32_e64 v35, 0x100, v31, s0
	s_delay_alu instid0(VALU_DEP_2) | instskip(NEXT) | instid1(VALU_DEP_1)
	v_add_co_u32 v31, s0, s12, v29
	v_add_co_ci_u32_e64 v32, s0, s13, v30, s0
	v_add_co_u32 v33, s0, s8, v29
	s_delay_alu instid0(VALU_DEP_1) | instskip(SKIP_1) | instid1(VALU_DEP_1)
	v_add_co_ci_u32_e64 v34, s0, s9, v30, s0
	v_add_co_u32 v29, s0, s10, v29
	v_add_co_ci_u32_e64 v30, s0, s11, v30, s0
	global_store_b32 v[31:32], v28, off
	global_store_b32 v[33:34], v35, off
	;; [unrolled: 1-line block ×3, first 2 shown]
	s_or_b32 exec_lo, exec_lo, s16
	s_add_i32 s7, s7, 1
	s_delay_alu instid0(SALU_CYCLE_1)
	s_cmp_ge_i32 s7, s4
	s_cbranch_scc1 .LBB83_9
.LBB83_33:                              ;   in Loop: Header=BB83_10 Depth=1
	v_ashrrev_i32_e32 v28, 31, v27
	s_mov_b32 s1, exec_lo
	s_delay_alu instid0(VALU_DEP_1) | instskip(NEXT) | instid1(VALU_DEP_1)
	v_lshrrev_b32_e32 v29, 29, v28
	v_add_nc_u32_e32 v29, v27, v29
	s_waitcnt lgkmcnt(0)
	s_delay_alu instid0(VALU_DEP_1) | instskip(SKIP_1) | instid1(VALU_DEP_2)
	v_ashrrev_i32_e32 v30, 31, v29
	v_ashrrev_i32_e32 v29, 3, v29
	v_lshrrev_b32_e32 v30, 27, v30
	s_delay_alu instid0(VALU_DEP_1) | instskip(NEXT) | instid1(VALU_DEP_1)
	v_add_nc_u32_e32 v30, v29, v30
	v_and_b32_e32 v30, 0xffffffe0, v30
	s_delay_alu instid0(VALU_DEP_1) | instskip(NEXT) | instid1(VALU_DEP_1)
	v_sub_nc_u32_e32 v30, v29, v30
	v_cmpx_eq_u32_e64 v17, v30
	s_cbranch_execz .LBB83_8
; %bb.34:                               ;   in Loop: Header=BB83_10 Depth=1
	v_lshrrev_b32_e32 v28, 24, v28
	v_lshlrev_b32_e32 v29, 3, v29
	s_delay_alu instid0(VALU_DEP_2) | instskip(NEXT) | instid1(VALU_DEP_2)
	v_add_nc_u32_e32 v28, v27, v28
	v_sub_nc_u32_e32 v27, v27, v29
	s_delay_alu instid0(VALU_DEP_2) | instskip(NEXT) | instid1(VALU_DEP_1)
	v_ashrrev_i32_e32 v28, 8, v28
	v_lshl_add_u32 v27, v28, 3, v27
	s_delay_alu instid0(VALU_DEP_1) | instskip(NEXT) | instid1(VALU_DEP_1)
	v_cmp_ne_u32_e64 s0, 7, v27
	v_cndmask_b32_e64 v15, 0xc61c4000, v15, s0
	v_cmp_ne_u32_e64 s0, 6, v27
	s_delay_alu instid0(VALU_DEP_1) | instskip(SKIP_1) | instid1(VALU_DEP_1)
	v_cndmask_b32_e64 v14, 0xc61c4000, v14, s0
	v_cmp_ne_u32_e64 s0, 5, v27
	v_cndmask_b32_e64 v13, 0xc61c4000, v13, s0
	v_cmp_ne_u32_e64 s0, 4, v27
	s_delay_alu instid0(VALU_DEP_1) | instskip(SKIP_1) | instid1(VALU_DEP_1)
	v_cndmask_b32_e64 v12, 0xc61c4000, v12, s0
	;; [unrolled: 5-line block ×3, first 2 shown]
	v_cmp_ne_u32_e64 s0, 1, v27
	v_cndmask_b32_e64 v9, 0xc61c4000, v9, s0
	v_cmp_ne_u32_e64 s0, 0, v27
	s_delay_alu instid0(VALU_DEP_1)
	v_cndmask_b32_e64 v8, 0xc61c4000, v8, s0
	s_branch .LBB83_8
.LBB83_35:
                                        ; implicit-def: $vgpr8_vgpr9_vgpr10_vgpr11_vgpr12_vgpr13_vgpr14_vgpr15
	s_and_not1_b32 vcc_lo, exec_lo, s8
	s_cbranch_vccz .LBB83_5
	s_branch .LBB83_6
.LBB83_36:
	v_mov_b32_e32 v24, 0
.LBB83_37:
	v_cmp_eq_u32_e64 s0, 0, v17
	s_delay_alu instid0(VALU_DEP_1) | instskip(NEXT) | instid1(SALU_CYCLE_1)
	s_and_b32 s0, s0, vcc_lo
	s_and_b32 exec_lo, exec_lo, s0
	s_cbranch_execz .LBB83_41
; %bb.38:
	s_and_not1_b32 vcc_lo, exec_lo, s3
	s_cbranch_vccnz .LBB83_41
; %bb.39:
	v_mul_lo_u32 v0, v16, s4
	v_cmp_lt_f32_e32 vcc_lo, 0, v24
	v_cndmask_b32_e32 v2, 1.0, v24, vcc_lo
	s_delay_alu instid0(VALU_DEP_3) | instskip(NEXT) | instid1(VALU_DEP_1)
	v_ashrrev_i32_e32 v1, 31, v0
	v_lshlrev_b64 v[0:1], 2, v[0:1]
	s_delay_alu instid0(VALU_DEP_1) | instskip(NEXT) | instid1(VALU_DEP_2)
	v_add_co_u32 v0, vcc_lo, s12, v0
	v_add_co_ci_u32_e32 v1, vcc_lo, s13, v1, vcc_lo
	.p2align	6
.LBB83_40:                              ; =>This Inner Loop Header: Depth=1
	global_load_b32 v3, v[0:1], off
	s_add_i32 s4, s4, -1
	s_delay_alu instid0(SALU_CYCLE_1) | instskip(SKIP_3) | instid1(VALU_DEP_2)
	s_cmp_lg_u32 s4, 0
	s_waitcnt vmcnt(0)
	v_div_scale_f32 v4, null, v2, v2, v3
	v_div_scale_f32 v7, vcc_lo, v3, v2, v3
	v_rcp_f32_e32 v5, v4
	s_waitcnt_depctr 0xfff
	v_fma_f32 v6, -v4, v5, 1.0
	s_delay_alu instid0(VALU_DEP_1) | instskip(NEXT) | instid1(VALU_DEP_1)
	v_fmac_f32_e32 v5, v6, v5
	v_mul_f32_e32 v6, v7, v5
	s_delay_alu instid0(VALU_DEP_1) | instskip(NEXT) | instid1(VALU_DEP_1)
	v_fma_f32 v8, -v4, v6, v7
	v_fmac_f32_e32 v6, v8, v5
	s_delay_alu instid0(VALU_DEP_1) | instskip(NEXT) | instid1(VALU_DEP_1)
	v_fma_f32 v4, -v4, v6, v7
	v_div_fmas_f32 v4, v4, v5, v6
	s_delay_alu instid0(VALU_DEP_1)
	v_div_fixup_f32 v3, v4, v2, v3
	global_store_b32 v[0:1], v3, off
	v_add_co_u32 v0, vcc_lo, v0, 4
	v_add_co_ci_u32_e32 v1, vcc_lo, 0, v1, vcc_lo
	s_cbranch_scc1 .LBB83_40
.LBB83_41:
	s_nop 0
	s_sendmsg sendmsg(MSG_DEALLOC_VGPRS)
	s_endpgm
	.section	.rodata,"a",@progbits
	.p2align	6, 0x0
	.amdhsa_kernel _ZN4vllm3moe10topkGatingILi8ELi256ELi4ELi16ELi32Ei6__halfLNS0_11ScoringFuncE0EEEvPKT5_PKbPfiPT4_PiiiibPKf
		.amdhsa_group_segment_fixed_size 0
		.amdhsa_private_segment_fixed_size 0
		.amdhsa_kernarg_size 72
		.amdhsa_user_sgpr_count 15
		.amdhsa_user_sgpr_dispatch_ptr 0
		.amdhsa_user_sgpr_queue_ptr 0
		.amdhsa_user_sgpr_kernarg_segment_ptr 1
		.amdhsa_user_sgpr_dispatch_id 0
		.amdhsa_user_sgpr_private_segment_size 0
		.amdhsa_wavefront_size32 1
		.amdhsa_uses_dynamic_stack 0
		.amdhsa_enable_private_segment 0
		.amdhsa_system_sgpr_workgroup_id_x 1
		.amdhsa_system_sgpr_workgroup_id_y 0
		.amdhsa_system_sgpr_workgroup_id_z 0
		.amdhsa_system_sgpr_workgroup_info 0
		.amdhsa_system_vgpr_workitem_id 1
		.amdhsa_next_free_vgpr 39
		.amdhsa_next_free_sgpr 18
		.amdhsa_reserve_vcc 1
		.amdhsa_float_round_mode_32 0
		.amdhsa_float_round_mode_16_64 0
		.amdhsa_float_denorm_mode_32 3
		.amdhsa_float_denorm_mode_16_64 3
		.amdhsa_dx10_clamp 1
		.amdhsa_ieee_mode 1
		.amdhsa_fp16_overflow 0
		.amdhsa_workgroup_processor_mode 1
		.amdhsa_memory_ordered 1
		.amdhsa_forward_progress 0
		.amdhsa_shared_vgpr_count 0
		.amdhsa_exception_fp_ieee_invalid_op 0
		.amdhsa_exception_fp_denorm_src 0
		.amdhsa_exception_fp_ieee_div_zero 0
		.amdhsa_exception_fp_ieee_overflow 0
		.amdhsa_exception_fp_ieee_underflow 0
		.amdhsa_exception_fp_ieee_inexact 0
		.amdhsa_exception_int_div_zero 0
	.end_amdhsa_kernel
	.section	.text._ZN4vllm3moe10topkGatingILi8ELi256ELi4ELi16ELi32Ei6__halfLNS0_11ScoringFuncE0EEEvPKT5_PKbPfiPT4_PiiiibPKf,"axG",@progbits,_ZN4vllm3moe10topkGatingILi8ELi256ELi4ELi16ELi32Ei6__halfLNS0_11ScoringFuncE0EEEvPKT5_PKbPfiPT4_PiiiibPKf,comdat
.Lfunc_end83:
	.size	_ZN4vllm3moe10topkGatingILi8ELi256ELi4ELi16ELi32Ei6__halfLNS0_11ScoringFuncE0EEEvPKT5_PKbPfiPT4_PiiiibPKf, .Lfunc_end83-_ZN4vllm3moe10topkGatingILi8ELi256ELi4ELi16ELi32Ei6__halfLNS0_11ScoringFuncE0EEEvPKT5_PKbPfiPT4_PiiiibPKf
                                        ; -- End function
	.section	.AMDGPU.csdata,"",@progbits
; Kernel info:
; codeLenInByte = 3576
; NumSgprs: 20
; NumVgprs: 39
; ScratchSize: 0
; MemoryBound: 0
; FloatMode: 240
; IeeeMode: 1
; LDSByteSize: 0 bytes/workgroup (compile time only)
; SGPRBlocks: 2
; VGPRBlocks: 4
; NumSGPRsForWavesPerEU: 20
; NumVGPRsForWavesPerEU: 39
; Occupancy: 16
; WaveLimiterHint : 0
; COMPUTE_PGM_RSRC2:SCRATCH_EN: 0
; COMPUTE_PGM_RSRC2:USER_SGPR: 15
; COMPUTE_PGM_RSRC2:TRAP_HANDLER: 0
; COMPUTE_PGM_RSRC2:TGID_X_EN: 1
; COMPUTE_PGM_RSRC2:TGID_Y_EN: 0
; COMPUTE_PGM_RSRC2:TGID_Z_EN: 0
; COMPUTE_PGM_RSRC2:TIDIG_COMP_CNT: 1
	.section	.text._ZN4vllm3moe10topkGatingILi8ELi512ELi4ELi16ELi64Ei6__halfLNS0_11ScoringFuncE0EEEvPKT5_PKbPfiPT4_PiiiibPKf,"axG",@progbits,_ZN4vllm3moe10topkGatingILi8ELi512ELi4ELi16ELi64Ei6__halfLNS0_11ScoringFuncE0EEEvPKT5_PKbPfiPT4_PiiiibPKf,comdat
	.protected	_ZN4vllm3moe10topkGatingILi8ELi512ELi4ELi16ELi64Ei6__halfLNS0_11ScoringFuncE0EEEvPKT5_PKbPfiPT4_PiiiibPKf ; -- Begin function _ZN4vllm3moe10topkGatingILi8ELi512ELi4ELi16ELi64Ei6__halfLNS0_11ScoringFuncE0EEEvPKT5_PKbPfiPT4_PiiiibPKf
	.globl	_ZN4vllm3moe10topkGatingILi8ELi512ELi4ELi16ELi64Ei6__halfLNS0_11ScoringFuncE0EEEvPKT5_PKbPfiPT4_PiiiibPKf
	.p2align	8
	.type	_ZN4vllm3moe10topkGatingILi8ELi512ELi4ELi16ELi64Ei6__halfLNS0_11ScoringFuncE0EEEvPKT5_PKbPfiPT4_PiiiibPKf,@function
_ZN4vllm3moe10topkGatingILi8ELi512ELi4ELi16ELi64Ei6__halfLNS0_11ScoringFuncE0EEEvPKT5_PKbPfiPT4_PiiiibPKf: ; @_ZN4vllm3moe10topkGatingILi8ELi512ELi4ELi16ELi64Ei6__halfLNS0_11ScoringFuncE0EEEvPKT5_PKbPfiPT4_PiiiibPKf
; %bb.0:
	s_load_b32 s14, s[0:1], 0x18
	v_and_b32_e32 v1, 0x3ff, v0
	v_bfe_u32 v0, v0, 10, 10
	s_lshl_b32 s2, s15, 2
	s_delay_alu instid0(VALU_DEP_2) | instskip(NEXT) | instid1(VALU_DEP_1)
	v_lshrrev_b32_e32 v2, 6, v1
	v_add3_u32 v16, s2, v0, v2
	s_mov_b32 s2, exec_lo
	s_waitcnt lgkmcnt(0)
	s_delay_alu instid0(VALU_DEP_1)
	v_cmpx_gt_i32_e64 s14, v16
	s_cbranch_execz .LBB84_45
; %bb.1:
	s_clause 0x1
	s_load_b128 s[4:7], s[0:1], 0x0
	s_load_b64 s[12:13], s[0:1], 0x10
	s_mov_b32 s8, -1
	s_mov_b32 s15, -1
	s_waitcnt lgkmcnt(0)
	s_cmp_eq_u64 s[6:7], 0
	s_cbranch_scc1 .LBB84_3
; %bb.2:
	v_ashrrev_i32_e32 v0, 31, v16
	v_add_co_u32 v2, vcc_lo, s6, v16
	s_delay_alu instid0(VALU_DEP_2) | instskip(SKIP_3) | instid1(VALU_DEP_1)
	v_add_co_ci_u32_e32 v3, vcc_lo, s7, v0, vcc_lo
	global_load_u8 v0, v[2:3], off
	s_waitcnt vmcnt(0)
	v_and_b32_e32 v0, 1, v0
	v_cmp_eq_u32_e32 vcc_lo, 1, v0
	s_xor_b32 s2, vcc_lo, -1
	s_delay_alu instid0(SALU_CYCLE_1)
	s_or_not1_b32 s15, s2, exec_lo
.LBB84_3:
	v_mbcnt_lo_u32_b32 v6, -1, 0
	v_and_b32_e32 v17, 63, v1
	s_load_b64 s[2:3], s[0:1], 0x40
	s_delay_alu instid0(VALU_DEP_2) | instskip(SKIP_2) | instid1(VALU_DEP_2)
	v_or_b32_e32 v9, 32, v6
	v_lshlrev_b32_e32 v2, 9, v16
	v_xor_b32_e32 v11, 16, v6
	v_ashrrev_i32_e32 v3, 31, v2
	s_delay_alu instid0(VALU_DEP_1) | instskip(SKIP_3) | instid1(VALU_DEP_2)
	v_lshlrev_b64 v[0:1], 1, v[2:3]
	v_lshlrev_b32_e32 v2, 4, v17
	s_waitcnt lgkmcnt(0)
	s_cmp_eq_u64 s[2:3], 0
	v_add_co_u32 v0, vcc_lo, s4, v0
	s_delay_alu instid0(VALU_DEP_3) | instskip(NEXT) | instid1(VALU_DEP_2)
	v_add_co_ci_u32_e32 v1, vcc_lo, s5, v1, vcc_lo
	v_add_co_u32 v0, vcc_lo, v0, v2
	s_delay_alu instid0(VALU_DEP_2)
	v_add_co_ci_u32_e32 v1, vcc_lo, 0, v1, vcc_lo
	v_cmp_gt_i32_e32 vcc_lo, 64, v9
	global_load_b128 v[0:3], v[0:1], off
	v_cndmask_b32_e32 v9, v6, v9, vcc_lo
	v_cmp_gt_i32_e32 vcc_lo, 64, v11
	v_cndmask_b32_e32 v11, v6, v11, vcc_lo
	s_waitcnt vmcnt(0)
	v_lshrrev_b32_e32 v4, 16, v0
	v_cvt_f32_f16_e32 v0, v0
	v_lshrrev_b32_e32 v5, 16, v1
	v_cvt_f32_f16_e32 v1, v1
	;; [unrolled: 2-line block ×3, first 2 shown]
	v_cvt_f32_f16_e32 v2, v2
	v_cvt_f32_f16_e32 v5, v5
	v_lshrrev_b32_e32 v10, 16, v3
	v_cvt_f32_f16_e32 v7, v7
	v_max_f32_e32 v8, v0, v4
	v_cvt_f32_f16_e32 v3, v3
	s_delay_alu instid0(VALU_DEP_4) | instskip(NEXT) | instid1(VALU_DEP_3)
	v_cvt_f32_f16_e32 v10, v10
	v_max3_f32 v8, v8, v1, v5
	s_delay_alu instid0(VALU_DEP_1) | instskip(NEXT) | instid1(VALU_DEP_1)
	v_max3_f32 v8, v8, v2, v7
	v_max3_f32 v8, v8, v3, v10
	v_lshlrev_b32_e32 v19, 2, v11
	v_xor_b32_e32 v11, 8, v6
	s_delay_alu instid0(VALU_DEP_1) | instskip(SKIP_4) | instid1(VALU_DEP_1)
	v_cmp_gt_i32_e32 vcc_lo, 64, v11
	v_dual_cndmask_b32 v11, v6, v11 :: v_dual_lshlrev_b32 v18, 2, v9
	ds_bpermute_b32 v9, v18, v8
	v_lshlrev_b32_e32 v20, 2, v11
	v_xor_b32_e32 v11, 4, v6
	v_cmp_gt_i32_e32 vcc_lo, 64, v11
	v_cndmask_b32_e32 v11, v6, v11, vcc_lo
	s_waitcnt lgkmcnt(0)
	v_max_f32_e32 v9, v9, v9
	s_delay_alu instid0(VALU_DEP_2) | instskip(SKIP_1) | instid1(VALU_DEP_3)
	v_lshlrev_b32_e32 v21, 2, v11
	v_xor_b32_e32 v11, 2, v6
	v_max_f32_e32 v8, v8, v9
	s_delay_alu instid0(VALU_DEP_2) | instskip(SKIP_2) | instid1(VALU_DEP_1)
	v_cmp_gt_i32_e32 vcc_lo, 64, v11
	ds_bpermute_b32 v9, v19, v8
	v_cndmask_b32_e32 v11, v6, v11, vcc_lo
	v_lshlrev_b32_e32 v22, 2, v11
	v_xor_b32_e32 v11, 1, v6
	s_delay_alu instid0(VALU_DEP_1) | instskip(SKIP_2) | instid1(VALU_DEP_1)
	v_cmp_gt_i32_e32 vcc_lo, 64, v11
	s_waitcnt lgkmcnt(0)
	v_dual_cndmask_b32 v6, v6, v11 :: v_dual_max_f32 v9, v9, v9
	v_dual_max_f32 v8, v8, v9 :: v_dual_lshlrev_b32 v23, 2, v6
	ds_bpermute_b32 v9, v20, v8
	s_waitcnt lgkmcnt(0)
	v_max_f32_e32 v9, v9, v9
	s_delay_alu instid0(VALU_DEP_1) | instskip(SKIP_3) | instid1(VALU_DEP_1)
	v_max_f32_e32 v8, v8, v9
	ds_bpermute_b32 v9, v21, v8
	s_waitcnt lgkmcnt(0)
	v_max_f32_e32 v9, v9, v9
	v_max_f32_e32 v8, v8, v9
	ds_bpermute_b32 v9, v22, v8
	s_waitcnt lgkmcnt(0)
	v_max_f32_e32 v9, v9, v9
	s_delay_alu instid0(VALU_DEP_1) | instskip(SKIP_3) | instid1(VALU_DEP_1)
	v_max_f32_e32 v6, v8, v9
	ds_bpermute_b32 v8, v23, v6
	s_waitcnt lgkmcnt(0)
	v_max_f32_e32 v8, v8, v8
	v_max_f32_e32 v6, v6, v8
	s_delay_alu instid0(VALU_DEP_1) | instskip(NEXT) | instid1(VALU_DEP_1)
	v_sub_f32_e32 v5, v5, v6
	v_dual_sub_f32 v4, v4, v6 :: v_dual_mul_f32 v11, 0x3fb8aa3b, v5
	s_delay_alu instid0(VALU_DEP_1) | instskip(SKIP_1) | instid1(VALU_DEP_3)
	v_dual_sub_f32 v0, v0, v6 :: v_dual_mul_f32 v9, 0x3fb8aa3b, v4
	v_sub_f32_e32 v1, v1, v6
	v_rndne_f32_e32 v31, v11
	s_delay_alu instid0(VALU_DEP_3) | instskip(NEXT) | instid1(VALU_DEP_4)
	v_mul_f32_e32 v8, 0x3fb8aa3b, v0
	v_rndne_f32_e32 v27, v9
	v_fma_f32 v26, 0x3fb8aa3b, v4, -v9
	v_cmp_ngt_f32_e32 vcc_lo, 0xc2ce8ed0, v0
	s_delay_alu instid0(VALU_DEP_4)
	v_fma_f32 v24, 0x3fb8aa3b, v0, -v8
	v_sub_f32_e32 v3, v3, v6
	v_rndne_f32_e32 v25, v8
	v_sub_f32_e32 v9, v9, v27
	v_cvt_i32_f32_e32 v27, v27
	v_dual_fmac_f32 v24, 0x32a5705f, v0 :: v_dual_sub_f32 v7, v7, v6
	v_mul_f32_e32 v14, 0x3fb8aa3b, v3
	v_sub_f32_e32 v2, v2, v6
	v_sub_f32_e32 v6, v10, v6
	s_delay_alu instid0(VALU_DEP_4) | instskip(SKIP_2) | instid1(VALU_DEP_4)
	v_dual_mul_f32 v10, 0x3fb8aa3b, v1 :: v_dual_mul_f32 v13, 0x3fb8aa3b, v7
	v_sub_f32_e32 v8, v8, v25
	v_cvt_i32_f32_e32 v25, v25
	v_mul_f32_e32 v15, 0x3fb8aa3b, v6
	s_delay_alu instid0(VALU_DEP_4)
	v_fma_f32 v28, 0x3fb8aa3b, v1, -v10
	v_fma_f32 v34, 0x3fb8aa3b, v7, -v13
	v_rndne_f32_e32 v29, v10
	v_rndne_f32_e32 v35, v13
	v_fma_f32 v38, 0x3fb8aa3b, v6, -v15
	v_rndne_f32_e32 v39, v15
	v_fmac_f32_e32 v28, 0x32a5705f, v1
	s_delay_alu instid0(VALU_DEP_4) | instskip(NEXT) | instid1(VALU_DEP_3)
	v_dual_fmac_f32 v26, 0x32a5705f, v4 :: v_dual_sub_f32 v13, v13, v35
	v_dual_fmac_f32 v38, 0x32a5705f, v6 :: v_dual_sub_f32 v15, v15, v39
	v_fmac_f32_e32 v34, 0x32a5705f, v7
	v_add_f32_e32 v8, v8, v24
	s_delay_alu instid0(VALU_DEP_4) | instskip(NEXT) | instid1(VALU_DEP_4)
	v_dual_sub_f32 v10, v10, v29 :: v_dual_add_f32 v9, v9, v26
	v_add_f32_e32 v15, v15, v38
	v_cvt_i32_f32_e32 v26, v39
	s_delay_alu instid0(VALU_DEP_4)
	v_exp_f32_e32 v8, v8
	v_mul_f32_e32 v12, 0x3fb8aa3b, v2
	v_exp_f32_e32 v9, v9
	v_exp_f32_e32 v15, v15
	v_fma_f32 v30, 0x3fb8aa3b, v5, -v11
	v_sub_f32_e32 v11, v11, v31
	v_fma_f32 v32, 0x3fb8aa3b, v2, -v12
	v_rndne_f32_e32 v33, v12
	v_cvt_i32_f32_e32 v29, v29
	v_dual_fmac_f32 v30, 0x32a5705f, v5 :: v_dual_add_f32 v13, v13, v34
	v_ldexp_f32 v8, v8, v25
	s_delay_alu instid0(TRANS32_DEP_2) | instskip(NEXT) | instid1(TRANS32_DEP_1)
	v_ldexp_f32 v9, v9, v27
	v_ldexp_f32 v15, v15, v26
	v_add_f32_e32 v10, v10, v28
	v_dual_sub_f32 v12, v12, v33 :: v_dual_add_f32 v11, v11, v30
	v_cndmask_b32_e32 v8, 0, v8, vcc_lo
	v_cmp_ngt_f32_e32 vcc_lo, 0xc2ce8ed0, v4
	s_delay_alu instid0(VALU_DEP_4)
	v_exp_f32_e32 v10, v10
	v_fmac_f32_e32 v32, 0x32a5705f, v2
	v_exp_f32_e32 v11, v11
	v_cvt_i32_f32_e32 v31, v31
	v_cndmask_b32_e32 v9, 0, v9, vcc_lo
	v_cmp_ngt_f32_e32 vcc_lo, 0xc2ce8ed0, v1
	v_add_f32_e32 v12, v12, v32
	v_fma_f32 v36, 0x3fb8aa3b, v3, -v14
	v_rndne_f32_e32 v37, v14
	v_cvt_i32_f32_e32 v33, v33
	v_ldexp_f32 v10, v10, v29
	v_exp_f32_e32 v12, v12
	v_ldexp_f32 v11, v11, v31
	v_exp_f32_e32 v13, v13
	v_cvt_i32_f32_e32 v35, v35
	v_cndmask_b32_e32 v10, 0, v10, vcc_lo
	v_cmp_nlt_f32_e32 vcc_lo, 0x42b17218, v0
	v_cvt_i32_f32_e32 v24, v37
	v_cndmask_b32_e32 v0, 0x7f800000, v8, vcc_lo
	v_cmp_nlt_f32_e32 vcc_lo, 0x42b17218, v4
	s_delay_alu instid0(TRANS32_DEP_2) | instskip(NEXT) | instid1(TRANS32_DEP_1)
	v_ldexp_f32 v12, v12, v33
	v_ldexp_f32 v13, v13, v35
	v_cndmask_b32_e32 v4, 0x7f800000, v9, vcc_lo
	v_cmp_ngt_f32_e32 vcc_lo, 0xc2ce8ed0, v5
	s_delay_alu instid0(VALU_DEP_2) | instskip(SKIP_4) | instid1(VALU_DEP_2)
	v_dual_fmac_f32 v36, 0x32a5705f, v3 :: v_dual_add_f32 v9, v0, v4
	v_cndmask_b32_e32 v8, 0, v11, vcc_lo
	v_cmp_nlt_f32_e32 vcc_lo, 0x42b17218, v1
	v_dual_sub_f32 v14, v14, v37 :: v_dual_cndmask_b32 v1, 0x7f800000, v10
	v_cmp_ngt_f32_e32 vcc_lo, 0xc2ce8ed0, v2
	v_add_f32_e32 v14, v14, v36
	v_cndmask_b32_e32 v10, 0, v12, vcc_lo
	v_cmp_nlt_f32_e32 vcc_lo, 0x42b17218, v5
	s_delay_alu instid0(VALU_DEP_3)
	v_exp_f32_e32 v14, v14
	v_dual_cndmask_b32 v5, 0x7f800000, v8 :: v_dual_add_f32 v8, v9, v1
	v_cmp_ngt_f32_e32 vcc_lo, 0xc2ce8ed0, v7
	s_waitcnt_depctr 0xfff
	v_ldexp_f32 v14, v14, v24
	v_cndmask_b32_e32 v9, 0, v13, vcc_lo
	v_cmp_nlt_f32_e32 vcc_lo, 0x42b17218, v2
	v_add_f32_e32 v8, v8, v5
	v_lshlrev_b32_e32 v24, 3, v17
	v_cndmask_b32_e32 v2, 0x7f800000, v10, vcc_lo
	v_cmp_ngt_f32_e32 vcc_lo, 0xc2ce8ed0, v3
	s_delay_alu instid0(VALU_DEP_2) | instskip(SKIP_4) | instid1(VALU_DEP_2)
	v_add_f32_e32 v8, v8, v2
	v_cndmask_b32_e32 v10, 0, v14, vcc_lo
	v_cmp_nlt_f32_e32 vcc_lo, 0x42b17218, v7
	v_cndmask_b32_e32 v7, 0x7f800000, v9, vcc_lo
	v_cmp_ngt_f32_e32 vcc_lo, 0xc2ce8ed0, v6
	v_add_f32_e32 v8, v8, v7
	v_cndmask_b32_e32 v9, 0, v15, vcc_lo
	v_cmp_nlt_f32_e32 vcc_lo, 0x42b17218, v3
	v_cndmask_b32_e32 v3, 0x7f800000, v10, vcc_lo
	v_cmp_nlt_f32_e32 vcc_lo, 0x42b17218, v6
	s_delay_alu instid0(VALU_DEP_2) | instskip(SKIP_1) | instid1(VALU_DEP_1)
	v_add_f32_e32 v8, v8, v3
	v_cndmask_b32_e32 v6, 0x7f800000, v9, vcc_lo
	v_add_f32_e32 v8, v8, v6
	ds_bpermute_b32 v9, v18, v8
	s_waitcnt lgkmcnt(0)
	v_add_f32_e32 v8, v8, v9
	ds_bpermute_b32 v9, v19, v8
	s_waitcnt lgkmcnt(0)
	;; [unrolled: 3-line block ×6, first 2 shown]
	v_add_f32_e32 v8, v8, v9
	s_delay_alu instid0(VALU_DEP_1) | instskip(SKIP_1) | instid1(VALU_DEP_2)
	v_div_scale_f32 v9, null, v8, v8, 1.0
	v_div_scale_f32 v12, vcc_lo, 1.0, v8, 1.0
	v_rcp_f32_e32 v10, v9
	s_waitcnt_depctr 0xfff
	v_fma_f32 v11, -v9, v10, 1.0
	s_delay_alu instid0(VALU_DEP_1) | instskip(NEXT) | instid1(VALU_DEP_1)
	v_fmac_f32_e32 v10, v11, v10
	v_mul_f32_e32 v11, v12, v10
	s_delay_alu instid0(VALU_DEP_1) | instskip(NEXT) | instid1(VALU_DEP_1)
	v_fma_f32 v13, -v9, v11, v12
	v_fmac_f32_e32 v11, v13, v10
	s_delay_alu instid0(VALU_DEP_1) | instskip(NEXT) | instid1(VALU_DEP_1)
	v_fma_f32 v9, -v9, v11, v12
	v_div_fmas_f32 v9, v9, v10, v11
	s_delay_alu instid0(VALU_DEP_1) | instskip(NEXT) | instid1(VALU_DEP_1)
	v_div_fixup_f32 v8, v9, v8, 1.0
	v_mul_f32_e32 v5, v8, v5
	v_mul_f32_e32 v0, v8, v0
	;; [unrolled: 1-line block ×6, first 2 shown]
	v_cmp_class_f32_e64 vcc_lo, v0, 0x1f8
	v_mul_f32_e32 v11, v8, v3
	v_mul_f32_e32 v8, v8, v6
	v_cndmask_b32_e32 v0, 0, v0, vcc_lo
	v_cmp_class_f32_e64 vcc_lo, v4, 0x1f8
	v_cndmask_b32_e32 v1, 0, v4, vcc_lo
	v_cmp_class_f32_e64 vcc_lo, v9, 0x1f8
	;; [unrolled: 2-line block ×7, first 2 shown]
	v_cndmask_b32_e32 v7, 0, v8, vcc_lo
	s_cbranch_scc1 .LBB84_39
; %bb.4:
	v_lshlrev_b32_e32 v12, 2, v24
	s_clause 0x1
	global_load_b128 v[8:11], v12, s[2:3]
	global_load_b128 v[12:15], v12, s[2:3] offset:16
	s_waitcnt vmcnt(1)
	v_dual_add_f32 v9, v9, v1 :: v_dual_add_f32 v8, v8, v0
	v_dual_add_f32 v11, v11, v3 :: v_dual_add_f32 v10, v10, v2
	s_waitcnt vmcnt(0)
	v_dual_add_f32 v13, v13, v5 :: v_dual_add_f32 v12, v12, v4
	v_dual_add_f32 v15, v15, v7 :: v_dual_add_f32 v14, v14, v6
	s_cbranch_execnz .LBB84_6
.LBB84_5:
	v_dual_mov_b32 v15, v7 :: v_dual_mov_b32 v14, v6
	v_dual_mov_b32 v13, v5 :: v_dual_mov_b32 v12, v4
	;; [unrolled: 1-line block ×4, first 2 shown]
.LBB84_6:
	s_load_b128 s[4:7], s[0:1], 0x30
	v_cmp_eq_u32_e64 s2, 0, v17
	s_waitcnt lgkmcnt(0)
	s_bitcmp1_b32 s7, 0
	s_mov_b32 s7, 0
	s_cselect_b32 vcc_lo, -1, 0
	s_cmp_gt_i32 s4, 0
	s_cselect_b32 s3, -1, 0
	s_cmp_lt_i32 s4, 1
	s_cbranch_scc1 .LBB84_40
; %bb.7:
	s_load_b128 s[8:11], s[0:1], 0x20
	v_mul_lo_u32 v26, v16, s4
	v_mov_b32_e32 v25, 0
	v_mov_b32_e32 v27, v16
	s_branch .LBB84_10
.LBB84_8:                               ;   in Loop: Header=BB84_10 Depth=1
	s_or_b32 exec_lo, exec_lo, s1
.LBB84_9:                               ;   in Loop: Header=BB84_10 Depth=1
	v_add_nc_u32_e32 v27, s14, v27
	s_cmp_eq_u32 s4, s7
	s_cbranch_scc1 .LBB84_41
.LBB84_10:                              ; =>This Inner Loop Header: Depth=1
	v_cmp_gt_f32_e64 s0, v9, v8
	s_mov_b32 s17, exec_lo
	s_delay_alu instid0(VALU_DEP_1) | instskip(SKIP_2) | instid1(VALU_DEP_3)
	v_cndmask_b32_e64 v28, v8, v9, s0
	v_cndmask_b32_e64 v29, 0, 1, s0
	;; [unrolled: 1-line block ×3, first 2 shown]
	v_cmp_gt_f32_e64 s1, v10, v28
	s_delay_alu instid0(VALU_DEP_1) | instskip(NEXT) | instid1(VALU_DEP_4)
	v_cndmask_b32_e64 v28, v28, v10, s1
	v_cndmask_b32_e64 v29, v29, 2, s1
	s_delay_alu instid0(VALU_DEP_4) | instskip(NEXT) | instid1(VALU_DEP_3)
	v_cndmask_b32_e64 v30, v30, v2, s1
	v_cmp_gt_f32_e64 s0, v11, v28
	s_delay_alu instid0(VALU_DEP_1) | instskip(NEXT) | instid1(VALU_DEP_4)
	v_cndmask_b32_e64 v28, v28, v11, s0
	v_cndmask_b32_e64 v29, v29, 3, s0
	s_delay_alu instid0(VALU_DEP_4) | instskip(NEXT) | instid1(VALU_DEP_3)
	v_cndmask_b32_e64 v30, v30, v3, s0
	;; [unrolled: 6-line block ×4, first 2 shown]
	v_cmp_gt_f32_e64 s1, v14, v28
	s_delay_alu instid0(VALU_DEP_1) | instskip(NEXT) | instid1(VALU_DEP_4)
	v_cndmask_b32_e64 v28, v28, v14, s1
	v_cndmask_b32_e64 v29, v29, 6, s1
	s_waitcnt lgkmcnt(0)
	v_cndmask_b32_e64 v31, v30, v6, s1
	s_delay_alu instid0(VALU_DEP_3) | instskip(NEXT) | instid1(VALU_DEP_1)
	v_cmp_gt_f32_e64 s0, v15, v28
	v_cndmask_b32_e64 v30, v28, v15, s0
	v_cndmask_b32_e64 v28, v29, 7, s0
	s_delay_alu instid0(VALU_DEP_4)
	v_cndmask_b32_e64 v29, v31, v7, s0
	ds_bpermute_b32 v31, v18, v30
	v_or_b32_e32 v28, v24, v28
	ds_bpermute_b32 v33, v18, v29
	ds_bpermute_b32 v32, v18, v28
	s_waitcnt lgkmcnt(0)
	v_cmp_lt_f32_e64 s16, v30, v31
	v_cmpx_nlt_f32_e32 v30, v31
; %bb.11:                               ;   in Loop: Header=BB84_10 Depth=1
	v_cmp_eq_f32_e64 s0, v30, v31
	v_cmp_lt_i32_e64 s1, v32, v28
	s_delay_alu instid0(VALU_DEP_1) | instskip(SKIP_2) | instid1(SALU_CYCLE_1)
	s_and_b32 s0, s0, s1
	s_and_not1_b32 s1, s16, exec_lo
	s_and_b32 s0, s0, exec_lo
	s_or_b32 s16, s1, s0
; %bb.12:                               ;   in Loop: Header=BB84_10 Depth=1
	s_or_b32 exec_lo, exec_lo, s17
	s_and_saveexec_b32 s0, s16
; %bb.13:                               ;   in Loop: Header=BB84_10 Depth=1
	v_dual_mov_b32 v29, v33 :: v_dual_mov_b32 v30, v31
	v_mov_b32_e32 v28, v32
; %bb.14:                               ;   in Loop: Header=BB84_10 Depth=1
	s_or_b32 exec_lo, exec_lo, s0
	ds_bpermute_b32 v32, v19, v30
	ds_bpermute_b32 v33, v19, v29
	;; [unrolled: 1-line block ×3, first 2 shown]
	s_mov_b32 s17, exec_lo
	s_waitcnt lgkmcnt(2)
	v_cmp_lt_f32_e64 s16, v30, v32
	v_cmpx_nlt_f32_e32 v30, v32
	s_cbranch_execz .LBB84_16
; %bb.15:                               ;   in Loop: Header=BB84_10 Depth=1
	v_cmp_eq_f32_e64 s0, v30, v32
	s_waitcnt lgkmcnt(0)
	v_cmp_lt_i32_e64 s1, v31, v28
	s_delay_alu instid0(VALU_DEP_1) | instskip(SKIP_2) | instid1(SALU_CYCLE_1)
	s_and_b32 s0, s0, s1
	s_and_not1_b32 s1, s16, exec_lo
	s_and_b32 s0, s0, exec_lo
	s_or_b32 s16, s1, s0
.LBB84_16:                              ;   in Loop: Header=BB84_10 Depth=1
	s_or_b32 exec_lo, exec_lo, s17
	s_delay_alu instid0(VALU_DEP_2)
	s_and_saveexec_b32 s0, s16
	s_cbranch_execz .LBB84_18
; %bb.17:                               ;   in Loop: Header=BB84_10 Depth=1
	s_waitcnt lgkmcnt(1)
	v_dual_mov_b32 v29, v33 :: v_dual_mov_b32 v30, v32
	s_waitcnt lgkmcnt(0)
	v_mov_b32_e32 v28, v31
.LBB84_18:                              ;   in Loop: Header=BB84_10 Depth=1
	s_or_b32 exec_lo, exec_lo, s0
	ds_bpermute_b32 v32, v20, v30
	s_waitcnt lgkmcnt(2)
	ds_bpermute_b32 v33, v20, v29
	s_waitcnt lgkmcnt(2)
	ds_bpermute_b32 v31, v20, v28
	s_mov_b32 s17, exec_lo
	s_waitcnt lgkmcnt(2)
	v_cmp_lt_f32_e64 s16, v30, v32
	v_cmpx_nlt_f32_e32 v30, v32
	s_cbranch_execz .LBB84_20
; %bb.19:                               ;   in Loop: Header=BB84_10 Depth=1
	v_cmp_eq_f32_e64 s0, v30, v32
	s_waitcnt lgkmcnt(0)
	v_cmp_lt_i32_e64 s1, v31, v28
	s_delay_alu instid0(VALU_DEP_1) | instskip(SKIP_2) | instid1(SALU_CYCLE_1)
	s_and_b32 s0, s0, s1
	s_and_not1_b32 s1, s16, exec_lo
	s_and_b32 s0, s0, exec_lo
	s_or_b32 s16, s1, s0
.LBB84_20:                              ;   in Loop: Header=BB84_10 Depth=1
	s_or_b32 exec_lo, exec_lo, s17
	s_delay_alu instid0(VALU_DEP_2)
	s_and_saveexec_b32 s0, s16
	s_cbranch_execz .LBB84_22
; %bb.21:                               ;   in Loop: Header=BB84_10 Depth=1
	s_waitcnt lgkmcnt(1)
	v_dual_mov_b32 v29, v33 :: v_dual_mov_b32 v30, v32
	s_waitcnt lgkmcnt(0)
	v_mov_b32_e32 v28, v31
.LBB84_22:                              ;   in Loop: Header=BB84_10 Depth=1
	s_or_b32 exec_lo, exec_lo, s0
	ds_bpermute_b32 v32, v21, v30
	s_waitcnt lgkmcnt(2)
	ds_bpermute_b32 v33, v21, v29
	s_waitcnt lgkmcnt(2)
	ds_bpermute_b32 v31, v21, v28
	;; [unrolled: 31-line block ×3, first 2 shown]
	s_mov_b32 s17, exec_lo
	s_waitcnt lgkmcnt(2)
	v_cmp_lt_f32_e64 s16, v30, v32
	v_cmpx_nlt_f32_e32 v30, v32
	s_cbranch_execz .LBB84_28
; %bb.27:                               ;   in Loop: Header=BB84_10 Depth=1
	v_cmp_eq_f32_e64 s0, v30, v32
	s_waitcnt lgkmcnt(0)
	v_cmp_lt_i32_e64 s1, v31, v28
	s_delay_alu instid0(VALU_DEP_1) | instskip(SKIP_2) | instid1(SALU_CYCLE_1)
	s_and_b32 s0, s0, s1
	s_and_not1_b32 s1, s16, exec_lo
	s_and_b32 s0, s0, exec_lo
	s_or_b32 s16, s1, s0
.LBB84_28:                              ;   in Loop: Header=BB84_10 Depth=1
	s_or_b32 exec_lo, exec_lo, s17
	s_delay_alu instid0(VALU_DEP_2)
	s_and_saveexec_b32 s0, s16
	s_cbranch_execz .LBB84_30
; %bb.29:                               ;   in Loop: Header=BB84_10 Depth=1
	s_waitcnt lgkmcnt(1)
	v_dual_mov_b32 v29, v33 :: v_dual_mov_b32 v30, v32
	s_waitcnt lgkmcnt(0)
	v_mov_b32_e32 v28, v31
.LBB84_30:                              ;   in Loop: Header=BB84_10 Depth=1
	s_or_b32 exec_lo, exec_lo, s0
	s_waitcnt lgkmcnt(1)
	ds_bpermute_b32 v33, v23, v30
	ds_bpermute_b32 v32, v23, v29
	s_waitcnt lgkmcnt(2)
	ds_bpermute_b32 v31, v23, v28
	s_mov_b32 s17, exec_lo
	s_waitcnt lgkmcnt(2)
	v_cmp_lt_f32_e64 s16, v30, v33
	v_cmpx_nlt_f32_e32 v30, v33
	s_cbranch_execnz .LBB84_34
; %bb.31:                               ;   in Loop: Header=BB84_10 Depth=1
	s_or_b32 exec_lo, exec_lo, s17
	s_delay_alu instid0(VALU_DEP_2)
	s_and_saveexec_b32 s0, s16
	s_cbranch_execnz .LBB84_35
.LBB84_32:                              ;   in Loop: Header=BB84_10 Depth=1
	s_or_b32 exec_lo, exec_lo, s0
	s_and_saveexec_b32 s16, s2
	s_cbranch_execnz .LBB84_36
.LBB84_33:                              ;   in Loop: Header=BB84_10 Depth=1
	s_or_b32 exec_lo, exec_lo, s16
	s_add_i32 s7, s7, 1
	s_delay_alu instid0(SALU_CYCLE_1)
	s_cmp_ge_i32 s7, s4
	s_cbranch_scc1 .LBB84_9
	s_branch .LBB84_37
.LBB84_34:                              ;   in Loop: Header=BB84_10 Depth=1
	v_cmp_eq_f32_e64 s0, v30, v33
	s_waitcnt lgkmcnt(0)
	v_cmp_lt_i32_e64 s1, v31, v28
	s_delay_alu instid0(VALU_DEP_1) | instskip(SKIP_2) | instid1(SALU_CYCLE_1)
	s_and_b32 s0, s0, s1
	s_and_not1_b32 s1, s16, exec_lo
	s_and_b32 s0, s0, exec_lo
	s_or_b32 s16, s1, s0
	s_or_b32 exec_lo, exec_lo, s17
	s_and_saveexec_b32 s0, s16
	s_cbranch_execz .LBB84_32
.LBB84_35:                              ;   in Loop: Header=BB84_10 Depth=1
	s_waitcnt lgkmcnt(0)
	v_dual_mov_b32 v29, v32 :: v_dual_mov_b32 v28, v31
	s_or_b32 exec_lo, exec_lo, s0
	s_and_saveexec_b32 s16, s2
	s_cbranch_execz .LBB84_33
.LBB84_36:                              ;   in Loop: Header=BB84_10 Depth=1
	s_delay_alu instid0(VALU_DEP_1)
	v_dual_add_f32 v37, v25, v29 :: v_dual_add_nc_u32 v30, s7, v26
	v_cmp_le_i32_e64 s0, s5, v28
	v_cmp_gt_i32_e64 s1, s6, v28
	s_waitcnt lgkmcnt(1)
	v_subrev_nc_u32_e32 v32, s5, v28
	s_waitcnt lgkmcnt(0)
	v_ashrrev_i32_e32 v31, 31, v30
	v_cndmask_b32_e32 v25, v25, v37, vcc_lo
	s_and_b32 s0, s0, s1
	s_delay_alu instid0(SALU_CYCLE_1) | instskip(NEXT) | instid1(VALU_DEP_2)
	s_and_b32 s0, s15, s0
	v_lshlrev_b64 v[30:31], 2, v[30:31]
	v_cndmask_b32_e64 v36, 0x200, v32, s0
	s_delay_alu instid0(VALU_DEP_2) | instskip(NEXT) | instid1(VALU_DEP_1)
	v_add_co_u32 v32, s0, s12, v30
	v_add_co_ci_u32_e64 v33, s0, s13, v31, s0
	v_add_co_u32 v34, s0, s8, v30
	s_delay_alu instid0(VALU_DEP_1) | instskip(SKIP_1) | instid1(VALU_DEP_1)
	v_add_co_ci_u32_e64 v35, s0, s9, v31, s0
	v_add_co_u32 v30, s0, s10, v30
	v_add_co_ci_u32_e64 v31, s0, s11, v31, s0
	global_store_b32 v[32:33], v29, off
	global_store_b32 v[34:35], v36, off
	;; [unrolled: 1-line block ×3, first 2 shown]
	s_or_b32 exec_lo, exec_lo, s16
	s_add_i32 s7, s7, 1
	s_delay_alu instid0(SALU_CYCLE_1)
	s_cmp_ge_i32 s7, s4
	s_cbranch_scc1 .LBB84_9
.LBB84_37:                              ;   in Loop: Header=BB84_10 Depth=1
	v_ashrrev_i32_e32 v29, 31, v28
	s_mov_b32 s1, exec_lo
	s_delay_alu instid0(VALU_DEP_1) | instskip(NEXT) | instid1(VALU_DEP_1)
	v_lshrrev_b32_e32 v30, 29, v29
	v_add_nc_u32_e32 v30, v28, v30
	s_waitcnt lgkmcnt(0)
	s_delay_alu instid0(VALU_DEP_1) | instskip(SKIP_1) | instid1(VALU_DEP_2)
	v_ashrrev_i32_e32 v31, 31, v30
	v_ashrrev_i32_e32 v30, 3, v30
	v_lshrrev_b32_e32 v31, 26, v31
	s_delay_alu instid0(VALU_DEP_1) | instskip(NEXT) | instid1(VALU_DEP_1)
	v_add_nc_u32_e32 v31, v30, v31
	v_and_b32_e32 v31, 0xffffffc0, v31
	s_delay_alu instid0(VALU_DEP_1) | instskip(NEXT) | instid1(VALU_DEP_1)
	v_sub_nc_u32_e32 v31, v30, v31
	v_cmpx_eq_u32_e64 v17, v31
	s_cbranch_execz .LBB84_8
; %bb.38:                               ;   in Loop: Header=BB84_10 Depth=1
	v_lshrrev_b32_e32 v29, 23, v29
	v_lshlrev_b32_e32 v30, 3, v30
	s_delay_alu instid0(VALU_DEP_2) | instskip(NEXT) | instid1(VALU_DEP_2)
	v_add_nc_u32_e32 v29, v28, v29
	v_sub_nc_u32_e32 v28, v28, v30
	s_delay_alu instid0(VALU_DEP_2) | instskip(NEXT) | instid1(VALU_DEP_1)
	v_ashrrev_i32_e32 v29, 9, v29
	v_lshl_add_u32 v28, v29, 3, v28
	s_delay_alu instid0(VALU_DEP_1) | instskip(NEXT) | instid1(VALU_DEP_1)
	v_cmp_ne_u32_e64 s0, 7, v28
	v_cndmask_b32_e64 v15, 0xc61c4000, v15, s0
	v_cmp_ne_u32_e64 s0, 6, v28
	s_delay_alu instid0(VALU_DEP_1) | instskip(SKIP_1) | instid1(VALU_DEP_1)
	v_cndmask_b32_e64 v14, 0xc61c4000, v14, s0
	v_cmp_ne_u32_e64 s0, 5, v28
	v_cndmask_b32_e64 v13, 0xc61c4000, v13, s0
	v_cmp_ne_u32_e64 s0, 4, v28
	s_delay_alu instid0(VALU_DEP_1) | instskip(SKIP_1) | instid1(VALU_DEP_1)
	v_cndmask_b32_e64 v12, 0xc61c4000, v12, s0
	v_cmp_ne_u32_e64 s0, 3, v28
	v_cndmask_b32_e64 v11, 0xc61c4000, v11, s0
	v_cmp_ne_u32_e64 s0, 2, v28
	s_delay_alu instid0(VALU_DEP_1) | instskip(SKIP_1) | instid1(VALU_DEP_1)
	v_cndmask_b32_e64 v10, 0xc61c4000, v10, s0
	v_cmp_ne_u32_e64 s0, 1, v28
	v_cndmask_b32_e64 v9, 0xc61c4000, v9, s0
	v_cmp_ne_u32_e64 s0, 0, v28
	s_delay_alu instid0(VALU_DEP_1)
	v_cndmask_b32_e64 v8, 0xc61c4000, v8, s0
	s_branch .LBB84_8
.LBB84_39:
                                        ; implicit-def: $vgpr8_vgpr9_vgpr10_vgpr11_vgpr12_vgpr13_vgpr14_vgpr15
	s_and_not1_b32 vcc_lo, exec_lo, s8
	s_cbranch_vccz .LBB84_5
	s_branch .LBB84_6
.LBB84_40:
	v_mov_b32_e32 v25, 0
.LBB84_41:
	v_cmp_eq_u32_e64 s0, 0, v17
	s_delay_alu instid0(VALU_DEP_1) | instskip(NEXT) | instid1(SALU_CYCLE_1)
	s_and_b32 s0, s0, vcc_lo
	s_and_b32 exec_lo, exec_lo, s0
	s_cbranch_execz .LBB84_45
; %bb.42:
	s_and_not1_b32 vcc_lo, exec_lo, s3
	s_cbranch_vccnz .LBB84_45
; %bb.43:
	v_mul_lo_u32 v0, v16, s4
	v_cmp_lt_f32_e32 vcc_lo, 0, v25
	v_cndmask_b32_e32 v2, 1.0, v25, vcc_lo
	s_delay_alu instid0(VALU_DEP_3) | instskip(NEXT) | instid1(VALU_DEP_1)
	v_ashrrev_i32_e32 v1, 31, v0
	v_lshlrev_b64 v[0:1], 2, v[0:1]
	s_delay_alu instid0(VALU_DEP_1) | instskip(NEXT) | instid1(VALU_DEP_2)
	v_add_co_u32 v0, vcc_lo, s12, v0
	v_add_co_ci_u32_e32 v1, vcc_lo, s13, v1, vcc_lo
	.p2align	6
.LBB84_44:                              ; =>This Inner Loop Header: Depth=1
	global_load_b32 v3, v[0:1], off
	s_add_i32 s4, s4, -1
	s_delay_alu instid0(SALU_CYCLE_1) | instskip(SKIP_3) | instid1(VALU_DEP_2)
	s_cmp_lg_u32 s4, 0
	s_waitcnt vmcnt(0)
	v_div_scale_f32 v4, null, v2, v2, v3
	v_div_scale_f32 v7, vcc_lo, v3, v2, v3
	v_rcp_f32_e32 v5, v4
	s_waitcnt_depctr 0xfff
	v_fma_f32 v6, -v4, v5, 1.0
	s_delay_alu instid0(VALU_DEP_1) | instskip(NEXT) | instid1(VALU_DEP_1)
	v_fmac_f32_e32 v5, v6, v5
	v_mul_f32_e32 v6, v7, v5
	s_delay_alu instid0(VALU_DEP_1) | instskip(NEXT) | instid1(VALU_DEP_1)
	v_fma_f32 v8, -v4, v6, v7
	v_fmac_f32_e32 v6, v8, v5
	s_delay_alu instid0(VALU_DEP_1) | instskip(NEXT) | instid1(VALU_DEP_1)
	v_fma_f32 v4, -v4, v6, v7
	v_div_fmas_f32 v4, v4, v5, v6
	s_delay_alu instid0(VALU_DEP_1)
	v_div_fixup_f32 v3, v4, v2, v3
	global_store_b32 v[0:1], v3, off
	v_add_co_u32 v0, vcc_lo, v0, 4
	v_add_co_ci_u32_e32 v1, vcc_lo, 0, v1, vcc_lo
	s_cbranch_scc1 .LBB84_44
.LBB84_45:
	s_nop 0
	s_sendmsg sendmsg(MSG_DEALLOC_VGPRS)
	s_endpgm
	.section	.rodata,"a",@progbits
	.p2align	6, 0x0
	.amdhsa_kernel _ZN4vllm3moe10topkGatingILi8ELi512ELi4ELi16ELi64Ei6__halfLNS0_11ScoringFuncE0EEEvPKT5_PKbPfiPT4_PiiiibPKf
		.amdhsa_group_segment_fixed_size 0
		.amdhsa_private_segment_fixed_size 0
		.amdhsa_kernarg_size 72
		.amdhsa_user_sgpr_count 15
		.amdhsa_user_sgpr_dispatch_ptr 0
		.amdhsa_user_sgpr_queue_ptr 0
		.amdhsa_user_sgpr_kernarg_segment_ptr 1
		.amdhsa_user_sgpr_dispatch_id 0
		.amdhsa_user_sgpr_private_segment_size 0
		.amdhsa_wavefront_size32 1
		.amdhsa_uses_dynamic_stack 0
		.amdhsa_enable_private_segment 0
		.amdhsa_system_sgpr_workgroup_id_x 1
		.amdhsa_system_sgpr_workgroup_id_y 0
		.amdhsa_system_sgpr_workgroup_id_z 0
		.amdhsa_system_sgpr_workgroup_info 0
		.amdhsa_system_vgpr_workitem_id 1
		.amdhsa_next_free_vgpr 40
		.amdhsa_next_free_sgpr 18
		.amdhsa_reserve_vcc 1
		.amdhsa_float_round_mode_32 0
		.amdhsa_float_round_mode_16_64 0
		.amdhsa_float_denorm_mode_32 3
		.amdhsa_float_denorm_mode_16_64 3
		.amdhsa_dx10_clamp 1
		.amdhsa_ieee_mode 1
		.amdhsa_fp16_overflow 0
		.amdhsa_workgroup_processor_mode 1
		.amdhsa_memory_ordered 1
		.amdhsa_forward_progress 0
		.amdhsa_shared_vgpr_count 0
		.amdhsa_exception_fp_ieee_invalid_op 0
		.amdhsa_exception_fp_denorm_src 0
		.amdhsa_exception_fp_ieee_div_zero 0
		.amdhsa_exception_fp_ieee_overflow 0
		.amdhsa_exception_fp_ieee_underflow 0
		.amdhsa_exception_fp_ieee_inexact 0
		.amdhsa_exception_int_div_zero 0
	.end_amdhsa_kernel
	.section	.text._ZN4vllm3moe10topkGatingILi8ELi512ELi4ELi16ELi64Ei6__halfLNS0_11ScoringFuncE0EEEvPKT5_PKbPfiPT4_PiiiibPKf,"axG",@progbits,_ZN4vllm3moe10topkGatingILi8ELi512ELi4ELi16ELi64Ei6__halfLNS0_11ScoringFuncE0EEEvPKT5_PKbPfiPT4_PiiiibPKf,comdat
.Lfunc_end84:
	.size	_ZN4vllm3moe10topkGatingILi8ELi512ELi4ELi16ELi64Ei6__halfLNS0_11ScoringFuncE0EEEvPKT5_PKbPfiPT4_PiiiibPKf, .Lfunc_end84-_ZN4vllm3moe10topkGatingILi8ELi512ELi4ELi16ELi64Ei6__halfLNS0_11ScoringFuncE0EEEvPKT5_PKbPfiPT4_PiiiibPKf
                                        ; -- End function
	.section	.AMDGPU.csdata,"",@progbits
; Kernel info:
; codeLenInByte = 3760
; NumSgprs: 20
; NumVgprs: 40
; ScratchSize: 0
; MemoryBound: 0
; FloatMode: 240
; IeeeMode: 1
; LDSByteSize: 0 bytes/workgroup (compile time only)
; SGPRBlocks: 2
; VGPRBlocks: 4
; NumSGPRsForWavesPerEU: 20
; NumVGPRsForWavesPerEU: 40
; Occupancy: 16
; WaveLimiterHint : 0
; COMPUTE_PGM_RSRC2:SCRATCH_EN: 0
; COMPUTE_PGM_RSRC2:USER_SGPR: 15
; COMPUTE_PGM_RSRC2:TRAP_HANDLER: 0
; COMPUTE_PGM_RSRC2:TGID_X_EN: 1
; COMPUTE_PGM_RSRC2:TGID_Y_EN: 0
; COMPUTE_PGM_RSRC2:TGID_Z_EN: 0
; COMPUTE_PGM_RSRC2:TIDIG_COMP_CNT: 1
	.section	.text._ZN4vllm3moe10topkGatingILi16ELi512ELi4ELi16ELi32Ei6__halfLNS0_11ScoringFuncE0EEEvPKT5_PKbPfiPT4_PiiiibPKf,"axG",@progbits,_ZN4vllm3moe10topkGatingILi16ELi512ELi4ELi16ELi32Ei6__halfLNS0_11ScoringFuncE0EEEvPKT5_PKbPfiPT4_PiiiibPKf,comdat
	.protected	_ZN4vllm3moe10topkGatingILi16ELi512ELi4ELi16ELi32Ei6__halfLNS0_11ScoringFuncE0EEEvPKT5_PKbPfiPT4_PiiiibPKf ; -- Begin function _ZN4vllm3moe10topkGatingILi16ELi512ELi4ELi16ELi32Ei6__halfLNS0_11ScoringFuncE0EEEvPKT5_PKbPfiPT4_PiiiibPKf
	.globl	_ZN4vllm3moe10topkGatingILi16ELi512ELi4ELi16ELi32Ei6__halfLNS0_11ScoringFuncE0EEEvPKT5_PKbPfiPT4_PiiiibPKf
	.p2align	8
	.type	_ZN4vllm3moe10topkGatingILi16ELi512ELi4ELi16ELi32Ei6__halfLNS0_11ScoringFuncE0EEEvPKT5_PKbPfiPT4_PiiiibPKf,@function
_ZN4vllm3moe10topkGatingILi16ELi512ELi4ELi16ELi32Ei6__halfLNS0_11ScoringFuncE0EEEvPKT5_PKbPfiPT4_PiiiibPKf: ; @_ZN4vllm3moe10topkGatingILi16ELi512ELi4ELi16ELi32Ei6__halfLNS0_11ScoringFuncE0EEEvPKT5_PKbPfiPT4_PiiiibPKf
; %bb.0:
	s_load_b32 s14, s[0:1], 0x18
	v_and_b32_e32 v1, 0x3ff, v0
	v_bfe_u32 v0, v0, 10, 10
	s_lshl_b32 s2, s15, 2
	s_delay_alu instid0(VALU_DEP_2) | instskip(NEXT) | instid1(VALU_DEP_1)
	v_lshrrev_b32_e32 v2, 5, v1
	v_add3_u32 v32, s2, v0, v2
	s_mov_b32 s2, exec_lo
	s_waitcnt lgkmcnt(0)
	s_delay_alu instid0(VALU_DEP_1)
	v_cmpx_gt_i32_e64 s14, v32
	s_cbranch_execz .LBB85_41
; %bb.1:
	s_clause 0x1
	s_load_b128 s[4:7], s[0:1], 0x0
	s_load_b64 s[12:13], s[0:1], 0x10
	s_mov_b32 s8, -1
	s_mov_b32 s15, -1
	s_waitcnt lgkmcnt(0)
	s_cmp_eq_u64 s[6:7], 0
	s_cbranch_scc1 .LBB85_3
; %bb.2:
	v_ashrrev_i32_e32 v0, 31, v32
	v_add_co_u32 v2, vcc_lo, s6, v32
	s_delay_alu instid0(VALU_DEP_2) | instskip(SKIP_3) | instid1(VALU_DEP_1)
	v_add_co_ci_u32_e32 v3, vcc_lo, s7, v0, vcc_lo
	global_load_u8 v0, v[2:3], off
	s_waitcnt vmcnt(0)
	v_and_b32_e32 v0, 1, v0
	v_cmp_eq_u32_e32 vcc_lo, 1, v0
	s_xor_b32 s2, vcc_lo, -1
	s_delay_alu instid0(SALU_CYCLE_1)
	s_or_not1_b32 s15, s2, exec_lo
.LBB85_3:
	v_mbcnt_lo_u32_b32 v15, -1, 0
	v_and_b32_e32 v33, 31, v1
	s_load_b64 s[2:3], s[0:1], 0x40
	s_delay_alu instid0(VALU_DEP_2) | instskip(SKIP_2) | instid1(VALU_DEP_2)
	v_xor_b32_e32 v17, 16, v15
	v_lshlrev_b32_e32 v2, 9, v32
	v_xor_b32_e32 v19, 8, v15
	v_ashrrev_i32_e32 v3, 31, v2
	s_delay_alu instid0(VALU_DEP_1) | instskip(SKIP_3) | instid1(VALU_DEP_2)
	v_lshlrev_b64 v[0:1], 1, v[2:3]
	v_lshlrev_b32_e32 v2, 4, v33
	s_waitcnt lgkmcnt(0)
	s_cmp_eq_u64 s[2:3], 0
	v_add_co_u32 v0, vcc_lo, s4, v0
	s_delay_alu instid0(VALU_DEP_3) | instskip(NEXT) | instid1(VALU_DEP_2)
	v_add_co_ci_u32_e32 v1, vcc_lo, s5, v1, vcc_lo
	v_add_co_u32 v4, vcc_lo, v0, v2
	s_delay_alu instid0(VALU_DEP_2)
	v_add_co_ci_u32_e32 v5, vcc_lo, 0, v1, vcc_lo
	v_cmp_gt_i32_e32 vcc_lo, 32, v17
	s_clause 0x1
	global_load_b128 v[0:3], v[4:5], off
	global_load_b128 v[4:7], v[4:5], off offset:512
	v_cndmask_b32_e32 v17, v15, v17, vcc_lo
	v_cmp_gt_i32_e32 vcc_lo, 32, v19
	s_delay_alu instid0(VALU_DEP_2) | instskip(NEXT) | instid1(VALU_DEP_1)
	v_dual_cndmask_b32 v19, v15, v19 :: v_dual_lshlrev_b32 v34, 2, v17
	v_lshlrev_b32_e32 v35, 2, v19
	v_xor_b32_e32 v19, 4, v15
	s_delay_alu instid0(VALU_DEP_1) | instskip(SKIP_1) | instid1(VALU_DEP_1)
	v_cmp_gt_i32_e32 vcc_lo, 32, v19
	v_cndmask_b32_e32 v19, v15, v19, vcc_lo
	v_lshlrev_b32_e32 v36, 2, v19
	v_xor_b32_e32 v19, 2, v15
	s_delay_alu instid0(VALU_DEP_1) | instskip(SKIP_1) | instid1(VALU_DEP_1)
	v_cmp_gt_i32_e32 vcc_lo, 32, v19
	v_cndmask_b32_e32 v19, v15, v19, vcc_lo
	;; [unrolled: 5-line block ×3, first 2 shown]
	v_lshlrev_b32_e32 v38, 2, v15
	s_waitcnt vmcnt(1)
	v_lshrrev_b32_e32 v8, 16, v0
	v_cvt_f32_f16_e32 v0, v0
	v_lshrrev_b32_e32 v9, 16, v1
	v_cvt_f32_f16_e32 v1, v1
	;; [unrolled: 2-line block ×3, first 2 shown]
	v_cvt_f32_f16_e32 v2, v2
	v_cvt_f32_f16_e32 v9, v9
	v_lshrrev_b32_e32 v12, 16, v3
	v_cvt_f32_f16_e32 v10, v10
	v_max_f32_e32 v11, v0, v8
	v_cvt_f32_f16_e32 v3, v3
	s_waitcnt vmcnt(0)
	v_lshrrev_b32_e32 v13, 16, v4
	v_cvt_f32_f16_e32 v12, v12
	v_cvt_f32_f16_e32 v4, v4
	v_max3_f32 v11, v11, v1, v9
	v_lshrrev_b32_e32 v14, 16, v5
	v_cvt_f32_f16_e32 v13, v13
	v_cvt_f32_f16_e32 v5, v5
	v_lshrrev_b32_e32 v16, 16, v6
	v_max3_f32 v11, v11, v2, v10
	v_cvt_f32_f16_e32 v14, v14
	v_cvt_f32_f16_e32 v6, v6
	v_lshrrev_b32_e32 v18, 16, v7
	v_cvt_f32_f16_e32 v16, v16
	v_max3_f32 v11, v11, v3, v12
	v_cvt_f32_f16_e32 v7, v7
	s_delay_alu instid0(VALU_DEP_4) | instskip(NEXT) | instid1(VALU_DEP_3)
	v_cvt_f32_f16_e32 v18, v18
	v_max3_f32 v11, v11, v4, v13
	s_delay_alu instid0(VALU_DEP_1) | instskip(NEXT) | instid1(VALU_DEP_1)
	v_max3_f32 v11, v11, v5, v14
	v_max3_f32 v11, v11, v6, v16
	s_delay_alu instid0(VALU_DEP_1) | instskip(SKIP_3) | instid1(VALU_DEP_1)
	v_max3_f32 v11, v11, v7, v18
	ds_bpermute_b32 v17, v34, v11
	s_waitcnt lgkmcnt(0)
	v_max_f32_e32 v17, v17, v17
	v_max_f32_e32 v11, v11, v17
	ds_bpermute_b32 v17, v35, v11
	s_waitcnt lgkmcnt(0)
	v_max_f32_e32 v17, v17, v17
	s_delay_alu instid0(VALU_DEP_1) | instskip(SKIP_3) | instid1(VALU_DEP_1)
	v_max_f32_e32 v11, v11, v17
	ds_bpermute_b32 v17, v36, v11
	s_waitcnt lgkmcnt(0)
	v_max_f32_e32 v17, v17, v17
	v_max_f32_e32 v11, v11, v17
	ds_bpermute_b32 v17, v37, v11
	s_waitcnt lgkmcnt(0)
	v_max_f32_e32 v17, v17, v17
	s_delay_alu instid0(VALU_DEP_1) | instskip(SKIP_3) | instid1(VALU_DEP_1)
	v_max_f32_e32 v11, v11, v17
	ds_bpermute_b32 v15, v38, v11
	s_waitcnt lgkmcnt(0)
	v_max_f32_e32 v15, v15, v15
	v_max_f32_e32 v11, v11, v15
	s_delay_alu instid0(VALU_DEP_1)
	v_sub_f32_e32 v0, v0, v11
	v_sub_f32_e32 v8, v8, v11
	;; [unrolled: 1-line block ×6, first 2 shown]
	v_dual_sub_f32 v14, v14, v11 :: v_dual_mul_f32 v17, 0x3fb8aa3b, v8
	v_dual_sub_f32 v6, v6, v11 :: v_dual_mul_f32 v23, 0x3fb8aa3b, v12
	v_cmp_ngt_f32_e32 vcc_lo, 0xc2ce8ed0, v0
	v_dual_sub_f32 v7, v7, v11 :: v_dual_mul_f32 v24, 0x3fb8aa3b, v4
	v_mul_f32_e32 v20, 0x3fb8aa3b, v2
	v_mul_f32_e32 v21, 0x3fb8aa3b, v10
	;; [unrolled: 1-line block ×3, first 2 shown]
	s_delay_alu instid0(VALU_DEP_4)
	v_mul_f32_e32 v30, 0x3fb8aa3b, v7
	v_rndne_f32_e32 v56, v24
	v_sub_f32_e32 v3, v3, v11
	v_fma_f32 v47, 0x3fb8aa3b, v2, -v20
	v_rndne_f32_e32 v48, v20
	v_fma_f32 v55, 0x3fb8aa3b, v4, -v24
	v_sub_f32_e32 v24, v24, v56
	v_rndne_f32_e32 v64, v28
	v_sub_f32_e32 v5, v5, v11
	v_rndne_f32_e32 v68, v30
	v_dual_sub_f32 v15, v16, v11 :: v_dual_mul_f32 v16, 0x3fb8aa3b, v0
	v_mul_f32_e32 v22, 0x3fb8aa3b, v3
	v_fma_f32 v63, 0x3fb8aa3b, v6, -v28
	v_dual_sub_f32 v1, v1, v11 :: v_dual_sub_f32 v20, v20, v48
	v_fma_f32 v41, 0x3fb8aa3b, v8, -v17
	v_rndne_f32_e32 v42, v17
	v_fmac_f32_e32 v47, 0x32a5705f, v2
	v_rndne_f32_e32 v50, v21
	v_fma_f32 v49, 0x3fb8aa3b, v10, -v21
	v_rndne_f32_e32 v54, v23
	v_fma_f32 v39, 0x3fb8aa3b, v0, -v16
	v_rndne_f32_e32 v40, v16
	v_sub_f32_e32 v28, v28, v64
	v_mul_f32_e32 v26, 0x3fb8aa3b, v5
	v_fma_f32 v51, 0x3fb8aa3b, v3, -v22
	v_rndne_f32_e32 v52, v22
	v_sub_f32_e32 v9, v9, v11
	v_dual_fmac_f32 v39, 0x32a5705f, v0 :: v_dual_add_f32 v20, v20, v47
	v_rndne_f32_e32 v60, v26
	v_dual_sub_f32 v13, v13, v11 :: v_dual_sub_f32 v16, v16, v40
	v_fma_f32 v59, 0x3fb8aa3b, v5, -v26
	v_dual_fmac_f32 v51, 0x32a5705f, v3 :: v_dual_sub_f32 v22, v22, v52
	v_mul_f32_e32 v19, 0x3fb8aa3b, v9
	v_fmac_f32_e32 v41, 0x32a5705f, v8
	v_fmac_f32_e32 v55, 0x32a5705f, v4
	v_dual_sub_f32 v17, v17, v42 :: v_dual_sub_f32 v26, v26, v60
	v_dual_mul_f32 v25, 0x3fb8aa3b, v13 :: v_dual_add_f32 v16, v16, v39
	v_add_f32_e32 v22, v22, v51
	s_delay_alu instid0(VALU_DEP_3) | instskip(SKIP_1) | instid1(VALU_DEP_4)
	v_dual_add_f32 v24, v24, v55 :: v_dual_add_f32 v17, v17, v41
	v_cvt_i32_f32_e32 v40, v40
	v_exp_f32_e32 v16, v16
	v_cvt_i32_f32_e32 v42, v42
	v_fma_f32 v45, 0x3fb8aa3b, v9, -v19
	v_exp_f32_e32 v17, v17
	v_fmac_f32_e32 v63, 0x32a5705f, v6
	v_fmac_f32_e32 v59, 0x32a5705f, v5
	v_rndne_f32_e32 v46, v19
	v_fmac_f32_e32 v45, 0x32a5705f, v9
	v_cvt_i32_f32_e32 v64, v64
	v_add_f32_e32 v28, v28, v63
	v_ldexp_f32 v16, v16, v40
	v_fma_f32 v53, 0x3fb8aa3b, v12, -v23
	v_exp_f32_e32 v20, v20
	v_ldexp_f32 v17, v17, v42
	v_exp_f32_e32 v28, v28
	v_cndmask_b32_e32 v16, 0, v16, vcc_lo
	v_cmp_ngt_f32_e32 vcc_lo, 0xc2ce8ed0, v8
	v_fma_f32 v67, 0x3fb8aa3b, v7, -v30
	v_sub_f32_e32 v30, v30, v68
	v_add_f32_e32 v26, v26, v59
	v_cvt_i32_f32_e32 v48, v48
	v_cndmask_b32_e32 v17, 0, v17, vcc_lo
	v_cmp_ngt_f32_e32 vcc_lo, 0xc2ce8ed0, v1
	v_dual_sub_f32 v11, v18, v11 :: v_dual_mul_f32 v18, 0x3fb8aa3b, v1
	v_ldexp_f32 v28, v28, v64
	v_fmac_f32_e32 v67, 0x32a5705f, v7
	v_sub_f32_e32 v19, v19, v46
	v_cvt_i32_f32_e32 v46, v46
	v_fma_f32 v43, 0x3fb8aa3b, v1, -v18
	v_rndne_f32_e32 v44, v18
	s_delay_alu instid0(VALU_DEP_4) | instskip(SKIP_1) | instid1(VALU_DEP_3)
	v_dual_add_f32 v30, v30, v67 :: v_dual_add_f32 v19, v19, v45
	v_ldexp_f32 v20, v20, v48
	v_dual_fmac_f32 v43, 0x32a5705f, v1 :: v_dual_sub_f32 v18, v18, v44
	v_mul_f32_e32 v27, 0x3fb8aa3b, v14
	v_cvt_i32_f32_e32 v44, v44
	v_exp_f32_e32 v19, v19
	v_exp_f32_e32 v22, v22
	v_add_f32_e32 v18, v18, v43
	v_cvt_i32_f32_e32 v52, v52
	v_rndne_f32_e32 v58, v25
	v_fma_f32 v57, 0x3fb8aa3b, v13, -v25
	v_exp_f32_e32 v24, v24
	v_exp_f32_e32 v18, v18
	v_cvt_i32_f32_e32 v56, v56
	v_exp_f32_e32 v30, v30
	v_ldexp_f32 v19, v19, v46
	v_ldexp_f32 v22, v22, v52
	v_cvt_i32_f32_e32 v68, v68
	v_fma_f32 v61, 0x3fb8aa3b, v14, -v27
	v_rndne_f32_e32 v62, v27
	v_exp_f32_e32 v26, v26
	v_ldexp_f32 v24, v24, v56
	v_ldexp_f32 v18, v18, v44
	v_cvt_i32_f32_e32 v60, v60
	v_ldexp_f32 v30, v30, v68
	s_delay_alu instid0(VALU_DEP_3) | instskip(SKIP_3) | instid1(TRANS32_DEP_1)
	v_cndmask_b32_e32 v18, 0, v18, vcc_lo
	v_cmp_nlt_f32_e32 vcc_lo, 0x42b17218, v0
	v_sub_f32_e32 v21, v21, v50
	v_cvt_i32_f32_e32 v50, v50
	v_ldexp_f32 v26, v26, v60
	v_cndmask_b32_e32 v0, 0x7f800000, v16, vcc_lo
	v_cmp_nlt_f32_e32 vcc_lo, 0x42b17218, v8
	v_sub_f32_e32 v23, v23, v54
	v_cvt_i32_f32_e32 v54, v54
	v_cndmask_b32_e32 v8, 0x7f800000, v17, vcc_lo
	v_cmp_ngt_f32_e32 vcc_lo, 0xc2ce8ed0, v9
	s_delay_alu instid0(VALU_DEP_2)
	v_dual_add_f32 v17, v0, v8 :: v_dual_cndmask_b32 v16, 0, v19
	v_cmp_nlt_f32_e32 vcc_lo, 0x42b17218, v1
	v_cndmask_b32_e32 v1, 0x7f800000, v18, vcc_lo
	v_cmp_ngt_f32_e32 vcc_lo, 0xc2ce8ed0, v2
	v_mul_f32_e32 v29, 0x3fb8aa3b, v15
	v_dual_mul_f32 v31, 0x3fb8aa3b, v11 :: v_dual_cndmask_b32 v18, 0, v20
	v_cmp_nlt_f32_e32 vcc_lo, 0x42b17218, v9
	s_delay_alu instid0(VALU_DEP_3)
	v_fma_f32 v65, 0x3fb8aa3b, v15, -v29
	v_rndne_f32_e32 v66, v29
	v_dual_cndmask_b32 v9, 0x7f800000, v16 :: v_dual_add_f32 v16, v17, v1
	v_fmac_f32_e32 v49, 0x32a5705f, v10
	v_cmp_ngt_f32_e32 vcc_lo, 0xc2ce8ed0, v10
	v_rndne_f32_e32 v70, v31
	v_fma_f32 v69, 0x3fb8aa3b, v11, -v31
	v_add_f32_e32 v16, v16, v9
	v_add_f32_e32 v21, v21, v49
	s_delay_alu instid0(VALU_DEP_1) | instskip(SKIP_2) | instid1(VALU_DEP_1)
	v_exp_f32_e32 v21, v21
	s_waitcnt_depctr 0xfff
	v_ldexp_f32 v21, v21, v50
	v_cndmask_b32_e32 v17, 0, v21, vcc_lo
	v_cmp_nlt_f32_e32 vcc_lo, 0x42b17218, v2
	v_cndmask_b32_e32 v2, 0x7f800000, v18, vcc_lo
	v_fmac_f32_e32 v53, 0x32a5705f, v12
	v_cmp_ngt_f32_e32 vcc_lo, 0xc2ce8ed0, v3
	s_delay_alu instid0(VALU_DEP_2)
	v_dual_add_f32 v16, v16, v2 :: v_dual_add_f32 v23, v23, v53
	v_cndmask_b32_e32 v18, 0, v22, vcc_lo
	v_cmp_nlt_f32_e32 vcc_lo, 0x42b17218, v10
	v_sub_f32_e32 v25, v25, v58
	v_cvt_i32_f32_e32 v58, v58
	v_exp_f32_e32 v23, v23
	v_cndmask_b32_e32 v10, 0x7f800000, v17, vcc_lo
	v_cmp_ngt_f32_e32 vcc_lo, 0xc2ce8ed0, v12
	s_delay_alu instid0(VALU_DEP_2) | instskip(SKIP_2) | instid1(VALU_DEP_1)
	v_add_f32_e32 v16, v16, v10
	s_waitcnt_depctr 0xfff
	v_ldexp_f32 v23, v23, v54
	v_cndmask_b32_e32 v17, 0, v23, vcc_lo
	v_cmp_nlt_f32_e32 vcc_lo, 0x42b17218, v3
	v_cndmask_b32_e32 v3, 0x7f800000, v18, vcc_lo
	v_cmp_ngt_f32_e32 vcc_lo, 0xc2ce8ed0, v4
	s_delay_alu instid0(VALU_DEP_2) | instskip(NEXT) | instid1(VALU_DEP_1)
	v_dual_fmac_f32 v57, 0x32a5705f, v13 :: v_dual_add_f32 v16, v16, v3
	v_dual_cndmask_b32 v18, 0, v24 :: v_dual_add_f32 v25, v25, v57
	v_cmp_nlt_f32_e32 vcc_lo, 0x42b17218, v12
	v_sub_f32_e32 v27, v27, v62
	v_cvt_i32_f32_e32 v62, v62
	s_delay_alu instid0(VALU_DEP_4) | instskip(SKIP_3) | instid1(VALU_DEP_2)
	v_exp_f32_e32 v25, v25
	v_cndmask_b32_e32 v12, 0x7f800000, v17, vcc_lo
	v_fmac_f32_e32 v61, 0x32a5705f, v14
	v_cmp_ngt_f32_e32 vcc_lo, 0xc2ce8ed0, v13
	v_dual_add_f32 v16, v16, v12 :: v_dual_add_f32 v27, v27, v61
	s_waitcnt_depctr 0xfff
	v_ldexp_f32 v25, v25, v58
	v_exp_f32_e32 v27, v27
	s_delay_alu instid0(VALU_DEP_1)
	v_cndmask_b32_e32 v17, 0, v25, vcc_lo
	v_cmp_nlt_f32_e32 vcc_lo, 0x42b17218, v4
	v_cndmask_b32_e32 v4, 0x7f800000, v18, vcc_lo
	v_cmp_ngt_f32_e32 vcc_lo, 0xc2ce8ed0, v5
	v_fmac_f32_e32 v65, 0x32a5705f, v15
	s_waitcnt_depctr 0xfff
	v_ldexp_f32 v27, v27, v62
	v_add_f32_e32 v16, v16, v4
	v_cndmask_b32_e32 v18, 0, v26, vcc_lo
	v_cmp_nlt_f32_e32 vcc_lo, 0x42b17218, v13
	v_cndmask_b32_e32 v13, 0x7f800000, v17, vcc_lo
	v_sub_f32_e32 v29, v29, v66
	v_cmp_ngt_f32_e32 vcc_lo, 0xc2ce8ed0, v14
	v_cvt_i32_f32_e32 v66, v66
	s_delay_alu instid0(VALU_DEP_4) | instskip(NEXT) | instid1(VALU_DEP_4)
	v_add_f32_e32 v16, v16, v13
	v_add_f32_e32 v29, v29, v65
	v_cndmask_b32_e32 v17, 0, v27, vcc_lo
	v_cmp_nlt_f32_e32 vcc_lo, 0x42b17218, v5
	s_delay_alu instid0(VALU_DEP_3) | instskip(SKIP_2) | instid1(VALU_DEP_2)
	v_exp_f32_e32 v29, v29
	v_cndmask_b32_e32 v5, 0x7f800000, v18, vcc_lo
	v_cmp_ngt_f32_e32 vcc_lo, 0xc2ce8ed0, v6
	v_dual_fmac_f32 v69, 0x32a5705f, v11 :: v_dual_add_f32 v16, v16, v5
	v_cndmask_b32_e32 v18, 0, v28, vcc_lo
	v_cmp_nlt_f32_e32 vcc_lo, 0x42b17218, v14
	v_sub_f32_e32 v31, v31, v70
	s_delay_alu instid0(TRANS32_DEP_1) | instskip(SKIP_3) | instid1(VALU_DEP_2)
	v_ldexp_f32 v29, v29, v66
	v_cvt_i32_f32_e32 v70, v70
	v_cndmask_b32_e32 v14, 0x7f800000, v17, vcc_lo
	v_cmp_ngt_f32_e32 vcc_lo, 0xc2ce8ed0, v15
	v_dual_add_f32 v16, v16, v14 :: v_dual_cndmask_b32 v17, 0, v29
	v_cmp_nlt_f32_e32 vcc_lo, 0x42b17218, v6
	v_cndmask_b32_e32 v6, 0x7f800000, v18, vcc_lo
	v_cmp_ngt_f32_e32 vcc_lo, 0xc2ce8ed0, v7
	s_delay_alu instid0(VALU_DEP_2) | instskip(SKIP_4) | instid1(VALU_DEP_2)
	v_add_f32_e32 v16, v16, v6
	v_cndmask_b32_e32 v18, 0, v30, vcc_lo
	v_cmp_nlt_f32_e32 vcc_lo, 0x42b17218, v15
	v_cndmask_b32_e32 v15, 0x7f800000, v17, vcc_lo
	v_cmp_ngt_f32_e32 vcc_lo, 0xc2ce8ed0, v11
	v_dual_add_f32 v16, v16, v15 :: v_dual_add_f32 v31, v31, v69
	s_delay_alu instid0(VALU_DEP_1) | instskip(SKIP_2) | instid1(VALU_DEP_1)
	v_exp_f32_e32 v31, v31
	s_waitcnt_depctr 0xfff
	v_ldexp_f32 v31, v31, v70
	v_cndmask_b32_e32 v17, 0, v31, vcc_lo
	v_cmp_nlt_f32_e32 vcc_lo, 0x42b17218, v7
	v_cndmask_b32_e32 v7, 0x7f800000, v18, vcc_lo
	v_cmp_nlt_f32_e32 vcc_lo, 0x42b17218, v11
	s_delay_alu instid0(VALU_DEP_2) | instskip(NEXT) | instid1(VALU_DEP_1)
	v_dual_add_f32 v16, v16, v7 :: v_dual_cndmask_b32 v11, 0x7f800000, v17
	v_add_f32_e32 v16, v16, v11
	ds_bpermute_b32 v17, v34, v16
	s_waitcnt lgkmcnt(0)
	v_add_f32_e32 v16, v16, v17
	ds_bpermute_b32 v17, v35, v16
	s_waitcnt lgkmcnt(0)
	;; [unrolled: 3-line block ×5, first 2 shown]
	v_add_f32_e32 v16, v16, v17
	s_delay_alu instid0(VALU_DEP_1) | instskip(SKIP_1) | instid1(VALU_DEP_2)
	v_div_scale_f32 v17, null, v16, v16, 1.0
	v_div_scale_f32 v20, vcc_lo, 1.0, v16, 1.0
	v_rcp_f32_e32 v18, v17
	s_waitcnt_depctr 0xfff
	v_fma_f32 v19, -v17, v18, 1.0
	s_delay_alu instid0(VALU_DEP_1) | instskip(NEXT) | instid1(VALU_DEP_1)
	v_fmac_f32_e32 v18, v19, v18
	v_mul_f32_e32 v19, v20, v18
	s_delay_alu instid0(VALU_DEP_1) | instskip(NEXT) | instid1(VALU_DEP_1)
	v_fma_f32 v21, -v17, v19, v20
	v_fmac_f32_e32 v19, v21, v18
	s_delay_alu instid0(VALU_DEP_1) | instskip(NEXT) | instid1(VALU_DEP_1)
	v_fma_f32 v17, -v17, v19, v20
	v_div_fmas_f32 v17, v17, v18, v19
	s_delay_alu instid0(VALU_DEP_1) | instskip(NEXT) | instid1(VALU_DEP_1)
	v_div_fixup_f32 v16, v17, v16, 1.0
	v_mul_f32_e32 v0, v16, v0
	v_mul_f32_e32 v8, v16, v8
	;; [unrolled: 1-line block ×5, first 2 shown]
	v_cmp_class_f32_e64 vcc_lo, v0, 0x1f8
	v_mul_f32_e32 v9, v16, v9
	v_mul_f32_e32 v18, v16, v2
	;; [unrolled: 1-line block ×4, first 2 shown]
	v_cndmask_b32_e32 v0, 0, v0, vcc_lo
	v_cmp_class_f32_e64 vcc_lo, v8, 0x1f8
	v_mul_f32_e32 v23, v16, v7
	v_mul_f32_e32 v21, v16, v5
	;; [unrolled: 1-line block ×4, first 2 shown]
	v_cndmask_b32_e32 v1, 0, v8, vcc_lo
	v_cmp_class_f32_e64 vcc_lo, v17, 0x1f8
	v_mul_f32_e32 v14, v16, v14
	v_cndmask_b32_e32 v2, 0, v17, vcc_lo
	v_cmp_class_f32_e64 vcc_lo, v9, 0x1f8
	v_cndmask_b32_e32 v3, 0, v9, vcc_lo
	v_cmp_class_f32_e64 vcc_lo, v18, 0x1f8
	v_dual_cndmask_b32 v4, 0, v18 :: v_dual_lshlrev_b32 v39, 3, v33
	v_cmp_class_f32_e64 vcc_lo, v10, 0x1f8
	v_cndmask_b32_e32 v5, 0, v10, vcc_lo
	v_cmp_class_f32_e64 vcc_lo, v19, 0x1f8
	v_cndmask_b32_e32 v6, 0, v19, vcc_lo
	;; [unrolled: 2-line block ×5, first 2 shown]
	v_cmp_class_f32_e64 vcc_lo, v21, 0x1f8
	v_mul_f32_e32 v15, v16, v15
	v_mul_f32_e32 v16, v16, v11
	v_cndmask_b32_e32 v10, 0, v21, vcc_lo
	v_cmp_class_f32_e64 vcc_lo, v14, 0x1f8
	v_cndmask_b32_e32 v11, 0, v14, vcc_lo
	v_cmp_class_f32_e64 vcc_lo, v22, 0x1f8
	;; [unrolled: 2-line block ×5, first 2 shown]
	v_cndmask_b32_e32 v15, 0, v16, vcc_lo
	s_cbranch_scc1 .LBB85_35
; %bb.4:
	v_lshlrev_b32_e32 v28, 2, v39
	s_clause 0x3
	global_load_b128 v[16:19], v28, s[2:3]
	global_load_b128 v[20:23], v28, s[2:3] offset:16
	global_load_b128 v[24:27], v28, s[2:3] offset:1024
	;; [unrolled: 1-line block ×3, first 2 shown]
	s_waitcnt vmcnt(3)
	v_dual_add_f32 v17, v17, v1 :: v_dual_add_f32 v16, v16, v0
	v_dual_add_f32 v19, v19, v3 :: v_dual_add_f32 v18, v18, v2
	s_waitcnt vmcnt(2)
	v_dual_add_f32 v21, v21, v5 :: v_dual_add_f32 v20, v20, v4
	v_dual_add_f32 v23, v23, v7 :: v_dual_add_f32 v22, v22, v6
	;; [unrolled: 3-line block ×4, first 2 shown]
	s_cbranch_execnz .LBB85_6
.LBB85_5:
	v_dual_mov_b32 v31, v15 :: v_dual_mov_b32 v30, v14
	v_dual_mov_b32 v29, v13 :: v_dual_mov_b32 v28, v12
	v_dual_mov_b32 v27, v11 :: v_dual_mov_b32 v26, v10
	v_dual_mov_b32 v25, v9 :: v_dual_mov_b32 v24, v8
	v_dual_mov_b32 v23, v7 :: v_dual_mov_b32 v22, v6
	v_dual_mov_b32 v21, v5 :: v_dual_mov_b32 v20, v4
	v_dual_mov_b32 v19, v3 :: v_dual_mov_b32 v18, v2
	v_dual_mov_b32 v17, v1 :: v_dual_mov_b32 v16, v0
.LBB85_6:
	s_load_b128 s[4:7], s[0:1], 0x30
	v_cmp_eq_u32_e64 s2, 0, v33
	s_waitcnt lgkmcnt(0)
	s_bitcmp1_b32 s7, 0
	s_mov_b32 s7, 0
	s_cselect_b32 vcc_lo, -1, 0
	s_cmp_gt_i32 s4, 0
	s_cselect_b32 s3, -1, 0
	s_cmp_lt_i32 s4, 1
	s_cbranch_scc1 .LBB85_36
; %bb.7:
	s_load_b128 s[8:11], s[0:1], 0x20
	v_mul_lo_u32 v41, v32, s4
	v_mov_b32_e32 v40, 0
	v_mov_b32_e32 v42, v32
	s_branch .LBB85_10
.LBB85_8:                               ;   in Loop: Header=BB85_10 Depth=1
	s_or_b32 exec_lo, exec_lo, s1
.LBB85_9:                               ;   in Loop: Header=BB85_10 Depth=1
	v_add_nc_u32_e32 v42, s14, v42
	s_cmp_eq_u32 s4, s7
	s_cbranch_scc1 .LBB85_37
.LBB85_10:                              ; =>This Inner Loop Header: Depth=1
	v_cmp_gt_f32_e64 s0, v17, v16
	s_mov_b32 s17, exec_lo
	s_delay_alu instid0(VALU_DEP_1) | instskip(SKIP_2) | instid1(VALU_DEP_3)
	v_cndmask_b32_e64 v43, v16, v17, s0
	v_cndmask_b32_e64 v44, 0, 1, s0
	;; [unrolled: 1-line block ×3, first 2 shown]
	v_cmp_gt_f32_e64 s1, v18, v43
	s_delay_alu instid0(VALU_DEP_1) | instskip(NEXT) | instid1(VALU_DEP_4)
	v_cndmask_b32_e64 v43, v43, v18, s1
	v_cndmask_b32_e64 v44, v44, 2, s1
	s_delay_alu instid0(VALU_DEP_4) | instskip(NEXT) | instid1(VALU_DEP_3)
	v_cndmask_b32_e64 v45, v45, v2, s1
	v_cmp_gt_f32_e64 s0, v19, v43
	s_delay_alu instid0(VALU_DEP_1) | instskip(NEXT) | instid1(VALU_DEP_4)
	v_cndmask_b32_e64 v43, v43, v19, s0
	v_cndmask_b32_e64 v44, v44, 3, s0
	s_delay_alu instid0(VALU_DEP_4) | instskip(NEXT) | instid1(VALU_DEP_3)
	v_cndmask_b32_e64 v45, v45, v3, s0
	v_cmp_gt_f32_e64 s1, v20, v43
	s_delay_alu instid0(VALU_DEP_1) | instskip(NEXT) | instid1(VALU_DEP_4)
	v_cndmask_b32_e64 v43, v43, v20, s1
	v_cndmask_b32_e64 v44, v44, 4, s1
	s_delay_alu instid0(VALU_DEP_4) | instskip(NEXT) | instid1(VALU_DEP_3)
	v_cndmask_b32_e64 v45, v45, v4, s1
	v_cmp_gt_f32_e64 s0, v21, v43
	s_delay_alu instid0(VALU_DEP_1) | instskip(NEXT) | instid1(VALU_DEP_4)
	v_cndmask_b32_e64 v43, v43, v21, s0
	v_cndmask_b32_e64 v44, v44, 5, s0
	s_delay_alu instid0(VALU_DEP_4) | instskip(NEXT) | instid1(VALU_DEP_3)
	v_cndmask_b32_e64 v45, v45, v5, s0
	v_cmp_gt_f32_e64 s1, v22, v43
	s_delay_alu instid0(VALU_DEP_1) | instskip(NEXT) | instid1(VALU_DEP_4)
	v_cndmask_b32_e64 v43, v43, v22, s1
	v_cndmask_b32_e64 v44, v44, 6, s1
	s_delay_alu instid0(VALU_DEP_4) | instskip(NEXT) | instid1(VALU_DEP_3)
	v_cndmask_b32_e64 v45, v45, v6, s1
	v_cmp_gt_f32_e64 s0, v23, v43
	s_delay_alu instid0(VALU_DEP_1) | instskip(NEXT) | instid1(VALU_DEP_4)
	v_cndmask_b32_e64 v43, v43, v23, s0
	v_cndmask_b32_e64 v44, v44, 7, s0
	s_delay_alu instid0(VALU_DEP_4) | instskip(NEXT) | instid1(VALU_DEP_3)
	v_cndmask_b32_e64 v45, v45, v7, s0
	v_cmp_gt_f32_e64 s1, v24, v43
	s_delay_alu instid0(VALU_DEP_1) | instskip(NEXT) | instid1(VALU_DEP_4)
	v_cndmask_b32_e64 v43, v43, v24, s1
	v_cndmask_b32_e64 v44, v44, 0x100, s1
	s_delay_alu instid0(VALU_DEP_4) | instskip(NEXT) | instid1(VALU_DEP_3)
	v_cndmask_b32_e64 v45, v45, v8, s1
	v_cmp_gt_f32_e64 s0, v25, v43
	s_delay_alu instid0(VALU_DEP_1) | instskip(NEXT) | instid1(VALU_DEP_4)
	v_cndmask_b32_e64 v43, v43, v25, s0
	v_cndmask_b32_e64 v44, v44, 0x101, s0
	s_delay_alu instid0(VALU_DEP_4) | instskip(NEXT) | instid1(VALU_DEP_3)
	v_cndmask_b32_e64 v45, v45, v9, s0
	v_cmp_gt_f32_e64 s1, v26, v43
	s_delay_alu instid0(VALU_DEP_1) | instskip(NEXT) | instid1(VALU_DEP_4)
	v_cndmask_b32_e64 v43, v43, v26, s1
	v_cndmask_b32_e64 v44, v44, 0x102, s1
	s_delay_alu instid0(VALU_DEP_4) | instskip(NEXT) | instid1(VALU_DEP_3)
	v_cndmask_b32_e64 v45, v45, v10, s1
	v_cmp_gt_f32_e64 s0, v27, v43
	s_delay_alu instid0(VALU_DEP_1) | instskip(NEXT) | instid1(VALU_DEP_4)
	v_cndmask_b32_e64 v43, v43, v27, s0
	v_cndmask_b32_e64 v44, v44, 0x103, s0
	s_delay_alu instid0(VALU_DEP_4) | instskip(NEXT) | instid1(VALU_DEP_3)
	v_cndmask_b32_e64 v45, v45, v11, s0
	v_cmp_gt_f32_e64 s1, v28, v43
	s_delay_alu instid0(VALU_DEP_1) | instskip(NEXT) | instid1(VALU_DEP_4)
	v_cndmask_b32_e64 v43, v43, v28, s1
	v_cndmask_b32_e64 v44, v44, 0x104, s1
	s_delay_alu instid0(VALU_DEP_4) | instskip(NEXT) | instid1(VALU_DEP_3)
	v_cndmask_b32_e64 v45, v45, v12, s1
	v_cmp_gt_f32_e64 s0, v29, v43
	s_delay_alu instid0(VALU_DEP_1) | instskip(NEXT) | instid1(VALU_DEP_4)
	v_cndmask_b32_e64 v43, v43, v29, s0
	v_cndmask_b32_e64 v44, v44, 0x105, s0
	s_delay_alu instid0(VALU_DEP_4) | instskip(NEXT) | instid1(VALU_DEP_3)
	v_cndmask_b32_e64 v45, v45, v13, s0
	v_cmp_gt_f32_e64 s1, v30, v43
	s_delay_alu instid0(VALU_DEP_1) | instskip(NEXT) | instid1(VALU_DEP_4)
	v_cndmask_b32_e64 v43, v43, v30, s1
	v_cndmask_b32_e64 v44, v44, 0x106, s1
	s_waitcnt lgkmcnt(0)
	v_cndmask_b32_e64 v46, v45, v14, s1
	s_delay_alu instid0(VALU_DEP_3) | instskip(NEXT) | instid1(VALU_DEP_1)
	v_cmp_gt_f32_e64 s0, v31, v43
	v_cndmask_b32_e64 v45, v43, v31, s0
	v_cndmask_b32_e64 v43, v44, 0x107, s0
	s_delay_alu instid0(VALU_DEP_4)
	v_cndmask_b32_e64 v44, v46, v15, s0
	ds_bpermute_b32 v46, v34, v45
	v_or_b32_e32 v43, v39, v43
	ds_bpermute_b32 v48, v34, v44
	ds_bpermute_b32 v47, v34, v43
	s_waitcnt lgkmcnt(0)
	v_cmp_lt_f32_e64 s16, v45, v46
	v_cmpx_nlt_f32_e32 v45, v46
; %bb.11:                               ;   in Loop: Header=BB85_10 Depth=1
	v_cmp_eq_f32_e64 s0, v45, v46
	v_cmp_lt_i32_e64 s1, v47, v43
	s_delay_alu instid0(VALU_DEP_1) | instskip(SKIP_2) | instid1(SALU_CYCLE_1)
	s_and_b32 s0, s0, s1
	s_and_not1_b32 s1, s16, exec_lo
	s_and_b32 s0, s0, exec_lo
	s_or_b32 s16, s1, s0
; %bb.12:                               ;   in Loop: Header=BB85_10 Depth=1
	s_or_b32 exec_lo, exec_lo, s17
	s_and_saveexec_b32 s0, s16
; %bb.13:                               ;   in Loop: Header=BB85_10 Depth=1
	v_dual_mov_b32 v44, v48 :: v_dual_mov_b32 v45, v46
	v_mov_b32_e32 v43, v47
; %bb.14:                               ;   in Loop: Header=BB85_10 Depth=1
	s_or_b32 exec_lo, exec_lo, s0
	ds_bpermute_b32 v47, v35, v45
	ds_bpermute_b32 v48, v35, v44
	;; [unrolled: 1-line block ×3, first 2 shown]
	s_mov_b32 s17, exec_lo
	s_waitcnt lgkmcnt(2)
	v_cmp_lt_f32_e64 s16, v45, v47
	v_cmpx_nlt_f32_e32 v45, v47
	s_cbranch_execz .LBB85_16
; %bb.15:                               ;   in Loop: Header=BB85_10 Depth=1
	v_cmp_eq_f32_e64 s0, v45, v47
	s_waitcnt lgkmcnt(0)
	v_cmp_lt_i32_e64 s1, v46, v43
	s_delay_alu instid0(VALU_DEP_1) | instskip(SKIP_2) | instid1(SALU_CYCLE_1)
	s_and_b32 s0, s0, s1
	s_and_not1_b32 s1, s16, exec_lo
	s_and_b32 s0, s0, exec_lo
	s_or_b32 s16, s1, s0
.LBB85_16:                              ;   in Loop: Header=BB85_10 Depth=1
	s_or_b32 exec_lo, exec_lo, s17
	s_delay_alu instid0(VALU_DEP_2)
	s_and_saveexec_b32 s0, s16
	s_cbranch_execz .LBB85_18
; %bb.17:                               ;   in Loop: Header=BB85_10 Depth=1
	s_waitcnt lgkmcnt(1)
	v_dual_mov_b32 v44, v48 :: v_dual_mov_b32 v45, v47
	s_waitcnt lgkmcnt(0)
	v_mov_b32_e32 v43, v46
.LBB85_18:                              ;   in Loop: Header=BB85_10 Depth=1
	s_or_b32 exec_lo, exec_lo, s0
	ds_bpermute_b32 v47, v36, v45
	s_waitcnt lgkmcnt(2)
	ds_bpermute_b32 v48, v36, v44
	s_waitcnt lgkmcnt(2)
	ds_bpermute_b32 v46, v36, v43
	s_mov_b32 s17, exec_lo
	s_waitcnt lgkmcnt(2)
	v_cmp_lt_f32_e64 s16, v45, v47
	v_cmpx_nlt_f32_e32 v45, v47
	s_cbranch_execz .LBB85_20
; %bb.19:                               ;   in Loop: Header=BB85_10 Depth=1
	v_cmp_eq_f32_e64 s0, v45, v47
	s_waitcnt lgkmcnt(0)
	v_cmp_lt_i32_e64 s1, v46, v43
	s_delay_alu instid0(VALU_DEP_1) | instskip(SKIP_2) | instid1(SALU_CYCLE_1)
	s_and_b32 s0, s0, s1
	s_and_not1_b32 s1, s16, exec_lo
	s_and_b32 s0, s0, exec_lo
	s_or_b32 s16, s1, s0
.LBB85_20:                              ;   in Loop: Header=BB85_10 Depth=1
	s_or_b32 exec_lo, exec_lo, s17
	s_delay_alu instid0(VALU_DEP_2)
	s_and_saveexec_b32 s0, s16
	s_cbranch_execz .LBB85_22
; %bb.21:                               ;   in Loop: Header=BB85_10 Depth=1
	s_waitcnt lgkmcnt(1)
	v_dual_mov_b32 v44, v48 :: v_dual_mov_b32 v45, v47
	s_waitcnt lgkmcnt(0)
	v_mov_b32_e32 v43, v46
.LBB85_22:                              ;   in Loop: Header=BB85_10 Depth=1
	s_or_b32 exec_lo, exec_lo, s0
	ds_bpermute_b32 v47, v37, v45
	s_waitcnt lgkmcnt(2)
	ds_bpermute_b32 v48, v37, v44
	s_waitcnt lgkmcnt(2)
	ds_bpermute_b32 v46, v37, v43
	s_mov_b32 s17, exec_lo
	s_waitcnt lgkmcnt(2)
	v_cmp_lt_f32_e64 s16, v45, v47
	v_cmpx_nlt_f32_e32 v45, v47
	s_cbranch_execz .LBB85_24
; %bb.23:                               ;   in Loop: Header=BB85_10 Depth=1
	v_cmp_eq_f32_e64 s0, v45, v47
	s_waitcnt lgkmcnt(0)
	v_cmp_lt_i32_e64 s1, v46, v43
	s_delay_alu instid0(VALU_DEP_1) | instskip(SKIP_2) | instid1(SALU_CYCLE_1)
	s_and_b32 s0, s0, s1
	s_and_not1_b32 s1, s16, exec_lo
	s_and_b32 s0, s0, exec_lo
	s_or_b32 s16, s1, s0
.LBB85_24:                              ;   in Loop: Header=BB85_10 Depth=1
	s_or_b32 exec_lo, exec_lo, s17
	s_delay_alu instid0(VALU_DEP_2)
	s_and_saveexec_b32 s0, s16
	s_cbranch_execz .LBB85_26
; %bb.25:                               ;   in Loop: Header=BB85_10 Depth=1
	s_waitcnt lgkmcnt(1)
	v_dual_mov_b32 v44, v48 :: v_dual_mov_b32 v45, v47
	s_waitcnt lgkmcnt(0)
	v_mov_b32_e32 v43, v46
.LBB85_26:                              ;   in Loop: Header=BB85_10 Depth=1
	s_or_b32 exec_lo, exec_lo, s0
	s_waitcnt lgkmcnt(1)
	ds_bpermute_b32 v48, v38, v45
	ds_bpermute_b32 v47, v38, v44
	s_waitcnt lgkmcnt(2)
	ds_bpermute_b32 v46, v38, v43
	s_mov_b32 s17, exec_lo
	s_waitcnt lgkmcnt(2)
	v_cmp_lt_f32_e64 s16, v45, v48
	v_cmpx_nlt_f32_e32 v45, v48
	s_cbranch_execnz .LBB85_30
; %bb.27:                               ;   in Loop: Header=BB85_10 Depth=1
	s_or_b32 exec_lo, exec_lo, s17
	s_delay_alu instid0(VALU_DEP_2)
	s_and_saveexec_b32 s0, s16
	s_cbranch_execnz .LBB85_31
.LBB85_28:                              ;   in Loop: Header=BB85_10 Depth=1
	s_or_b32 exec_lo, exec_lo, s0
	s_and_saveexec_b32 s16, s2
	s_cbranch_execnz .LBB85_32
.LBB85_29:                              ;   in Loop: Header=BB85_10 Depth=1
	s_or_b32 exec_lo, exec_lo, s16
	s_add_i32 s7, s7, 1
	s_delay_alu instid0(SALU_CYCLE_1)
	s_cmp_ge_i32 s7, s4
	s_cbranch_scc1 .LBB85_9
	s_branch .LBB85_33
.LBB85_30:                              ;   in Loop: Header=BB85_10 Depth=1
	v_cmp_eq_f32_e64 s0, v45, v48
	s_waitcnt lgkmcnt(0)
	v_cmp_lt_i32_e64 s1, v46, v43
	s_delay_alu instid0(VALU_DEP_1) | instskip(SKIP_2) | instid1(SALU_CYCLE_1)
	s_and_b32 s0, s0, s1
	s_and_not1_b32 s1, s16, exec_lo
	s_and_b32 s0, s0, exec_lo
	s_or_b32 s16, s1, s0
	s_or_b32 exec_lo, exec_lo, s17
	s_and_saveexec_b32 s0, s16
	s_cbranch_execz .LBB85_28
.LBB85_31:                              ;   in Loop: Header=BB85_10 Depth=1
	s_waitcnt lgkmcnt(0)
	v_dual_mov_b32 v44, v47 :: v_dual_mov_b32 v43, v46
	s_or_b32 exec_lo, exec_lo, s0
	s_and_saveexec_b32 s16, s2
	s_cbranch_execz .LBB85_29
.LBB85_32:                              ;   in Loop: Header=BB85_10 Depth=1
	s_delay_alu instid0(VALU_DEP_1)
	v_dual_add_f32 v52, v40, v44 :: v_dual_add_nc_u32 v45, s7, v41
	v_cmp_le_i32_e64 s0, s5, v43
	v_cmp_gt_i32_e64 s1, s6, v43
	s_waitcnt lgkmcnt(1)
	v_subrev_nc_u32_e32 v47, s5, v43
	s_waitcnt lgkmcnt(0)
	v_ashrrev_i32_e32 v46, 31, v45
	v_cndmask_b32_e32 v40, v40, v52, vcc_lo
	s_and_b32 s0, s0, s1
	s_delay_alu instid0(SALU_CYCLE_1) | instskip(NEXT) | instid1(VALU_DEP_2)
	s_and_b32 s0, s15, s0
	v_lshlrev_b64 v[45:46], 2, v[45:46]
	v_cndmask_b32_e64 v51, 0x200, v47, s0
	s_delay_alu instid0(VALU_DEP_2) | instskip(NEXT) | instid1(VALU_DEP_1)
	v_add_co_u32 v47, s0, s12, v45
	v_add_co_ci_u32_e64 v48, s0, s13, v46, s0
	v_add_co_u32 v49, s0, s8, v45
	s_delay_alu instid0(VALU_DEP_1) | instskip(SKIP_1) | instid1(VALU_DEP_1)
	v_add_co_ci_u32_e64 v50, s0, s9, v46, s0
	v_add_co_u32 v45, s0, s10, v45
	v_add_co_ci_u32_e64 v46, s0, s11, v46, s0
	global_store_b32 v[47:48], v44, off
	global_store_b32 v[49:50], v51, off
	;; [unrolled: 1-line block ×3, first 2 shown]
	s_or_b32 exec_lo, exec_lo, s16
	s_add_i32 s7, s7, 1
	s_delay_alu instid0(SALU_CYCLE_1)
	s_cmp_ge_i32 s7, s4
	s_cbranch_scc1 .LBB85_9
.LBB85_33:                              ;   in Loop: Header=BB85_10 Depth=1
	v_ashrrev_i32_e32 v44, 31, v43
	s_mov_b32 s1, exec_lo
	s_delay_alu instid0(VALU_DEP_1) | instskip(NEXT) | instid1(VALU_DEP_1)
	v_lshrrev_b32_e32 v45, 29, v44
	v_add_nc_u32_e32 v45, v43, v45
	s_waitcnt lgkmcnt(0)
	s_delay_alu instid0(VALU_DEP_1) | instskip(SKIP_1) | instid1(VALU_DEP_2)
	v_ashrrev_i32_e32 v46, 31, v45
	v_ashrrev_i32_e32 v45, 3, v45
	v_lshrrev_b32_e32 v46, 27, v46
	s_delay_alu instid0(VALU_DEP_1) | instskip(NEXT) | instid1(VALU_DEP_1)
	v_add_nc_u32_e32 v46, v45, v46
	v_and_b32_e32 v46, 0xffffffe0, v46
	s_delay_alu instid0(VALU_DEP_1) | instskip(NEXT) | instid1(VALU_DEP_1)
	v_sub_nc_u32_e32 v46, v45, v46
	v_cmpx_eq_u32_e64 v33, v46
	s_cbranch_execz .LBB85_8
; %bb.34:                               ;   in Loop: Header=BB85_10 Depth=1
	v_lshrrev_b32_e32 v44, 24, v44
	v_lshlrev_b32_e32 v45, 3, v45
	s_delay_alu instid0(VALU_DEP_2) | instskip(NEXT) | instid1(VALU_DEP_2)
	v_add_nc_u32_e32 v44, v43, v44
	v_sub_nc_u32_e32 v43, v43, v45
	s_delay_alu instid0(VALU_DEP_2) | instskip(NEXT) | instid1(VALU_DEP_1)
	v_ashrrev_i32_e32 v44, 8, v44
	v_lshl_add_u32 v43, v44, 3, v43
	s_delay_alu instid0(VALU_DEP_1) | instskip(NEXT) | instid1(VALU_DEP_1)
	v_cmp_ne_u32_e64 s0, 15, v43
	v_cndmask_b32_e64 v31, 0xc61c4000, v31, s0
	v_cmp_ne_u32_e64 s0, 14, v43
	s_delay_alu instid0(VALU_DEP_1) | instskip(SKIP_1) | instid1(VALU_DEP_1)
	v_cndmask_b32_e64 v30, 0xc61c4000, v30, s0
	v_cmp_ne_u32_e64 s0, 13, v43
	v_cndmask_b32_e64 v29, 0xc61c4000, v29, s0
	v_cmp_ne_u32_e64 s0, 12, v43
	s_delay_alu instid0(VALU_DEP_1) | instskip(SKIP_1) | instid1(VALU_DEP_1)
	v_cndmask_b32_e64 v28, 0xc61c4000, v28, s0
	v_cmp_ne_u32_e64 s0, 11, v43
	v_cndmask_b32_e64 v27, 0xc61c4000, v27, s0
	v_cmp_ne_u32_e64 s0, 10, v43
	s_delay_alu instid0(VALU_DEP_1) | instskip(SKIP_1) | instid1(VALU_DEP_1)
	v_cndmask_b32_e64 v26, 0xc61c4000, v26, s0
	v_cmp_ne_u32_e64 s0, 9, v43
	v_cndmask_b32_e64 v25, 0xc61c4000, v25, s0
	v_cmp_ne_u32_e64 s0, 8, v43
	s_delay_alu instid0(VALU_DEP_1) | instskip(SKIP_1) | instid1(VALU_DEP_1)
	v_cndmask_b32_e64 v24, 0xc61c4000, v24, s0
	v_cmp_ne_u32_e64 s0, 7, v43
	v_cndmask_b32_e64 v23, 0xc61c4000, v23, s0
	v_cmp_ne_u32_e64 s0, 6, v43
	s_delay_alu instid0(VALU_DEP_1) | instskip(SKIP_1) | instid1(VALU_DEP_1)
	v_cndmask_b32_e64 v22, 0xc61c4000, v22, s0
	v_cmp_ne_u32_e64 s0, 5, v43
	v_cndmask_b32_e64 v21, 0xc61c4000, v21, s0
	v_cmp_ne_u32_e64 s0, 4, v43
	s_delay_alu instid0(VALU_DEP_1) | instskip(SKIP_1) | instid1(VALU_DEP_1)
	v_cndmask_b32_e64 v20, 0xc61c4000, v20, s0
	v_cmp_ne_u32_e64 s0, 3, v43
	v_cndmask_b32_e64 v19, 0xc61c4000, v19, s0
	v_cmp_ne_u32_e64 s0, 2, v43
	s_delay_alu instid0(VALU_DEP_1) | instskip(SKIP_1) | instid1(VALU_DEP_1)
	v_cndmask_b32_e64 v18, 0xc61c4000, v18, s0
	v_cmp_ne_u32_e64 s0, 1, v43
	v_cndmask_b32_e64 v17, 0xc61c4000, v17, s0
	v_cmp_ne_u32_e64 s0, 0, v43
	s_delay_alu instid0(VALU_DEP_1)
	v_cndmask_b32_e64 v16, 0xc61c4000, v16, s0
	s_branch .LBB85_8
.LBB85_35:
                                        ; implicit-def: $vgpr16_vgpr17_vgpr18_vgpr19_vgpr20_vgpr21_vgpr22_vgpr23_vgpr24_vgpr25_vgpr26_vgpr27_vgpr28_vgpr29_vgpr30_vgpr31
	s_and_not1_b32 vcc_lo, exec_lo, s8
	s_cbranch_vccz .LBB85_5
	s_branch .LBB85_6
.LBB85_36:
	v_mov_b32_e32 v40, 0
.LBB85_37:
	v_cmp_eq_u32_e64 s0, 0, v33
	s_delay_alu instid0(VALU_DEP_1) | instskip(NEXT) | instid1(SALU_CYCLE_1)
	s_and_b32 s0, s0, vcc_lo
	s_and_b32 exec_lo, exec_lo, s0
	s_cbranch_execz .LBB85_41
; %bb.38:
	s_and_not1_b32 vcc_lo, exec_lo, s3
	s_cbranch_vccnz .LBB85_41
; %bb.39:
	v_mul_lo_u32 v0, v32, s4
	v_cmp_lt_f32_e32 vcc_lo, 0, v40
	v_cndmask_b32_e32 v2, 1.0, v40, vcc_lo
	s_delay_alu instid0(VALU_DEP_3) | instskip(NEXT) | instid1(VALU_DEP_1)
	v_ashrrev_i32_e32 v1, 31, v0
	v_lshlrev_b64 v[0:1], 2, v[0:1]
	s_delay_alu instid0(VALU_DEP_1) | instskip(NEXT) | instid1(VALU_DEP_2)
	v_add_co_u32 v0, vcc_lo, s12, v0
	v_add_co_ci_u32_e32 v1, vcc_lo, s13, v1, vcc_lo
	.p2align	6
.LBB85_40:                              ; =>This Inner Loop Header: Depth=1
	global_load_b32 v3, v[0:1], off
	s_add_i32 s4, s4, -1
	s_delay_alu instid0(SALU_CYCLE_1) | instskip(SKIP_3) | instid1(VALU_DEP_2)
	s_cmp_lg_u32 s4, 0
	s_waitcnt vmcnt(0)
	v_div_scale_f32 v4, null, v2, v2, v3
	v_div_scale_f32 v7, vcc_lo, v3, v2, v3
	v_rcp_f32_e32 v5, v4
	s_waitcnt_depctr 0xfff
	v_fma_f32 v6, -v4, v5, 1.0
	s_delay_alu instid0(VALU_DEP_1) | instskip(NEXT) | instid1(VALU_DEP_1)
	v_fmac_f32_e32 v5, v6, v5
	v_mul_f32_e32 v6, v7, v5
	s_delay_alu instid0(VALU_DEP_1) | instskip(NEXT) | instid1(VALU_DEP_1)
	v_fma_f32 v8, -v4, v6, v7
	v_fmac_f32_e32 v6, v8, v5
	s_delay_alu instid0(VALU_DEP_1) | instskip(NEXT) | instid1(VALU_DEP_1)
	v_fma_f32 v4, -v4, v6, v7
	v_div_fmas_f32 v4, v4, v5, v6
	s_delay_alu instid0(VALU_DEP_1)
	v_div_fixup_f32 v3, v4, v2, v3
	global_store_b32 v[0:1], v3, off
	v_add_co_u32 v0, vcc_lo, v0, 4
	v_add_co_ci_u32_e32 v1, vcc_lo, 0, v1, vcc_lo
	s_cbranch_scc1 .LBB85_40
.LBB85_41:
	s_nop 0
	s_sendmsg sendmsg(MSG_DEALLOC_VGPRS)
	s_endpgm
	.section	.rodata,"a",@progbits
	.p2align	6, 0x0
	.amdhsa_kernel _ZN4vllm3moe10topkGatingILi16ELi512ELi4ELi16ELi32Ei6__halfLNS0_11ScoringFuncE0EEEvPKT5_PKbPfiPT4_PiiiibPKf
		.amdhsa_group_segment_fixed_size 0
		.amdhsa_private_segment_fixed_size 0
		.amdhsa_kernarg_size 72
		.amdhsa_user_sgpr_count 15
		.amdhsa_user_sgpr_dispatch_ptr 0
		.amdhsa_user_sgpr_queue_ptr 0
		.amdhsa_user_sgpr_kernarg_segment_ptr 1
		.amdhsa_user_sgpr_dispatch_id 0
		.amdhsa_user_sgpr_private_segment_size 0
		.amdhsa_wavefront_size32 1
		.amdhsa_uses_dynamic_stack 0
		.amdhsa_enable_private_segment 0
		.amdhsa_system_sgpr_workgroup_id_x 1
		.amdhsa_system_sgpr_workgroup_id_y 0
		.amdhsa_system_sgpr_workgroup_id_z 0
		.amdhsa_system_sgpr_workgroup_info 0
		.amdhsa_system_vgpr_workitem_id 1
		.amdhsa_next_free_vgpr 71
		.amdhsa_next_free_sgpr 18
		.amdhsa_reserve_vcc 1
		.amdhsa_float_round_mode_32 0
		.amdhsa_float_round_mode_16_64 0
		.amdhsa_float_denorm_mode_32 3
		.amdhsa_float_denorm_mode_16_64 3
		.amdhsa_dx10_clamp 1
		.amdhsa_ieee_mode 1
		.amdhsa_fp16_overflow 0
		.amdhsa_workgroup_processor_mode 1
		.amdhsa_memory_ordered 1
		.amdhsa_forward_progress 0
		.amdhsa_shared_vgpr_count 0
		.amdhsa_exception_fp_ieee_invalid_op 0
		.amdhsa_exception_fp_denorm_src 0
		.amdhsa_exception_fp_ieee_div_zero 0
		.amdhsa_exception_fp_ieee_overflow 0
		.amdhsa_exception_fp_ieee_underflow 0
		.amdhsa_exception_fp_ieee_inexact 0
		.amdhsa_exception_int_div_zero 0
	.end_amdhsa_kernel
	.section	.text._ZN4vllm3moe10topkGatingILi16ELi512ELi4ELi16ELi32Ei6__halfLNS0_11ScoringFuncE0EEEvPKT5_PKbPfiPT4_PiiiibPKf,"axG",@progbits,_ZN4vllm3moe10topkGatingILi16ELi512ELi4ELi16ELi32Ei6__halfLNS0_11ScoringFuncE0EEEvPKT5_PKbPfiPT4_PiiiibPKf,comdat
.Lfunc_end85:
	.size	_ZN4vllm3moe10topkGatingILi16ELi512ELi4ELi16ELi32Ei6__halfLNS0_11ScoringFuncE0EEEvPKT5_PKbPfiPT4_PiiiibPKf, .Lfunc_end85-_ZN4vllm3moe10topkGatingILi16ELi512ELi4ELi16ELi32Ei6__halfLNS0_11ScoringFuncE0EEEvPKT5_PKbPfiPT4_PiiiibPKf
                                        ; -- End function
	.section	.AMDGPU.csdata,"",@progbits
; Kernel info:
; codeLenInByte = 5216
; NumSgprs: 20
; NumVgprs: 71
; ScratchSize: 0
; MemoryBound: 0
; FloatMode: 240
; IeeeMode: 1
; LDSByteSize: 0 bytes/workgroup (compile time only)
; SGPRBlocks: 2
; VGPRBlocks: 8
; NumSGPRsForWavesPerEU: 20
; NumVGPRsForWavesPerEU: 71
; Occupancy: 16
; WaveLimiterHint : 1
; COMPUTE_PGM_RSRC2:SCRATCH_EN: 0
; COMPUTE_PGM_RSRC2:USER_SGPR: 15
; COMPUTE_PGM_RSRC2:TRAP_HANDLER: 0
; COMPUTE_PGM_RSRC2:TGID_X_EN: 1
; COMPUTE_PGM_RSRC2:TGID_Y_EN: 0
; COMPUTE_PGM_RSRC2:TGID_Z_EN: 0
; COMPUTE_PGM_RSRC2:TIDIG_COMP_CNT: 1
	.section	.text._ZN4vllm3moe10moeSoftmaxILi256E6__halfEEvPKT0_PKbPfi,"axG",@progbits,_ZN4vllm3moe10moeSoftmaxILi256E6__halfEEvPKT0_PKbPfi,comdat
	.protected	_ZN4vllm3moe10moeSoftmaxILi256E6__halfEEvPKT0_PKbPfi ; -- Begin function _ZN4vllm3moe10moeSoftmaxILi256E6__halfEEvPKT0_PKbPfi
	.globl	_ZN4vllm3moe10moeSoftmaxILi256E6__halfEEvPKT0_PKbPfi
	.p2align	8
	.type	_ZN4vllm3moe10moeSoftmaxILi256E6__halfEEvPKT0_PKbPfi,@function
_ZN4vllm3moe10moeSoftmaxILi256E6__halfEEvPKT0_PKbPfi: ; @_ZN4vllm3moe10moeSoftmaxILi256E6__halfEEvPKT0_PKbPfi
; %bb.0:
	s_load_b128 s[8:11], s[0:1], 0x0
	s_waitcnt lgkmcnt(0)
	s_cmp_eq_u64 s[10:11], 0
	s_cselect_b32 s2, -1, 0
	s_delay_alu instid0(SALU_CYCLE_1)
	s_and_b32 vcc_lo, exec_lo, s2
	s_cbranch_vccnz .LBB86_2
; %bb.1:
	v_mov_b32_e32 v1, s15
	global_load_u8 v1, v1, s[10:11]
	s_waitcnt vmcnt(0)
	v_and_b32_e32 v1, 1, v1
	s_delay_alu instid0(VALU_DEP_1)
	v_cmp_eq_u32_e32 vcc_lo, 1, v1
	s_xor_b32 s2, vcc_lo, -1
.LBB86_2:
	s_delay_alu instid0(SALU_CYCLE_1)
	s_and_not1_b32 vcc_lo, exec_lo, s2
	s_cbranch_vccnz .LBB86_26
; %bb.3:
	s_clause 0x1
	s_load_b32 s5, s[0:1], 0x18
	s_load_b64 s[6:7], s[0:1], 0x10
	v_mov_b32_e32 v5, 0xff7fffff
	s_waitcnt lgkmcnt(0)
	s_mul_i32 s15, s15, s5
	v_cmp_gt_i32_e64 s0, s5, v0
	v_add_nc_u32_e32 v1, s15, v0
	s_delay_alu instid0(VALU_DEP_1) | instskip(NEXT) | instid1(VALU_DEP_3)
	v_ashrrev_i32_e32 v2, 31, v1
	s_and_saveexec_b32 s2, s0
	s_cbranch_execz .LBB86_7
; %bb.4:
	s_delay_alu instid0(VALU_DEP_1) | instskip(SKIP_2) | instid1(VALU_DEP_2)
	v_lshlrev_b64 v[3:4], 1, v[1:2]
	v_dual_mov_b32 v5, 0xff7fffff :: v_dual_mov_b32 v6, v0
	s_mov_b32 s3, 0
	v_add_co_u32 v3, vcc_lo, s8, v3
	s_delay_alu instid0(VALU_DEP_3)
	v_add_co_ci_u32_e32 v4, vcc_lo, s9, v4, vcc_lo
.LBB86_5:                               ; =>This Inner Loop Header: Depth=1
	global_load_u16 v7, v[3:4], off
	v_dual_max_f32 v5, v5, v5 :: v_dual_add_nc_u32 v6, 0x100, v6
	v_add_co_u32 v3, vcc_lo, 0x200, v3
	v_add_co_ci_u32_e32 v4, vcc_lo, 0, v4, vcc_lo
	s_delay_alu instid0(VALU_DEP_3) | instskip(NEXT) | instid1(VALU_DEP_1)
	v_cmp_le_i32_e64 s1, s5, v6
	s_or_b32 s3, s1, s3
	s_waitcnt vmcnt(0)
	v_cvt_f32_f16_e32 v7, v7
	s_delay_alu instid0(VALU_DEP_1)
	v_max_f32_e32 v5, v7, v5
	s_and_not1_b32 exec_lo, exec_lo, s3
	s_cbranch_execnz .LBB86_5
; %bb.6:
	s_or_b32 exec_lo, exec_lo, s3
.LBB86_7:
	s_delay_alu instid0(SALU_CYCLE_1) | instskip(SKIP_2) | instid1(VALU_DEP_2)
	s_or_b32 exec_lo, exec_lo, s2
	v_mov_b32_dpp v3, v5 quad_perm:[1,0,3,2] row_mask:0xf bank_mask:0xf
	v_lshrrev_b32_e32 v7, 3, v0
	v_cmp_gt_f32_e32 vcc_lo, v5, v3
	v_cndmask_b32_e32 v3, v3, v5, vcc_lo
	v_mbcnt_lo_u32_b32 v5, -1, 0
	s_delay_alu instid0(VALU_DEP_2) | instskip(NEXT) | instid1(VALU_DEP_1)
	v_mov_b32_dpp v4, v3 quad_perm:[2,3,0,1] row_mask:0xf bank_mask:0xf
	v_cmp_gt_f32_e32 vcc_lo, v3, v4
	v_cndmask_b32_e32 v3, v4, v3, vcc_lo
	s_delay_alu instid0(VALU_DEP_1) | instskip(NEXT) | instid1(VALU_DEP_1)
	v_mov_b32_dpp v4, v3 row_ror:4 row_mask:0xf bank_mask:0xf
	v_cmp_gt_f32_e32 vcc_lo, v3, v4
	v_cndmask_b32_e32 v3, v4, v3, vcc_lo
	s_delay_alu instid0(VALU_DEP_1) | instskip(NEXT) | instid1(VALU_DEP_1)
	v_mov_b32_dpp v4, v3 row_ror:8 row_mask:0xf bank_mask:0xf
	v_cmp_gt_f32_e32 vcc_lo, v3, v4
	v_cndmask_b32_e32 v3, v4, v3, vcc_lo
	ds_swizzle_b32 v4, v3 offset:swizzle(BROADCAST,32,15)
	s_waitcnt lgkmcnt(0)
	v_cmp_gt_f32_e32 vcc_lo, v3, v4
	v_dual_cndmask_b32 v3, v4, v3 :: v_dual_mov_b32 v4, 0
	v_cmp_eq_u32_e32 vcc_lo, 0, v5
	ds_bpermute_b32 v3, v4, v3 offset:124
	s_and_saveexec_b32 s1, vcc_lo
	s_cbranch_execz .LBB86_9
; %bb.8:
	v_and_b32_e32 v4, 28, v7
	s_waitcnt lgkmcnt(0)
	ds_store_b32 v4, v3
.LBB86_9:
	s_or_b32 exec_lo, exec_lo, s1
	v_cmp_gt_u32_e64 s1, 32, v0
	v_and_b32_e32 v6, 7, v5
	s_waitcnt lgkmcnt(0)
	s_barrier
	buffer_gl0_inv
	s_and_saveexec_b32 s3, s1
	s_cbranch_execz .LBB86_11
; %bb.10:
	v_lshlrev_b32_e32 v3, 2, v6
	v_cmp_ne_u32_e64 s2, 7, v6
	ds_load_b32 v3, v3
	v_add_co_ci_u32_e64 v4, s2, 0, v5, s2
	v_cmp_gt_u32_e64 s2, 6, v6
	s_delay_alu instid0(VALU_DEP_2) | instskip(NEXT) | instid1(VALU_DEP_2)
	v_lshlrev_b32_e32 v4, 2, v4
	v_cndmask_b32_e64 v8, 0, 1, s2
	s_delay_alu instid0(VALU_DEP_1) | instskip(NEXT) | instid1(VALU_DEP_1)
	v_lshlrev_b32_e32 v8, 1, v8
	v_add_lshl_u32 v8, v8, v5, 2
	s_waitcnt lgkmcnt(0)
	ds_bpermute_b32 v4, v4, v3
	s_waitcnt lgkmcnt(0)
	v_cmp_lt_f32_e64 s2, v3, v4
	s_delay_alu instid0(VALU_DEP_1) | instskip(SKIP_3) | instid1(VALU_DEP_1)
	v_cndmask_b32_e64 v3, v3, v4, s2
	v_cmp_gt_u32_e64 s2, 4, v6
	ds_bpermute_b32 v4, v8, v3
	v_cndmask_b32_e64 v8, 0, 1, s2
	v_lshlrev_b32_e32 v8, 2, v8
	s_delay_alu instid0(VALU_DEP_1) | instskip(SKIP_2) | instid1(VALU_DEP_1)
	v_add_lshl_u32 v8, v8, v5, 2
	s_waitcnt lgkmcnt(0)
	v_cmp_lt_f32_e64 s2, v3, v4
	v_cndmask_b32_e64 v3, v3, v4, s2
	ds_bpermute_b32 v4, v8, v3
	s_waitcnt lgkmcnt(0)
	v_cmp_lt_f32_e64 s2, v3, v4
	s_delay_alu instid0(VALU_DEP_1)
	v_cndmask_b32_e64 v3, v3, v4, s2
.LBB86_11:
	s_or_b32 exec_lo, exec_lo, s3
	v_cmp_eq_u32_e64 s2, 0, v0
	s_delay_alu instid0(VALU_DEP_1)
	s_and_saveexec_b32 s3, s2
	s_cbranch_execz .LBB86_13
; %bb.12:
	v_mov_b32_e32 v4, 0
	ds_store_b32 v4, v3 offset:36
.LBB86_13:
	s_or_b32 exec_lo, exec_lo, s3
	v_mov_b32_e32 v8, 0
	s_waitcnt lgkmcnt(0)
	s_barrier
	buffer_gl0_inv
	s_and_saveexec_b32 s10, s0
	s_cbranch_execz .LBB86_17
; %bb.14:
	v_mov_b32_e32 v8, 0
	v_lshlrev_b64 v[3:4], 1, v[1:2]
	v_mov_b32_e32 v10, v0
	s_mov_b32 s11, 0
	ds_load_b32 v9, v8 offset:36
	v_add_co_u32 v3, s3, s8, v3
	s_delay_alu instid0(VALU_DEP_1)
	v_add_co_ci_u32_e64 v4, s3, s9, v4, s3
	s_set_inst_prefetch_distance 0x1
	.p2align	6
.LBB86_15:                              ; =>This Inner Loop Header: Depth=1
	global_load_u16 v11, v[3:4], off
	v_add_nc_u32_e32 v10, 0x100, v10
	s_delay_alu instid0(VALU_DEP_1) | instskip(NEXT) | instid1(VALU_DEP_1)
	v_cmp_le_i32_e64 s4, s5, v10
	s_or_b32 s11, s4, s11
	s_waitcnt vmcnt(0)
	v_cvt_f32_f16_e32 v11, v11
	s_waitcnt lgkmcnt(0)
	s_delay_alu instid0(VALU_DEP_1) | instskip(NEXT) | instid1(VALU_DEP_1)
	v_sub_f32_e32 v11, v11, v9
	v_mul_f32_e32 v12, 0x3fb8aa3b, v11
	s_delay_alu instid0(VALU_DEP_1) | instskip(SKIP_1) | instid1(VALU_DEP_1)
	v_fma_f32 v13, 0x3fb8aa3b, v11, -v12
	v_rndne_f32_e32 v14, v12
	v_dual_sub_f32 v12, v12, v14 :: v_dual_fmac_f32 v13, 0x32a5705f, v11
	v_cmp_ngt_f32_e64 s3, 0xc2ce8ed0, v11
	s_delay_alu instid0(VALU_DEP_2) | instskip(SKIP_1) | instid1(VALU_DEP_2)
	v_add_f32_e32 v12, v12, v13
	v_cvt_i32_f32_e32 v13, v14
	v_exp_f32_e32 v12, v12
	s_waitcnt_depctr 0xfff
	v_ldexp_f32 v12, v12, v13
	s_delay_alu instid0(VALU_DEP_1) | instskip(SKIP_1) | instid1(VALU_DEP_1)
	v_cndmask_b32_e64 v12, 0, v12, s3
	v_cmp_nlt_f32_e64 s3, 0x42b17218, v11
	v_cndmask_b32_e64 v11, 0x7f800000, v12, s3
	v_add_co_u32 v3, s3, 0x200, v3
	s_delay_alu instid0(VALU_DEP_1) | instskip(NEXT) | instid1(VALU_DEP_3)
	v_add_co_ci_u32_e64 v4, s3, 0, v4, s3
	v_add_f32_e32 v8, v8, v11
	s_and_not1_b32 exec_lo, exec_lo, s11
	s_cbranch_execnz .LBB86_15
; %bb.16:
	s_set_inst_prefetch_distance 0x2
	s_or_b32 exec_lo, exec_lo, s11
.LBB86_17:
	s_delay_alu instid0(SALU_CYCLE_1) | instskip(SKIP_1) | instid1(VALU_DEP_1)
	s_or_b32 exec_lo, exec_lo, s10
	v_mov_b32_dpp v4, v8 quad_perm:[1,0,3,2] row_mask:0xf bank_mask:0xf
	v_dual_mov_b32 v3, 0x7c :: v_dual_add_f32 v4, v8, v4
	s_delay_alu instid0(VALU_DEP_1) | instskip(NEXT) | instid1(VALU_DEP_1)
	v_mov_b32_dpp v8, v4 quad_perm:[2,3,0,1] row_mask:0xf bank_mask:0xf
	v_add_f32_e32 v4, v4, v8
	s_delay_alu instid0(VALU_DEP_1) | instskip(NEXT) | instid1(VALU_DEP_1)
	v_mov_b32_dpp v8, v4 row_ror:4 row_mask:0xf bank_mask:0xf
	v_add_f32_e32 v4, v4, v8
	s_delay_alu instid0(VALU_DEP_1) | instskip(NEXT) | instid1(VALU_DEP_1)
	v_mov_b32_dpp v8, v4 row_ror:8 row_mask:0xf bank_mask:0xf
	v_add_f32_e32 v4, v4, v8
	ds_swizzle_b32 v8, v4 offset:swizzle(BROADCAST,32,15)
	s_waitcnt lgkmcnt(0)
	v_add_f32_e32 v4, v4, v8
	ds_bpermute_b32 v3, v3, v4
	s_and_saveexec_b32 s3, vcc_lo
	s_cbranch_execz .LBB86_19
; %bb.18:
	v_and_b32_e32 v4, 28, v7
	s_waitcnt lgkmcnt(0)
	ds_store_b32 v4, v3
.LBB86_19:
	s_or_b32 exec_lo, exec_lo, s3
	s_waitcnt lgkmcnt(0)
	s_barrier
	buffer_gl0_inv
	s_and_saveexec_b32 s3, s1
	s_cbranch_execz .LBB86_21
; %bb.20:
	v_lshlrev_b32_e32 v3, 2, v6
	v_cmp_ne_u32_e32 vcc_lo, 7, v6
	ds_load_b32 v3, v3
	v_add_co_ci_u32_e32 v4, vcc_lo, 0, v5, vcc_lo
	v_cmp_gt_u32_e32 vcc_lo, 6, v6
	s_delay_alu instid0(VALU_DEP_2) | instskip(SKIP_2) | instid1(VALU_DEP_2)
	v_lshlrev_b32_e32 v4, 2, v4
	v_cndmask_b32_e64 v7, 0, 1, vcc_lo
	v_cmp_gt_u32_e32 vcc_lo, 4, v6
	v_lshlrev_b32_e32 v7, 1, v7
	v_cndmask_b32_e64 v6, 0, 1, vcc_lo
	s_delay_alu instid0(VALU_DEP_2) | instskip(NEXT) | instid1(VALU_DEP_2)
	v_add_lshl_u32 v7, v7, v5, 2
	v_lshlrev_b32_e32 v6, 2, v6
	s_waitcnt lgkmcnt(0)
	ds_bpermute_b32 v4, v4, v3
	s_waitcnt lgkmcnt(0)
	v_add_f32_e32 v3, v3, v4
	ds_bpermute_b32 v4, v7, v3
	s_waitcnt lgkmcnt(0)
	v_add_f32_e32 v3, v3, v4
	v_add_lshl_u32 v4, v6, v5, 2
	ds_bpermute_b32 v4, v4, v3
	s_waitcnt lgkmcnt(0)
	v_add_f32_e32 v3, v3, v4
.LBB86_21:
	s_or_b32 exec_lo, exec_lo, s3
	s_and_saveexec_b32 s1, s2
	s_cbranch_execz .LBB86_23
; %bb.22:
	s_delay_alu instid0(VALU_DEP_1) | instskip(SKIP_1) | instid1(VALU_DEP_2)
	v_div_scale_f32 v4, null, v3, v3, 1.0
	v_div_scale_f32 v7, vcc_lo, 1.0, v3, 1.0
	v_rcp_f32_e32 v5, v4
	s_waitcnt_depctr 0xfff
	v_fma_f32 v6, -v4, v5, 1.0
	s_delay_alu instid0(VALU_DEP_1) | instskip(NEXT) | instid1(VALU_DEP_1)
	v_fmac_f32_e32 v5, v6, v5
	v_mul_f32_e32 v6, v7, v5
	s_delay_alu instid0(VALU_DEP_1) | instskip(NEXT) | instid1(VALU_DEP_1)
	v_fma_f32 v8, -v4, v6, v7
	v_fmac_f32_e32 v6, v8, v5
	s_delay_alu instid0(VALU_DEP_1) | instskip(NEXT) | instid1(VALU_DEP_1)
	v_fma_f32 v4, -v4, v6, v7
	v_div_fmas_f32 v4, v4, v5, v6
	s_delay_alu instid0(VALU_DEP_1)
	v_div_fixup_f32 v3, v4, v3, 1.0
	v_mov_b32_e32 v4, 0
	ds_store_b32 v4, v3 offset:32
.LBB86_23:
	s_or_b32 exec_lo, exec_lo, s1
	s_waitcnt lgkmcnt(0)
	s_barrier
	buffer_gl0_inv
	s_and_saveexec_b32 s1, s0
	s_cbranch_execz .LBB86_26
; %bb.24:
	v_mov_b32_e32 v3, 0
	v_lshlrev_b64 v[5:6], 1, v[1:2]
	v_lshlrev_b64 v[7:8], 2, v[1:2]
	s_mov_b32 s1, 0
	ds_load_b64 v[3:4], v3 offset:32
	v_add_co_u32 v1, vcc_lo, s8, v5
	v_add_co_ci_u32_e32 v2, vcc_lo, s9, v6, vcc_lo
	v_add_co_u32 v5, vcc_lo, s6, v7
	v_add_co_ci_u32_e32 v6, vcc_lo, s7, v8, vcc_lo
.LBB86_25:                              ; =>This Inner Loop Header: Depth=1
	global_load_u16 v7, v[1:2], off
	v_add_co_u32 v1, vcc_lo, 0x200, v1
	v_add_co_ci_u32_e32 v2, vcc_lo, 0, v2, vcc_lo
	s_waitcnt vmcnt(0)
	v_cvt_f32_f16_e32 v7, v7
	s_waitcnt lgkmcnt(0)
	s_delay_alu instid0(VALU_DEP_1) | instskip(NEXT) | instid1(VALU_DEP_1)
	v_sub_f32_e32 v7, v7, v4
	v_mul_f32_e32 v8, 0x3fb8aa3b, v7
	s_delay_alu instid0(VALU_DEP_1) | instskip(SKIP_1) | instid1(VALU_DEP_1)
	v_fma_f32 v9, 0x3fb8aa3b, v7, -v8
	v_rndne_f32_e32 v10, v8
	v_dual_sub_f32 v8, v8, v10 :: v_dual_fmac_f32 v9, 0x32a5705f, v7
	v_cmp_ngt_f32_e64 s0, 0xc2ce8ed0, v7
	s_delay_alu instid0(VALU_DEP_2) | instskip(SKIP_1) | instid1(VALU_DEP_2)
	v_add_f32_e32 v8, v8, v9
	v_cvt_i32_f32_e32 v9, v10
	v_exp_f32_e32 v8, v8
	s_waitcnt_depctr 0xfff
	v_ldexp_f32 v8, v8, v9
	s_delay_alu instid0(VALU_DEP_1) | instskip(SKIP_1) | instid1(VALU_DEP_1)
	v_cndmask_b32_e64 v8, 0, v8, s0
	v_cmp_nlt_f32_e64 s0, 0x42b17218, v7
	v_cndmask_b32_e64 v7, 0x7f800000, v8, s0
	s_delay_alu instid0(VALU_DEP_1) | instskip(NEXT) | instid1(VALU_DEP_1)
	v_dual_mul_f32 v7, v3, v7 :: v_dual_add_nc_u32 v0, 0x100, v0
	v_cmp_le_i32_e32 vcc_lo, s5, v0
	s_delay_alu instid0(VALU_DEP_2) | instskip(SKIP_1) | instid1(VALU_DEP_1)
	v_cmp_class_f32_e64 s0, v7, 0x1f8
	s_or_b32 s1, vcc_lo, s1
	v_cndmask_b32_e64 v7, 0, v7, s0
	global_store_b32 v[5:6], v7, off
	v_add_co_u32 v5, s0, 0x400, v5
	s_delay_alu instid0(VALU_DEP_1)
	v_add_co_ci_u32_e64 v6, s0, 0, v6, s0
	s_and_not1_b32 exec_lo, exec_lo, s1
	s_cbranch_execnz .LBB86_25
.LBB86_26:
	s_nop 0
	s_sendmsg sendmsg(MSG_DEALLOC_VGPRS)
	s_endpgm
	.section	.rodata,"a",@progbits
	.p2align	6, 0x0
	.amdhsa_kernel _ZN4vllm3moe10moeSoftmaxILi256E6__halfEEvPKT0_PKbPfi
		.amdhsa_group_segment_fixed_size 40
		.amdhsa_private_segment_fixed_size 0
		.amdhsa_kernarg_size 28
		.amdhsa_user_sgpr_count 15
		.amdhsa_user_sgpr_dispatch_ptr 0
		.amdhsa_user_sgpr_queue_ptr 0
		.amdhsa_user_sgpr_kernarg_segment_ptr 1
		.amdhsa_user_sgpr_dispatch_id 0
		.amdhsa_user_sgpr_private_segment_size 0
		.amdhsa_wavefront_size32 1
		.amdhsa_uses_dynamic_stack 0
		.amdhsa_enable_private_segment 0
		.amdhsa_system_sgpr_workgroup_id_x 1
		.amdhsa_system_sgpr_workgroup_id_y 0
		.amdhsa_system_sgpr_workgroup_id_z 0
		.amdhsa_system_sgpr_workgroup_info 0
		.amdhsa_system_vgpr_workitem_id 0
		.amdhsa_next_free_vgpr 15
		.amdhsa_next_free_sgpr 16
		.amdhsa_reserve_vcc 1
		.amdhsa_float_round_mode_32 0
		.amdhsa_float_round_mode_16_64 0
		.amdhsa_float_denorm_mode_32 3
		.amdhsa_float_denorm_mode_16_64 3
		.amdhsa_dx10_clamp 1
		.amdhsa_ieee_mode 1
		.amdhsa_fp16_overflow 0
		.amdhsa_workgroup_processor_mode 1
		.amdhsa_memory_ordered 1
		.amdhsa_forward_progress 0
		.amdhsa_shared_vgpr_count 0
		.amdhsa_exception_fp_ieee_invalid_op 0
		.amdhsa_exception_fp_denorm_src 0
		.amdhsa_exception_fp_ieee_div_zero 0
		.amdhsa_exception_fp_ieee_overflow 0
		.amdhsa_exception_fp_ieee_underflow 0
		.amdhsa_exception_fp_ieee_inexact 0
		.amdhsa_exception_int_div_zero 0
	.end_amdhsa_kernel
	.section	.text._ZN4vllm3moe10moeSoftmaxILi256E6__halfEEvPKT0_PKbPfi,"axG",@progbits,_ZN4vllm3moe10moeSoftmaxILi256E6__halfEEvPKT0_PKbPfi,comdat
.Lfunc_end86:
	.size	_ZN4vllm3moe10moeSoftmaxILi256E6__halfEEvPKT0_PKbPfi, .Lfunc_end86-_ZN4vllm3moe10moeSoftmaxILi256E6__halfEEvPKT0_PKbPfi
                                        ; -- End function
	.section	.AMDGPU.csdata,"",@progbits
; Kernel info:
; codeLenInByte = 1736
; NumSgprs: 18
; NumVgprs: 15
; ScratchSize: 0
; MemoryBound: 0
; FloatMode: 240
; IeeeMode: 1
; LDSByteSize: 40 bytes/workgroup (compile time only)
; SGPRBlocks: 2
; VGPRBlocks: 1
; NumSGPRsForWavesPerEU: 18
; NumVGPRsForWavesPerEU: 15
; Occupancy: 16
; WaveLimiterHint : 0
; COMPUTE_PGM_RSRC2:SCRATCH_EN: 0
; COMPUTE_PGM_RSRC2:USER_SGPR: 15
; COMPUTE_PGM_RSRC2:TRAP_HANDLER: 0
; COMPUTE_PGM_RSRC2:TGID_X_EN: 1
; COMPUTE_PGM_RSRC2:TGID_Y_EN: 0
; COMPUTE_PGM_RSRC2:TGID_Z_EN: 0
; COMPUTE_PGM_RSRC2:TIDIG_COMP_CNT: 0
	.section	.text._ZN4vllm3moe10topkGatingILi1ELi1ELi4ELi2ELi64Ej6__halfLNS0_11ScoringFuncE0EEEvPKT5_PKbPfiPT4_PiiiibPKf,"axG",@progbits,_ZN4vllm3moe10topkGatingILi1ELi1ELi4ELi2ELi64Ej6__halfLNS0_11ScoringFuncE0EEEvPKT5_PKbPfiPT4_PiiiibPKf,comdat
	.protected	_ZN4vllm3moe10topkGatingILi1ELi1ELi4ELi2ELi64Ej6__halfLNS0_11ScoringFuncE0EEEvPKT5_PKbPfiPT4_PiiiibPKf ; -- Begin function _ZN4vllm3moe10topkGatingILi1ELi1ELi4ELi2ELi64Ej6__halfLNS0_11ScoringFuncE0EEEvPKT5_PKbPfiPT4_PiiiibPKf
	.globl	_ZN4vllm3moe10topkGatingILi1ELi1ELi4ELi2ELi64Ej6__halfLNS0_11ScoringFuncE0EEEvPKT5_PKbPfiPT4_PiiiibPKf
	.p2align	8
	.type	_ZN4vllm3moe10topkGatingILi1ELi1ELi4ELi2ELi64Ej6__halfLNS0_11ScoringFuncE0EEEvPKT5_PKbPfiPT4_PiiiibPKf,@function
_ZN4vllm3moe10topkGatingILi1ELi1ELi4ELi2ELi64Ej6__halfLNS0_11ScoringFuncE0EEEvPKT5_PKbPfiPT4_PiiiibPKf: ; @_ZN4vllm3moe10topkGatingILi1ELi1ELi4ELi2ELi64Ej6__halfLNS0_11ScoringFuncE0EEEvPKT5_PKbPfiPT4_PiiiibPKf
; %bb.0:
	s_load_b32 s3, s[0:1], 0x18
	v_bfe_u32 v1, v0, 10, 10
	v_and_b32_e32 v0, 0x3ff, v0
	s_lshl_b32 s2, s15, 8
	s_delay_alu instid0(VALU_DEP_2) | instskip(NEXT) | instid1(VALU_DEP_1)
	v_lshlrev_b32_e32 v1, 6, v1
	v_add3_u32 v0, v1, v0, s2
	s_mov_b32 s2, exec_lo
	s_waitcnt lgkmcnt(0)
	s_delay_alu instid0(VALU_DEP_1)
	v_cmpx_gt_i32_e64 s3, v0
	s_cbranch_execz .LBB87_12
; %bb.1:
	s_clause 0x1
	s_load_b128 s[8:11], s[0:1], 0x0
	s_load_b64 s[12:13], s[0:1], 0x10
	v_ashrrev_i32_e32 v1, 31, v0
	s_waitcnt lgkmcnt(0)
	s_cmp_eq_u64 s[10:11], 0
	s_cbranch_scc1 .LBB87_3
; %bb.2:
	v_add_co_u32 v2, vcc_lo, s10, v0
	v_add_co_ci_u32_e32 v3, vcc_lo, s11, v1, vcc_lo
	global_load_u8 v2, v[2:3], off
	s_waitcnt vmcnt(0)
	v_and_b32_e32 v2, 1, v2
	s_delay_alu instid0(VALU_DEP_1) | instskip(SKIP_1) | instid1(SALU_CYCLE_1)
	v_cmp_eq_u32_e32 vcc_lo, 1, v2
	s_xor_b32 s2, vcc_lo, -1
	s_or_not1_b32 s10, s2, exec_lo
	s_branch .LBB87_4
.LBB87_3:
	s_mov_b32 s10, -1
.LBB87_4:
	s_load_b128 s[4:7], s[0:1], 0x30
	s_waitcnt lgkmcnt(0)
	s_bitcmp1_b32 s7, 0
	s_cselect_b32 s2, -1, 0
	s_cmp_gt_i32 s4, 0
	s_cselect_b32 s7, -1, 0
	s_cmp_lt_i32 s4, 1
	s_cbranch_scc1 .LBB87_8
; %bb.5:
	v_lshlrev_b64 v[1:2], 1, v[0:1]
	s_load_b128 s[16:19], s[0:1], 0x20
	s_cmp_lt_i32 s5, 1
	v_mov_b32_e32 v7, 0
	s_cselect_b32 s0, -1, 0
	s_cmp_gt_i32 s6, 0
	v_add_co_u32 v1, vcc_lo, s8, v1
	v_add_co_ci_u32_e32 v2, vcc_lo, s9, v2, vcc_lo
	s_cselect_b32 s1, -1, 0
	s_sub_i32 s5, 0, s5
	s_and_b32 s0, s0, s1
	global_load_u16 v1, v[1:2], off
	s_and_b32 s0, s10, s0
	s_waitcnt vmcnt(0)
	v_cvt_f32_f16_e32 v1, v1
	s_delay_alu instid0(VALU_DEP_1) | instskip(NEXT) | instid1(VALU_DEP_1)
	v_sub_f32_e32 v1, v1, v1
	v_mul_f32_e32 v2, 0x3fb8aa3b, v1
	s_delay_alu instid0(VALU_DEP_1) | instskip(SKIP_1) | instid1(VALU_DEP_1)
	v_fma_f32 v3, 0x3fb8aa3b, v1, -v2
	v_rndne_f32_e32 v4, v2
	v_sub_f32_e32 v2, v2, v4
	v_cmp_ngt_f32_e32 vcc_lo, 0xc2ce8ed0, v1
	s_delay_alu instid0(VALU_DEP_4) | instskip(NEXT) | instid1(VALU_DEP_1)
	v_fmamk_f32 v3, v1, 0x32a5705f, v3
	v_add_f32_e32 v2, v2, v3
	v_cvt_i32_f32_e32 v3, v4
	s_delay_alu instid0(VALU_DEP_2) | instskip(SKIP_2) | instid1(VALU_DEP_1)
	v_exp_f32_e32 v2, v2
	s_waitcnt_depctr 0xfff
	v_ldexp_f32 v2, v2, v3
	v_cndmask_b32_e32 v2, 0, v2, vcc_lo
	v_cmp_nlt_f32_e32 vcc_lo, 0x42b17218, v1
	s_delay_alu instid0(VALU_DEP_2) | instskip(NEXT) | instid1(VALU_DEP_1)
	v_cndmask_b32_e32 v9, 0x7f800000, v2, vcc_lo
	v_div_scale_f32 v3, null, v9, v9, 1.0
	s_delay_alu instid0(VALU_DEP_1) | instskip(SKIP_2) | instid1(VALU_DEP_1)
	v_rcp_f32_e32 v4, v3
	s_waitcnt_depctr 0xfff
	v_fma_f32 v1, -v3, v4, 1.0
	v_fmac_f32_e32 v4, v1, v4
	v_div_scale_f32 v8, vcc_lo, 1.0, v9, 1.0
	v_mul_lo_u32 v1, v0, s4
	s_delay_alu instid0(VALU_DEP_2) | instskip(NEXT) | instid1(VALU_DEP_1)
	v_mul_f32_e32 v10, v8, v4
	v_fma_f32 v5, -v3, v10, v8
	s_delay_alu instid0(VALU_DEP_3) | instskip(NEXT) | instid1(VALU_DEP_2)
	v_ashrrev_i32_e32 v2, 31, v1
	v_fmac_f32_e32 v10, v5, v4
	s_delay_alu instid0(VALU_DEP_2) | instskip(NEXT) | instid1(VALU_DEP_2)
	v_lshlrev_b64 v[5:6], 2, v[1:2]
	v_fma_f32 v1, -v3, v10, v8
	v_cndmask_b32_e64 v8, 1, s5, s0
	s_mov_b32 s0, s4
	s_delay_alu instid0(VALU_DEP_2) | instskip(NEXT) | instid1(VALU_DEP_4)
	v_div_fmas_f32 v3, v1, v4, v10
	v_add_co_u32 v1, vcc_lo, s12, v5
	v_add_co_ci_u32_e32 v2, vcc_lo, s13, v6, vcc_lo
	s_delay_alu instid0(VALU_DEP_3) | instskip(SKIP_3) | instid1(VALU_DEP_3)
	v_div_fixup_f32 v10, v3, v9, 1.0
	s_waitcnt lgkmcnt(0)
	v_add_co_u32 v3, vcc_lo, s16, v5
	v_add_co_ci_u32_e32 v4, vcc_lo, s17, v6, vcc_lo
	v_mul_f32_e32 v9, v9, v10
	v_add_co_u32 v5, vcc_lo, s18, v5
	v_add_co_ci_u32_e32 v6, vcc_lo, s19, v6, vcc_lo
	s_delay_alu instid0(VALU_DEP_3)
	v_cmp_class_f32_e64 vcc_lo, v9, 0x1f8
	v_dual_mov_b32 v10, v0 :: v_dual_cndmask_b32 v9, 0, v9
	.p2align	6
.LBB87_6:                               ; =>This Inner Loop Header: Depth=1
	global_store_b32 v[1:2], v9, off
	global_store_b32 v[3:4], v8, off
	;; [unrolled: 1-line block ×3, first 2 shown]
	v_add_co_u32 v1, vcc_lo, v1, 4
	v_add_co_ci_u32_e32 v2, vcc_lo, 0, v2, vcc_lo
	v_dual_add_f32 v11, v7, v9 :: v_dual_add_nc_u32 v10, s3, v10
	v_add_co_u32 v3, vcc_lo, v3, 4
	v_add_co_ci_u32_e32 v4, vcc_lo, 0, v4, vcc_lo
	v_add_co_u32 v5, vcc_lo, v5, 4
	s_delay_alu instid0(VALU_DEP_4) | instskip(SKIP_2) | instid1(SALU_CYCLE_1)
	v_cndmask_b32_e64 v7, v7, v11, s2
	v_add_co_ci_u32_e32 v6, vcc_lo, 0, v6, vcc_lo
	s_add_i32 s0, s0, -1
	s_cmp_lg_u32 s0, 0
	s_cbranch_scc1 .LBB87_6
; %bb.7:
	s_and_not1_b32 vcc_lo, exec_lo, s2
	s_cbranch_vccz .LBB87_9
	s_branch .LBB87_12
.LBB87_8:
	v_mov_b32_e32 v7, 0
	s_and_not1_b32 vcc_lo, exec_lo, s2
	s_cbranch_vccnz .LBB87_12
.LBB87_9:
	s_and_not1_b32 vcc_lo, exec_lo, s7
	s_cbranch_vccnz .LBB87_12
; %bb.10:
	v_mul_lo_u32 v0, v0, s4
	v_cmp_lt_f32_e32 vcc_lo, 0, v7
	v_cndmask_b32_e32 v2, 1.0, v7, vcc_lo
	s_delay_alu instid0(VALU_DEP_3) | instskip(NEXT) | instid1(VALU_DEP_1)
	v_ashrrev_i32_e32 v1, 31, v0
	v_lshlrev_b64 v[0:1], 2, v[0:1]
	s_delay_alu instid0(VALU_DEP_1) | instskip(NEXT) | instid1(VALU_DEP_2)
	v_add_co_u32 v0, vcc_lo, s12, v0
	v_add_co_ci_u32_e32 v1, vcc_lo, s13, v1, vcc_lo
	.p2align	6
.LBB87_11:                              ; =>This Inner Loop Header: Depth=1
	global_load_b32 v3, v[0:1], off
	s_add_i32 s4, s4, -1
	s_delay_alu instid0(SALU_CYCLE_1) | instskip(SKIP_3) | instid1(VALU_DEP_2)
	s_cmp_lg_u32 s4, 0
	s_waitcnt vmcnt(0)
	v_div_scale_f32 v4, null, v2, v2, v3
	v_div_scale_f32 v7, vcc_lo, v3, v2, v3
	v_rcp_f32_e32 v5, v4
	s_waitcnt_depctr 0xfff
	v_fma_f32 v6, -v4, v5, 1.0
	s_delay_alu instid0(VALU_DEP_1) | instskip(NEXT) | instid1(VALU_DEP_1)
	v_fmac_f32_e32 v5, v6, v5
	v_mul_f32_e32 v6, v7, v5
	s_delay_alu instid0(VALU_DEP_1) | instskip(NEXT) | instid1(VALU_DEP_1)
	v_fma_f32 v8, -v4, v6, v7
	v_fmac_f32_e32 v6, v8, v5
	s_delay_alu instid0(VALU_DEP_1) | instskip(NEXT) | instid1(VALU_DEP_1)
	v_fma_f32 v4, -v4, v6, v7
	v_div_fmas_f32 v4, v4, v5, v6
	s_delay_alu instid0(VALU_DEP_1)
	v_div_fixup_f32 v3, v4, v2, v3
	global_store_b32 v[0:1], v3, off
	v_add_co_u32 v0, vcc_lo, v0, 4
	v_add_co_ci_u32_e32 v1, vcc_lo, 0, v1, vcc_lo
	s_cbranch_scc1 .LBB87_11
.LBB87_12:
	s_nop 0
	s_sendmsg sendmsg(MSG_DEALLOC_VGPRS)
	s_endpgm
	.section	.rodata,"a",@progbits
	.p2align	6, 0x0
	.amdhsa_kernel _ZN4vllm3moe10topkGatingILi1ELi1ELi4ELi2ELi64Ej6__halfLNS0_11ScoringFuncE0EEEvPKT5_PKbPfiPT4_PiiiibPKf
		.amdhsa_group_segment_fixed_size 0
		.amdhsa_private_segment_fixed_size 0
		.amdhsa_kernarg_size 72
		.amdhsa_user_sgpr_count 15
		.amdhsa_user_sgpr_dispatch_ptr 0
		.amdhsa_user_sgpr_queue_ptr 0
		.amdhsa_user_sgpr_kernarg_segment_ptr 1
		.amdhsa_user_sgpr_dispatch_id 0
		.amdhsa_user_sgpr_private_segment_size 0
		.amdhsa_wavefront_size32 1
		.amdhsa_uses_dynamic_stack 0
		.amdhsa_enable_private_segment 0
		.amdhsa_system_sgpr_workgroup_id_x 1
		.amdhsa_system_sgpr_workgroup_id_y 0
		.amdhsa_system_sgpr_workgroup_id_z 0
		.amdhsa_system_sgpr_workgroup_info 0
		.amdhsa_system_vgpr_workitem_id 1
		.amdhsa_next_free_vgpr 12
		.amdhsa_next_free_sgpr 20
		.amdhsa_reserve_vcc 1
		.amdhsa_float_round_mode_32 0
		.amdhsa_float_round_mode_16_64 0
		.amdhsa_float_denorm_mode_32 3
		.amdhsa_float_denorm_mode_16_64 3
		.amdhsa_dx10_clamp 1
		.amdhsa_ieee_mode 1
		.amdhsa_fp16_overflow 0
		.amdhsa_workgroup_processor_mode 1
		.amdhsa_memory_ordered 1
		.amdhsa_forward_progress 0
		.amdhsa_shared_vgpr_count 0
		.amdhsa_exception_fp_ieee_invalid_op 0
		.amdhsa_exception_fp_denorm_src 0
		.amdhsa_exception_fp_ieee_div_zero 0
		.amdhsa_exception_fp_ieee_overflow 0
		.amdhsa_exception_fp_ieee_underflow 0
		.amdhsa_exception_fp_ieee_inexact 0
		.amdhsa_exception_int_div_zero 0
	.end_amdhsa_kernel
	.section	.text._ZN4vllm3moe10topkGatingILi1ELi1ELi4ELi2ELi64Ej6__halfLNS0_11ScoringFuncE0EEEvPKT5_PKbPfiPT4_PiiiibPKf,"axG",@progbits,_ZN4vllm3moe10topkGatingILi1ELi1ELi4ELi2ELi64Ej6__halfLNS0_11ScoringFuncE0EEEvPKT5_PKbPfiPT4_PiiiibPKf,comdat
.Lfunc_end87:
	.size	_ZN4vllm3moe10topkGatingILi1ELi1ELi4ELi2ELi64Ej6__halfLNS0_11ScoringFuncE0EEEvPKT5_PKbPfiPT4_PiiiibPKf, .Lfunc_end87-_ZN4vllm3moe10topkGatingILi1ELi1ELi4ELi2ELi64Ej6__halfLNS0_11ScoringFuncE0EEEvPKT5_PKbPfiPT4_PiiiibPKf
                                        ; -- End function
	.section	.AMDGPU.csdata,"",@progbits
; Kernel info:
; codeLenInByte = 904
; NumSgprs: 22
; NumVgprs: 12
; ScratchSize: 0
; MemoryBound: 0
; FloatMode: 240
; IeeeMode: 1
; LDSByteSize: 0 bytes/workgroup (compile time only)
; SGPRBlocks: 2
; VGPRBlocks: 1
; NumSGPRsForWavesPerEU: 22
; NumVGPRsForWavesPerEU: 12
; Occupancy: 16
; WaveLimiterHint : 0
; COMPUTE_PGM_RSRC2:SCRATCH_EN: 0
; COMPUTE_PGM_RSRC2:USER_SGPR: 15
; COMPUTE_PGM_RSRC2:TRAP_HANDLER: 0
; COMPUTE_PGM_RSRC2:TGID_X_EN: 1
; COMPUTE_PGM_RSRC2:TGID_Y_EN: 0
; COMPUTE_PGM_RSRC2:TGID_Z_EN: 0
; COMPUTE_PGM_RSRC2:TIDIG_COMP_CNT: 1
	.section	.text._ZN4vllm3moe10topkGatingILi1ELi1ELi4ELi2ELi32Ej6__halfLNS0_11ScoringFuncE0EEEvPKT5_PKbPfiPT4_PiiiibPKf,"axG",@progbits,_ZN4vllm3moe10topkGatingILi1ELi1ELi4ELi2ELi32Ej6__halfLNS0_11ScoringFuncE0EEEvPKT5_PKbPfiPT4_PiiiibPKf,comdat
	.protected	_ZN4vllm3moe10topkGatingILi1ELi1ELi4ELi2ELi32Ej6__halfLNS0_11ScoringFuncE0EEEvPKT5_PKbPfiPT4_PiiiibPKf ; -- Begin function _ZN4vllm3moe10topkGatingILi1ELi1ELi4ELi2ELi32Ej6__halfLNS0_11ScoringFuncE0EEEvPKT5_PKbPfiPT4_PiiiibPKf
	.globl	_ZN4vllm3moe10topkGatingILi1ELi1ELi4ELi2ELi32Ej6__halfLNS0_11ScoringFuncE0EEEvPKT5_PKbPfiPT4_PiiiibPKf
	.p2align	8
	.type	_ZN4vllm3moe10topkGatingILi1ELi1ELi4ELi2ELi32Ej6__halfLNS0_11ScoringFuncE0EEEvPKT5_PKbPfiPT4_PiiiibPKf,@function
_ZN4vllm3moe10topkGatingILi1ELi1ELi4ELi2ELi32Ej6__halfLNS0_11ScoringFuncE0EEEvPKT5_PKbPfiPT4_PiiiibPKf: ; @_ZN4vllm3moe10topkGatingILi1ELi1ELi4ELi2ELi32Ej6__halfLNS0_11ScoringFuncE0EEEvPKT5_PKbPfiPT4_PiiiibPKf
; %bb.0:
	s_load_b32 s3, s[0:1], 0x18
	v_bfe_u32 v1, v0, 10, 10
	v_and_b32_e32 v0, 0x3ff, v0
	s_lshl_b32 s2, s15, 7
	s_delay_alu instid0(VALU_DEP_2) | instskip(NEXT) | instid1(VALU_DEP_1)
	v_lshlrev_b32_e32 v1, 5, v1
	v_add3_u32 v0, v1, v0, s2
	s_mov_b32 s2, exec_lo
	s_waitcnt lgkmcnt(0)
	s_delay_alu instid0(VALU_DEP_1)
	v_cmpx_gt_i32_e64 s3, v0
	s_cbranch_execz .LBB88_12
; %bb.1:
	s_clause 0x1
	s_load_b128 s[8:11], s[0:1], 0x0
	s_load_b64 s[12:13], s[0:1], 0x10
	v_ashrrev_i32_e32 v1, 31, v0
	s_waitcnt lgkmcnt(0)
	s_cmp_eq_u64 s[10:11], 0
	s_cbranch_scc1 .LBB88_3
; %bb.2:
	v_add_co_u32 v2, vcc_lo, s10, v0
	v_add_co_ci_u32_e32 v3, vcc_lo, s11, v1, vcc_lo
	global_load_u8 v2, v[2:3], off
	s_waitcnt vmcnt(0)
	v_and_b32_e32 v2, 1, v2
	s_delay_alu instid0(VALU_DEP_1) | instskip(SKIP_1) | instid1(SALU_CYCLE_1)
	v_cmp_eq_u32_e32 vcc_lo, 1, v2
	s_xor_b32 s2, vcc_lo, -1
	s_or_not1_b32 s10, s2, exec_lo
	s_branch .LBB88_4
.LBB88_3:
	s_mov_b32 s10, -1
.LBB88_4:
	s_load_b128 s[4:7], s[0:1], 0x30
	s_waitcnt lgkmcnt(0)
	s_bitcmp1_b32 s7, 0
	s_cselect_b32 s2, -1, 0
	s_cmp_gt_i32 s4, 0
	s_cselect_b32 s7, -1, 0
	s_cmp_lt_i32 s4, 1
	s_cbranch_scc1 .LBB88_8
; %bb.5:
	v_lshlrev_b64 v[1:2], 1, v[0:1]
	s_load_b128 s[16:19], s[0:1], 0x20
	s_cmp_lt_i32 s5, 1
	v_mov_b32_e32 v7, 0
	s_cselect_b32 s0, -1, 0
	s_cmp_gt_i32 s6, 0
	v_add_co_u32 v1, vcc_lo, s8, v1
	v_add_co_ci_u32_e32 v2, vcc_lo, s9, v2, vcc_lo
	s_cselect_b32 s1, -1, 0
	s_sub_i32 s5, 0, s5
	s_and_b32 s0, s0, s1
	global_load_u16 v1, v[1:2], off
	s_and_b32 s0, s10, s0
	s_waitcnt vmcnt(0)
	v_cvt_f32_f16_e32 v1, v1
	s_delay_alu instid0(VALU_DEP_1) | instskip(NEXT) | instid1(VALU_DEP_1)
	v_sub_f32_e32 v1, v1, v1
	v_mul_f32_e32 v2, 0x3fb8aa3b, v1
	s_delay_alu instid0(VALU_DEP_1) | instskip(SKIP_1) | instid1(VALU_DEP_1)
	v_fma_f32 v3, 0x3fb8aa3b, v1, -v2
	v_rndne_f32_e32 v4, v2
	v_sub_f32_e32 v2, v2, v4
	v_cmp_ngt_f32_e32 vcc_lo, 0xc2ce8ed0, v1
	s_delay_alu instid0(VALU_DEP_4) | instskip(NEXT) | instid1(VALU_DEP_1)
	v_fmamk_f32 v3, v1, 0x32a5705f, v3
	v_add_f32_e32 v2, v2, v3
	v_cvt_i32_f32_e32 v3, v4
	s_delay_alu instid0(VALU_DEP_2) | instskip(SKIP_2) | instid1(VALU_DEP_1)
	v_exp_f32_e32 v2, v2
	s_waitcnt_depctr 0xfff
	v_ldexp_f32 v2, v2, v3
	v_cndmask_b32_e32 v2, 0, v2, vcc_lo
	v_cmp_nlt_f32_e32 vcc_lo, 0x42b17218, v1
	s_delay_alu instid0(VALU_DEP_2) | instskip(NEXT) | instid1(VALU_DEP_1)
	v_cndmask_b32_e32 v9, 0x7f800000, v2, vcc_lo
	v_div_scale_f32 v3, null, v9, v9, 1.0
	s_delay_alu instid0(VALU_DEP_1) | instskip(SKIP_2) | instid1(VALU_DEP_1)
	v_rcp_f32_e32 v4, v3
	s_waitcnt_depctr 0xfff
	v_fma_f32 v1, -v3, v4, 1.0
	v_fmac_f32_e32 v4, v1, v4
	v_div_scale_f32 v8, vcc_lo, 1.0, v9, 1.0
	v_mul_lo_u32 v1, v0, s4
	s_delay_alu instid0(VALU_DEP_2) | instskip(NEXT) | instid1(VALU_DEP_1)
	v_mul_f32_e32 v10, v8, v4
	v_fma_f32 v5, -v3, v10, v8
	s_delay_alu instid0(VALU_DEP_3) | instskip(NEXT) | instid1(VALU_DEP_2)
	v_ashrrev_i32_e32 v2, 31, v1
	v_fmac_f32_e32 v10, v5, v4
	s_delay_alu instid0(VALU_DEP_2) | instskip(NEXT) | instid1(VALU_DEP_2)
	v_lshlrev_b64 v[5:6], 2, v[1:2]
	v_fma_f32 v1, -v3, v10, v8
	v_cndmask_b32_e64 v8, 1, s5, s0
	s_mov_b32 s0, s4
	s_delay_alu instid0(VALU_DEP_2) | instskip(NEXT) | instid1(VALU_DEP_4)
	v_div_fmas_f32 v3, v1, v4, v10
	v_add_co_u32 v1, vcc_lo, s12, v5
	v_add_co_ci_u32_e32 v2, vcc_lo, s13, v6, vcc_lo
	s_delay_alu instid0(VALU_DEP_3) | instskip(SKIP_3) | instid1(VALU_DEP_3)
	v_div_fixup_f32 v10, v3, v9, 1.0
	s_waitcnt lgkmcnt(0)
	v_add_co_u32 v3, vcc_lo, s16, v5
	v_add_co_ci_u32_e32 v4, vcc_lo, s17, v6, vcc_lo
	v_mul_f32_e32 v9, v9, v10
	v_add_co_u32 v5, vcc_lo, s18, v5
	v_add_co_ci_u32_e32 v6, vcc_lo, s19, v6, vcc_lo
	s_delay_alu instid0(VALU_DEP_3)
	v_cmp_class_f32_e64 vcc_lo, v9, 0x1f8
	v_dual_mov_b32 v10, v0 :: v_dual_cndmask_b32 v9, 0, v9
	.p2align	6
.LBB88_6:                               ; =>This Inner Loop Header: Depth=1
	global_store_b32 v[1:2], v9, off
	global_store_b32 v[3:4], v8, off
	global_store_b32 v[5:6], v10, off
	v_add_co_u32 v1, vcc_lo, v1, 4
	v_add_co_ci_u32_e32 v2, vcc_lo, 0, v2, vcc_lo
	v_dual_add_f32 v11, v7, v9 :: v_dual_add_nc_u32 v10, s3, v10
	v_add_co_u32 v3, vcc_lo, v3, 4
	v_add_co_ci_u32_e32 v4, vcc_lo, 0, v4, vcc_lo
	v_add_co_u32 v5, vcc_lo, v5, 4
	s_delay_alu instid0(VALU_DEP_4) | instskip(SKIP_2) | instid1(SALU_CYCLE_1)
	v_cndmask_b32_e64 v7, v7, v11, s2
	v_add_co_ci_u32_e32 v6, vcc_lo, 0, v6, vcc_lo
	s_add_i32 s0, s0, -1
	s_cmp_lg_u32 s0, 0
	s_cbranch_scc1 .LBB88_6
; %bb.7:
	s_and_not1_b32 vcc_lo, exec_lo, s2
	s_cbranch_vccz .LBB88_9
	s_branch .LBB88_12
.LBB88_8:
	v_mov_b32_e32 v7, 0
	s_and_not1_b32 vcc_lo, exec_lo, s2
	s_cbranch_vccnz .LBB88_12
.LBB88_9:
	s_and_not1_b32 vcc_lo, exec_lo, s7
	s_cbranch_vccnz .LBB88_12
; %bb.10:
	v_mul_lo_u32 v0, v0, s4
	v_cmp_lt_f32_e32 vcc_lo, 0, v7
	v_cndmask_b32_e32 v2, 1.0, v7, vcc_lo
	s_delay_alu instid0(VALU_DEP_3) | instskip(NEXT) | instid1(VALU_DEP_1)
	v_ashrrev_i32_e32 v1, 31, v0
	v_lshlrev_b64 v[0:1], 2, v[0:1]
	s_delay_alu instid0(VALU_DEP_1) | instskip(NEXT) | instid1(VALU_DEP_2)
	v_add_co_u32 v0, vcc_lo, s12, v0
	v_add_co_ci_u32_e32 v1, vcc_lo, s13, v1, vcc_lo
	.p2align	6
.LBB88_11:                              ; =>This Inner Loop Header: Depth=1
	global_load_b32 v3, v[0:1], off
	s_add_i32 s4, s4, -1
	s_delay_alu instid0(SALU_CYCLE_1) | instskip(SKIP_3) | instid1(VALU_DEP_2)
	s_cmp_lg_u32 s4, 0
	s_waitcnt vmcnt(0)
	v_div_scale_f32 v4, null, v2, v2, v3
	v_div_scale_f32 v7, vcc_lo, v3, v2, v3
	v_rcp_f32_e32 v5, v4
	s_waitcnt_depctr 0xfff
	v_fma_f32 v6, -v4, v5, 1.0
	s_delay_alu instid0(VALU_DEP_1) | instskip(NEXT) | instid1(VALU_DEP_1)
	v_fmac_f32_e32 v5, v6, v5
	v_mul_f32_e32 v6, v7, v5
	s_delay_alu instid0(VALU_DEP_1) | instskip(NEXT) | instid1(VALU_DEP_1)
	v_fma_f32 v8, -v4, v6, v7
	v_fmac_f32_e32 v6, v8, v5
	s_delay_alu instid0(VALU_DEP_1) | instskip(NEXT) | instid1(VALU_DEP_1)
	v_fma_f32 v4, -v4, v6, v7
	v_div_fmas_f32 v4, v4, v5, v6
	s_delay_alu instid0(VALU_DEP_1)
	v_div_fixup_f32 v3, v4, v2, v3
	global_store_b32 v[0:1], v3, off
	v_add_co_u32 v0, vcc_lo, v0, 4
	v_add_co_ci_u32_e32 v1, vcc_lo, 0, v1, vcc_lo
	s_cbranch_scc1 .LBB88_11
.LBB88_12:
	s_nop 0
	s_sendmsg sendmsg(MSG_DEALLOC_VGPRS)
	s_endpgm
	.section	.rodata,"a",@progbits
	.p2align	6, 0x0
	.amdhsa_kernel _ZN4vllm3moe10topkGatingILi1ELi1ELi4ELi2ELi32Ej6__halfLNS0_11ScoringFuncE0EEEvPKT5_PKbPfiPT4_PiiiibPKf
		.amdhsa_group_segment_fixed_size 0
		.amdhsa_private_segment_fixed_size 0
		.amdhsa_kernarg_size 72
		.amdhsa_user_sgpr_count 15
		.amdhsa_user_sgpr_dispatch_ptr 0
		.amdhsa_user_sgpr_queue_ptr 0
		.amdhsa_user_sgpr_kernarg_segment_ptr 1
		.amdhsa_user_sgpr_dispatch_id 0
		.amdhsa_user_sgpr_private_segment_size 0
		.amdhsa_wavefront_size32 1
		.amdhsa_uses_dynamic_stack 0
		.amdhsa_enable_private_segment 0
		.amdhsa_system_sgpr_workgroup_id_x 1
		.amdhsa_system_sgpr_workgroup_id_y 0
		.amdhsa_system_sgpr_workgroup_id_z 0
		.amdhsa_system_sgpr_workgroup_info 0
		.amdhsa_system_vgpr_workitem_id 1
		.amdhsa_next_free_vgpr 12
		.amdhsa_next_free_sgpr 20
		.amdhsa_reserve_vcc 1
		.amdhsa_float_round_mode_32 0
		.amdhsa_float_round_mode_16_64 0
		.amdhsa_float_denorm_mode_32 3
		.amdhsa_float_denorm_mode_16_64 3
		.amdhsa_dx10_clamp 1
		.amdhsa_ieee_mode 1
		.amdhsa_fp16_overflow 0
		.amdhsa_workgroup_processor_mode 1
		.amdhsa_memory_ordered 1
		.amdhsa_forward_progress 0
		.amdhsa_shared_vgpr_count 0
		.amdhsa_exception_fp_ieee_invalid_op 0
		.amdhsa_exception_fp_denorm_src 0
		.amdhsa_exception_fp_ieee_div_zero 0
		.amdhsa_exception_fp_ieee_overflow 0
		.amdhsa_exception_fp_ieee_underflow 0
		.amdhsa_exception_fp_ieee_inexact 0
		.amdhsa_exception_int_div_zero 0
	.end_amdhsa_kernel
	.section	.text._ZN4vllm3moe10topkGatingILi1ELi1ELi4ELi2ELi32Ej6__halfLNS0_11ScoringFuncE0EEEvPKT5_PKbPfiPT4_PiiiibPKf,"axG",@progbits,_ZN4vllm3moe10topkGatingILi1ELi1ELi4ELi2ELi32Ej6__halfLNS0_11ScoringFuncE0EEEvPKT5_PKbPfiPT4_PiiiibPKf,comdat
.Lfunc_end88:
	.size	_ZN4vllm3moe10topkGatingILi1ELi1ELi4ELi2ELi32Ej6__halfLNS0_11ScoringFuncE0EEEvPKT5_PKbPfiPT4_PiiiibPKf, .Lfunc_end88-_ZN4vllm3moe10topkGatingILi1ELi1ELi4ELi2ELi32Ej6__halfLNS0_11ScoringFuncE0EEEvPKT5_PKbPfiPT4_PiiiibPKf
                                        ; -- End function
	.section	.AMDGPU.csdata,"",@progbits
; Kernel info:
; codeLenInByte = 904
; NumSgprs: 22
; NumVgprs: 12
; ScratchSize: 0
; MemoryBound: 0
; FloatMode: 240
; IeeeMode: 1
; LDSByteSize: 0 bytes/workgroup (compile time only)
; SGPRBlocks: 2
; VGPRBlocks: 1
; NumSGPRsForWavesPerEU: 22
; NumVGPRsForWavesPerEU: 12
; Occupancy: 16
; WaveLimiterHint : 0
; COMPUTE_PGM_RSRC2:SCRATCH_EN: 0
; COMPUTE_PGM_RSRC2:USER_SGPR: 15
; COMPUTE_PGM_RSRC2:TRAP_HANDLER: 0
; COMPUTE_PGM_RSRC2:TGID_X_EN: 1
; COMPUTE_PGM_RSRC2:TGID_Y_EN: 0
; COMPUTE_PGM_RSRC2:TGID_Z_EN: 0
; COMPUTE_PGM_RSRC2:TIDIG_COMP_CNT: 1
	.section	.text._ZN4vllm3moe10topkGatingILi2ELi2ELi4ELi4ELi64Ej6__halfLNS0_11ScoringFuncE0EEEvPKT5_PKbPfiPT4_PiiiibPKf,"axG",@progbits,_ZN4vllm3moe10topkGatingILi2ELi2ELi4ELi4ELi64Ej6__halfLNS0_11ScoringFuncE0EEEvPKT5_PKbPfiPT4_PiiiibPKf,comdat
	.protected	_ZN4vllm3moe10topkGatingILi2ELi2ELi4ELi4ELi64Ej6__halfLNS0_11ScoringFuncE0EEEvPKT5_PKbPfiPT4_PiiiibPKf ; -- Begin function _ZN4vllm3moe10topkGatingILi2ELi2ELi4ELi4ELi64Ej6__halfLNS0_11ScoringFuncE0EEEvPKT5_PKbPfiPT4_PiiiibPKf
	.globl	_ZN4vllm3moe10topkGatingILi2ELi2ELi4ELi4ELi64Ej6__halfLNS0_11ScoringFuncE0EEEvPKT5_PKbPfiPT4_PiiiibPKf
	.p2align	8
	.type	_ZN4vllm3moe10topkGatingILi2ELi2ELi4ELi4ELi64Ej6__halfLNS0_11ScoringFuncE0EEEvPKT5_PKbPfiPT4_PiiiibPKf,@function
_ZN4vllm3moe10topkGatingILi2ELi2ELi4ELi4ELi64Ej6__halfLNS0_11ScoringFuncE0EEEvPKT5_PKbPfiPT4_PiiiibPKf: ; @_ZN4vllm3moe10topkGatingILi2ELi2ELi4ELi4ELi64Ej6__halfLNS0_11ScoringFuncE0EEEvPKT5_PKbPfiPT4_PiiiibPKf
; %bb.0:
	s_load_b32 s10, s[0:1], 0x18
	v_bfe_u32 v1, v0, 10, 10
	v_and_b32_e32 v0, 0x3ff, v0
	s_lshl_b32 s2, s15, 8
	s_delay_alu instid0(VALU_DEP_2) | instskip(NEXT) | instid1(VALU_DEP_1)
	v_lshlrev_b32_e32 v1, 6, v1
	v_add3_u32 v10, v1, v0, s2
	s_mov_b32 s2, exec_lo
	s_waitcnt lgkmcnt(0)
	s_delay_alu instid0(VALU_DEP_1)
	v_cmpx_gt_i32_e64 s10, v10
	s_cbranch_execz .LBB89_14
; %bb.1:
	s_clause 0x1
	s_load_b128 s[4:7], s[0:1], 0x0
	s_load_b64 s[8:9], s[0:1], 0x10
	s_waitcnt lgkmcnt(0)
	s_cmp_eq_u64 s[6:7], 0
	s_cbranch_scc1 .LBB89_3
; %bb.2:
	v_ashrrev_i32_e32 v1, 31, v10
	v_add_co_u32 v0, vcc_lo, s6, v10
	s_delay_alu instid0(VALU_DEP_2) | instskip(SKIP_3) | instid1(VALU_DEP_1)
	v_add_co_ci_u32_e32 v1, vcc_lo, s7, v1, vcc_lo
	global_load_u8 v0, v[0:1], off
	s_waitcnt vmcnt(0)
	v_and_b32_e32 v0, 1, v0
	v_cmp_eq_u32_e32 vcc_lo, 1, v0
	s_xor_b32 s2, vcc_lo, -1
	s_delay_alu instid0(SALU_CYCLE_1)
	s_or_not1_b32 s11, s2, exec_lo
	s_branch .LBB89_4
.LBB89_3:
	s_mov_b32 s11, -1
.LBB89_4:
	v_lshlrev_b32_e32 v0, 1, v10
	s_load_b64 s[2:3], s[0:1], 0x40
	s_delay_alu instid0(VALU_DEP_1) | instskip(NEXT) | instid1(VALU_DEP_1)
	v_ashrrev_i32_e32 v1, 31, v0
	v_lshlrev_b64 v[0:1], 1, v[0:1]
	s_delay_alu instid0(VALU_DEP_1) | instskip(NEXT) | instid1(VALU_DEP_2)
	v_add_co_u32 v0, vcc_lo, s4, v0
	v_add_co_ci_u32_e32 v1, vcc_lo, s5, v1, vcc_lo
	s_waitcnt lgkmcnt(0)
	s_cmp_eq_u64 s[2:3], 0
	global_load_b32 v0, v[0:1], off
	s_waitcnt vmcnt(0)
	v_lshrrev_b32_e32 v1, 16, v0
	v_cvt_f32_f16_e32 v0, v0
	s_delay_alu instid0(VALU_DEP_2) | instskip(NEXT) | instid1(VALU_DEP_1)
	v_cvt_f32_f16_e32 v1, v1
	v_max_f32_e32 v2, v0, v1
	s_delay_alu instid0(VALU_DEP_1) | instskip(NEXT) | instid1(VALU_DEP_1)
	v_sub_f32_e32 v1, v1, v2
	v_mul_f32_e32 v3, 0x3fb8aa3b, v1
	s_delay_alu instid0(VALU_DEP_1) | instskip(SKIP_1) | instid1(VALU_DEP_2)
	v_rndne_f32_e32 v7, v3
	v_fma_f32 v6, 0x3fb8aa3b, v1, -v3
	v_dual_sub_f32 v3, v3, v7 :: v_dual_sub_f32 v0, v0, v2
	s_delay_alu instid0(VALU_DEP_1) | instskip(NEXT) | instid1(VALU_DEP_3)
	v_mul_f32_e32 v2, 0x3fb8aa3b, v0
	v_fmac_f32_e32 v6, 0x32a5705f, v1
	v_cmp_ngt_f32_e32 vcc_lo, 0xc2ce8ed0, v0
	s_delay_alu instid0(VALU_DEP_3) | instskip(SKIP_1) | instid1(VALU_DEP_2)
	v_fma_f32 v4, 0x3fb8aa3b, v0, -v2
	v_rndne_f32_e32 v5, v2
	v_dual_add_f32 v3, v3, v6 :: v_dual_fmac_f32 v4, 0x32a5705f, v0
	s_delay_alu instid0(VALU_DEP_2) | instskip(NEXT) | instid1(VALU_DEP_2)
	v_sub_f32_e32 v2, v2, v5
	v_exp_f32_e32 v3, v3
	s_delay_alu instid0(VALU_DEP_1) | instskip(SKIP_2) | instid1(VALU_DEP_3)
	v_add_f32_e32 v2, v2, v4
	v_cvt_i32_f32_e32 v4, v5
	v_cvt_i32_f32_e32 v5, v7
	v_exp_f32_e32 v2, v2
	s_waitcnt_depctr 0xfff
	v_ldexp_f32 v3, v3, v5
	v_ldexp_f32 v2, v2, v4
	s_delay_alu instid0(VALU_DEP_1) | instskip(SKIP_1) | instid1(VALU_DEP_4)
	v_cndmask_b32_e32 v2, 0, v2, vcc_lo
	v_cmp_ngt_f32_e32 vcc_lo, 0xc2ce8ed0, v1
	v_cndmask_b32_e32 v3, 0, v3, vcc_lo
	v_cmp_nlt_f32_e32 vcc_lo, 0x42b17218, v0
	s_delay_alu instid0(VALU_DEP_4) | instskip(SKIP_1) | instid1(VALU_DEP_4)
	v_cndmask_b32_e32 v0, 0x7f800000, v2, vcc_lo
	v_cmp_nlt_f32_e32 vcc_lo, 0x42b17218, v1
	v_cndmask_b32_e32 v1, 0x7f800000, v3, vcc_lo
	s_delay_alu instid0(VALU_DEP_1) | instskip(NEXT) | instid1(VALU_DEP_1)
	v_add_f32_e32 v2, v0, v1
	v_div_scale_f32 v3, null, v2, v2, 1.0
	v_div_scale_f32 v6, vcc_lo, 1.0, v2, 1.0
	s_delay_alu instid0(VALU_DEP_2) | instskip(SKIP_2) | instid1(VALU_DEP_1)
	v_rcp_f32_e32 v4, v3
	s_waitcnt_depctr 0xfff
	v_fma_f32 v5, -v3, v4, 1.0
	v_fmac_f32_e32 v4, v5, v4
	s_delay_alu instid0(VALU_DEP_1) | instskip(NEXT) | instid1(VALU_DEP_1)
	v_mul_f32_e32 v5, v6, v4
	v_fma_f32 v7, -v3, v5, v6
	s_delay_alu instid0(VALU_DEP_1) | instskip(NEXT) | instid1(VALU_DEP_1)
	v_fmac_f32_e32 v5, v7, v4
	v_fma_f32 v3, -v3, v5, v6
	s_delay_alu instid0(VALU_DEP_1) | instskip(NEXT) | instid1(VALU_DEP_1)
	v_div_fmas_f32 v3, v3, v4, v5
	v_div_fixup_f32 v2, v3, v2, 1.0
	s_delay_alu instid0(VALU_DEP_1) | instskip(SKIP_1) | instid1(VALU_DEP_1)
	v_mul_f32_e32 v1, v2, v1
	v_mul_f32_e32 v0, v2, v0
	v_cmp_class_f32_e64 vcc_lo, v0, 0x1f8
	v_cndmask_b32_e32 v0, 0, v0, vcc_lo
	s_delay_alu instid0(VALU_DEP_4) | instskip(SKIP_1) | instid1(VALU_DEP_1)
	v_cmp_class_f32_e64 vcc_lo, v1, 0x1f8
	v_cndmask_b32_e32 v1, 0, v1, vcc_lo
	v_dual_mov_b32 v3, v1 :: v_dual_mov_b32 v2, v0
	s_cbranch_scc1 .LBB89_6
; %bb.5:
	s_load_b64 s[2:3], s[2:3], 0x0
	s_waitcnt lgkmcnt(0)
	v_dual_add_f32 v2, s2, v0 :: v_dual_add_f32 v3, s3, v1
.LBB89_6:
	s_load_b128 s[4:7], s[0:1], 0x30
	s_waitcnt lgkmcnt(0)
	s_bitcmp1_b32 s7, 0
	s_cselect_b32 vcc_lo, -1, 0
	s_cmp_gt_i32 s4, 0
	s_cselect_b32 s3, -1, 0
	s_cmp_lt_i32 s4, 1
	s_cbranch_scc1 .LBB89_10
; %bb.7:
	v_mul_lo_u32 v4, v10, s4
	s_load_b128 s[12:15], s[0:1], 0x20
	v_dual_mov_b32 v11, 0 :: v_dual_mov_b32 v12, v10
	s_mov_b32 s7, 0
	s_delay_alu instid0(VALU_DEP_2) | instskip(NEXT) | instid1(VALU_DEP_1)
	v_ashrrev_i32_e32 v5, 31, v4
	v_lshlrev_b64 v[8:9], 2, v[4:5]
	s_delay_alu instid0(VALU_DEP_1) | instskip(NEXT) | instid1(VALU_DEP_1)
	v_add_co_u32 v4, s0, s8, v8
	v_add_co_ci_u32_e64 v5, s0, s9, v9, s0
	s_waitcnt lgkmcnt(0)
	v_add_co_u32 v6, s0, s12, v8
	s_delay_alu instid0(VALU_DEP_1) | instskip(SKIP_1) | instid1(VALU_DEP_1)
	v_add_co_ci_u32_e64 v7, s0, s13, v9, s0
	v_add_co_u32 v8, s0, s14, v8
	v_add_co_ci_u32_e64 v9, s0, s15, v9, s0
.LBB89_8:                               ; =>This Inner Loop Header: Depth=1
	v_cmp_gt_f32_e64 s0, v3, v2
	s_add_i32 s7, s7, 1
	s_delay_alu instid0(VALU_DEP_1) | instskip(SKIP_3) | instid1(VALU_DEP_4)
	v_cndmask_b32_e64 v14, 0, 1, s0
	v_cndmask_b32_e64 v13, v0, v1, s0
	;; [unrolled: 1-line block ×4, first 2 shown]
	v_cmp_le_i32_e64 s1, s5, v14
	v_cmp_gt_i32_e64 s2, s6, v14
	v_subrev_nc_u32_e32 v14, s5, v14
	global_store_b32 v[4:5], v13, off
	v_add_f32_e32 v13, v11, v13
	s_and_b32 s1, s1, s2
	s_delay_alu instid0(SALU_CYCLE_1)
	s_and_b32 s0, s11, s1
	s_cmp_lt_i32 s7, s4
	v_cndmask_b32_e64 v14, 2, v14, s0
	s_cselect_b32 s0, -1, 0
	s_cmp_eq_u32 s4, s7
	v_cndmask_b32_e64 v3, v3, v16, s0
	v_cndmask_b32_e64 v2, v2, v15, s0
	v_add_co_u32 v4, s0, v4, 4
	s_delay_alu instid0(VALU_DEP_1) | instskip(SKIP_4) | instid1(VALU_DEP_1)
	v_add_co_ci_u32_e64 v5, s0, 0, v5, s0
	global_store_b32 v[6:7], v14, off
	global_store_b32 v[8:9], v12, off
	v_add_nc_u32_e32 v12, s10, v12
	v_add_co_u32 v6, s0, v6, 4
	v_add_co_ci_u32_e64 v7, s0, 0, v7, s0
	v_add_co_u32 v8, s0, v8, 4
	v_cndmask_b32_e32 v11, v11, v13, vcc_lo
	v_add_co_ci_u32_e64 v9, s0, 0, v9, s0
	s_cbranch_scc0 .LBB89_8
; %bb.9:
	s_and_b32 vcc_lo, exec_lo, vcc_lo
	s_cbranch_vccnz .LBB89_11
	s_branch .LBB89_14
.LBB89_10:
	v_mov_b32_e32 v11, 0
	s_and_b32 vcc_lo, exec_lo, vcc_lo
	s_cbranch_vccz .LBB89_14
.LBB89_11:
	s_and_not1_b32 vcc_lo, exec_lo, s3
	s_cbranch_vccnz .LBB89_14
; %bb.12:
	v_mul_lo_u32 v0, v10, s4
	v_cmp_lt_f32_e32 vcc_lo, 0, v11
	v_cndmask_b32_e32 v2, 1.0, v11, vcc_lo
	s_delay_alu instid0(VALU_DEP_3) | instskip(NEXT) | instid1(VALU_DEP_1)
	v_ashrrev_i32_e32 v1, 31, v0
	v_lshlrev_b64 v[0:1], 2, v[0:1]
	s_delay_alu instid0(VALU_DEP_1) | instskip(NEXT) | instid1(VALU_DEP_2)
	v_add_co_u32 v0, vcc_lo, s8, v0
	v_add_co_ci_u32_e32 v1, vcc_lo, s9, v1, vcc_lo
	.p2align	6
.LBB89_13:                              ; =>This Inner Loop Header: Depth=1
	global_load_b32 v3, v[0:1], off
	s_add_i32 s4, s4, -1
	s_delay_alu instid0(SALU_CYCLE_1) | instskip(SKIP_3) | instid1(VALU_DEP_2)
	s_cmp_lg_u32 s4, 0
	s_waitcnt vmcnt(0)
	v_div_scale_f32 v4, null, v2, v2, v3
	v_div_scale_f32 v7, vcc_lo, v3, v2, v3
	v_rcp_f32_e32 v5, v4
	s_waitcnt_depctr 0xfff
	v_fma_f32 v6, -v4, v5, 1.0
	s_delay_alu instid0(VALU_DEP_1) | instskip(NEXT) | instid1(VALU_DEP_1)
	v_fmac_f32_e32 v5, v6, v5
	v_mul_f32_e32 v6, v7, v5
	s_delay_alu instid0(VALU_DEP_1) | instskip(NEXT) | instid1(VALU_DEP_1)
	v_fma_f32 v8, -v4, v6, v7
	v_fmac_f32_e32 v6, v8, v5
	s_delay_alu instid0(VALU_DEP_1) | instskip(NEXT) | instid1(VALU_DEP_1)
	v_fma_f32 v4, -v4, v6, v7
	v_div_fmas_f32 v4, v4, v5, v6
	s_delay_alu instid0(VALU_DEP_1)
	v_div_fixup_f32 v3, v4, v2, v3
	global_store_b32 v[0:1], v3, off
	v_add_co_u32 v0, vcc_lo, v0, 4
	v_add_co_ci_u32_e32 v1, vcc_lo, 0, v1, vcc_lo
	s_cbranch_scc1 .LBB89_13
.LBB89_14:
	s_nop 0
	s_sendmsg sendmsg(MSG_DEALLOC_VGPRS)
	s_endpgm
	.section	.rodata,"a",@progbits
	.p2align	6, 0x0
	.amdhsa_kernel _ZN4vllm3moe10topkGatingILi2ELi2ELi4ELi4ELi64Ej6__halfLNS0_11ScoringFuncE0EEEvPKT5_PKbPfiPT4_PiiiibPKf
		.amdhsa_group_segment_fixed_size 0
		.amdhsa_private_segment_fixed_size 0
		.amdhsa_kernarg_size 72
		.amdhsa_user_sgpr_count 15
		.amdhsa_user_sgpr_dispatch_ptr 0
		.amdhsa_user_sgpr_queue_ptr 0
		.amdhsa_user_sgpr_kernarg_segment_ptr 1
		.amdhsa_user_sgpr_dispatch_id 0
		.amdhsa_user_sgpr_private_segment_size 0
		.amdhsa_wavefront_size32 1
		.amdhsa_uses_dynamic_stack 0
		.amdhsa_enable_private_segment 0
		.amdhsa_system_sgpr_workgroup_id_x 1
		.amdhsa_system_sgpr_workgroup_id_y 0
		.amdhsa_system_sgpr_workgroup_id_z 0
		.amdhsa_system_sgpr_workgroup_info 0
		.amdhsa_system_vgpr_workitem_id 1
		.amdhsa_next_free_vgpr 17
		.amdhsa_next_free_sgpr 16
		.amdhsa_reserve_vcc 1
		.amdhsa_float_round_mode_32 0
		.amdhsa_float_round_mode_16_64 0
		.amdhsa_float_denorm_mode_32 3
		.amdhsa_float_denorm_mode_16_64 3
		.amdhsa_dx10_clamp 1
		.amdhsa_ieee_mode 1
		.amdhsa_fp16_overflow 0
		.amdhsa_workgroup_processor_mode 1
		.amdhsa_memory_ordered 1
		.amdhsa_forward_progress 0
		.amdhsa_shared_vgpr_count 0
		.amdhsa_exception_fp_ieee_invalid_op 0
		.amdhsa_exception_fp_denorm_src 0
		.amdhsa_exception_fp_ieee_div_zero 0
		.amdhsa_exception_fp_ieee_overflow 0
		.amdhsa_exception_fp_ieee_underflow 0
		.amdhsa_exception_fp_ieee_inexact 0
		.amdhsa_exception_int_div_zero 0
	.end_amdhsa_kernel
	.section	.text._ZN4vllm3moe10topkGatingILi2ELi2ELi4ELi4ELi64Ej6__halfLNS0_11ScoringFuncE0EEEvPKT5_PKbPfiPT4_PiiiibPKf,"axG",@progbits,_ZN4vllm3moe10topkGatingILi2ELi2ELi4ELi4ELi64Ej6__halfLNS0_11ScoringFuncE0EEEvPKT5_PKbPfiPT4_PiiiibPKf,comdat
.Lfunc_end89:
	.size	_ZN4vllm3moe10topkGatingILi2ELi2ELi4ELi4ELi64Ej6__halfLNS0_11ScoringFuncE0EEEvPKT5_PKbPfiPT4_PiiiibPKf, .Lfunc_end89-_ZN4vllm3moe10topkGatingILi2ELi2ELi4ELi4ELi64Ej6__halfLNS0_11ScoringFuncE0EEEvPKT5_PKbPfiPT4_PiiiibPKf
                                        ; -- End function
	.section	.AMDGPU.csdata,"",@progbits
; Kernel info:
; codeLenInByte = 1224
; NumSgprs: 18
; NumVgprs: 17
; ScratchSize: 0
; MemoryBound: 0
; FloatMode: 240
; IeeeMode: 1
; LDSByteSize: 0 bytes/workgroup (compile time only)
; SGPRBlocks: 2
; VGPRBlocks: 2
; NumSGPRsForWavesPerEU: 18
; NumVGPRsForWavesPerEU: 17
; Occupancy: 16
; WaveLimiterHint : 0
; COMPUTE_PGM_RSRC2:SCRATCH_EN: 0
; COMPUTE_PGM_RSRC2:USER_SGPR: 15
; COMPUTE_PGM_RSRC2:TRAP_HANDLER: 0
; COMPUTE_PGM_RSRC2:TGID_X_EN: 1
; COMPUTE_PGM_RSRC2:TGID_Y_EN: 0
; COMPUTE_PGM_RSRC2:TGID_Z_EN: 0
; COMPUTE_PGM_RSRC2:TIDIG_COMP_CNT: 1
	.section	.text._ZN4vllm3moe10topkGatingILi2ELi2ELi4ELi4ELi32Ej6__halfLNS0_11ScoringFuncE0EEEvPKT5_PKbPfiPT4_PiiiibPKf,"axG",@progbits,_ZN4vllm3moe10topkGatingILi2ELi2ELi4ELi4ELi32Ej6__halfLNS0_11ScoringFuncE0EEEvPKT5_PKbPfiPT4_PiiiibPKf,comdat
	.protected	_ZN4vllm3moe10topkGatingILi2ELi2ELi4ELi4ELi32Ej6__halfLNS0_11ScoringFuncE0EEEvPKT5_PKbPfiPT4_PiiiibPKf ; -- Begin function _ZN4vllm3moe10topkGatingILi2ELi2ELi4ELi4ELi32Ej6__halfLNS0_11ScoringFuncE0EEEvPKT5_PKbPfiPT4_PiiiibPKf
	.globl	_ZN4vllm3moe10topkGatingILi2ELi2ELi4ELi4ELi32Ej6__halfLNS0_11ScoringFuncE0EEEvPKT5_PKbPfiPT4_PiiiibPKf
	.p2align	8
	.type	_ZN4vllm3moe10topkGatingILi2ELi2ELi4ELi4ELi32Ej6__halfLNS0_11ScoringFuncE0EEEvPKT5_PKbPfiPT4_PiiiibPKf,@function
_ZN4vllm3moe10topkGatingILi2ELi2ELi4ELi4ELi32Ej6__halfLNS0_11ScoringFuncE0EEEvPKT5_PKbPfiPT4_PiiiibPKf: ; @_ZN4vllm3moe10topkGatingILi2ELi2ELi4ELi4ELi32Ej6__halfLNS0_11ScoringFuncE0EEEvPKT5_PKbPfiPT4_PiiiibPKf
; %bb.0:
	s_load_b32 s10, s[0:1], 0x18
	v_bfe_u32 v1, v0, 10, 10
	v_and_b32_e32 v0, 0x3ff, v0
	s_lshl_b32 s2, s15, 7
	s_delay_alu instid0(VALU_DEP_2) | instskip(NEXT) | instid1(VALU_DEP_1)
	v_lshlrev_b32_e32 v1, 5, v1
	v_add3_u32 v10, v1, v0, s2
	s_mov_b32 s2, exec_lo
	s_waitcnt lgkmcnt(0)
	s_delay_alu instid0(VALU_DEP_1)
	v_cmpx_gt_i32_e64 s10, v10
	s_cbranch_execz .LBB90_14
; %bb.1:
	s_clause 0x1
	s_load_b128 s[4:7], s[0:1], 0x0
	s_load_b64 s[8:9], s[0:1], 0x10
	s_waitcnt lgkmcnt(0)
	s_cmp_eq_u64 s[6:7], 0
	s_cbranch_scc1 .LBB90_3
; %bb.2:
	v_ashrrev_i32_e32 v1, 31, v10
	v_add_co_u32 v0, vcc_lo, s6, v10
	s_delay_alu instid0(VALU_DEP_2) | instskip(SKIP_3) | instid1(VALU_DEP_1)
	v_add_co_ci_u32_e32 v1, vcc_lo, s7, v1, vcc_lo
	global_load_u8 v0, v[0:1], off
	s_waitcnt vmcnt(0)
	v_and_b32_e32 v0, 1, v0
	v_cmp_eq_u32_e32 vcc_lo, 1, v0
	s_xor_b32 s2, vcc_lo, -1
	s_delay_alu instid0(SALU_CYCLE_1)
	s_or_not1_b32 s11, s2, exec_lo
	s_branch .LBB90_4
.LBB90_3:
	s_mov_b32 s11, -1
.LBB90_4:
	v_lshlrev_b32_e32 v0, 1, v10
	s_load_b64 s[2:3], s[0:1], 0x40
	s_delay_alu instid0(VALU_DEP_1) | instskip(NEXT) | instid1(VALU_DEP_1)
	v_ashrrev_i32_e32 v1, 31, v0
	v_lshlrev_b64 v[0:1], 1, v[0:1]
	s_delay_alu instid0(VALU_DEP_1) | instskip(NEXT) | instid1(VALU_DEP_2)
	v_add_co_u32 v0, vcc_lo, s4, v0
	v_add_co_ci_u32_e32 v1, vcc_lo, s5, v1, vcc_lo
	s_waitcnt lgkmcnt(0)
	s_cmp_eq_u64 s[2:3], 0
	global_load_b32 v0, v[0:1], off
	s_waitcnt vmcnt(0)
	v_lshrrev_b32_e32 v1, 16, v0
	v_cvt_f32_f16_e32 v0, v0
	s_delay_alu instid0(VALU_DEP_2) | instskip(NEXT) | instid1(VALU_DEP_1)
	v_cvt_f32_f16_e32 v1, v1
	v_max_f32_e32 v2, v0, v1
	s_delay_alu instid0(VALU_DEP_1) | instskip(NEXT) | instid1(VALU_DEP_1)
	v_sub_f32_e32 v1, v1, v2
	v_mul_f32_e32 v3, 0x3fb8aa3b, v1
	s_delay_alu instid0(VALU_DEP_1) | instskip(SKIP_1) | instid1(VALU_DEP_2)
	v_rndne_f32_e32 v7, v3
	v_fma_f32 v6, 0x3fb8aa3b, v1, -v3
	v_dual_sub_f32 v3, v3, v7 :: v_dual_sub_f32 v0, v0, v2
	s_delay_alu instid0(VALU_DEP_1) | instskip(NEXT) | instid1(VALU_DEP_3)
	v_mul_f32_e32 v2, 0x3fb8aa3b, v0
	v_fmac_f32_e32 v6, 0x32a5705f, v1
	v_cmp_ngt_f32_e32 vcc_lo, 0xc2ce8ed0, v0
	s_delay_alu instid0(VALU_DEP_3) | instskip(SKIP_1) | instid1(VALU_DEP_2)
	v_fma_f32 v4, 0x3fb8aa3b, v0, -v2
	v_rndne_f32_e32 v5, v2
	v_dual_add_f32 v3, v3, v6 :: v_dual_fmac_f32 v4, 0x32a5705f, v0
	s_delay_alu instid0(VALU_DEP_2) | instskip(NEXT) | instid1(VALU_DEP_2)
	v_sub_f32_e32 v2, v2, v5
	v_exp_f32_e32 v3, v3
	s_delay_alu instid0(VALU_DEP_1) | instskip(SKIP_2) | instid1(VALU_DEP_3)
	v_add_f32_e32 v2, v2, v4
	v_cvt_i32_f32_e32 v4, v5
	v_cvt_i32_f32_e32 v5, v7
	v_exp_f32_e32 v2, v2
	s_waitcnt_depctr 0xfff
	v_ldexp_f32 v3, v3, v5
	v_ldexp_f32 v2, v2, v4
	s_delay_alu instid0(VALU_DEP_1) | instskip(SKIP_1) | instid1(VALU_DEP_4)
	v_cndmask_b32_e32 v2, 0, v2, vcc_lo
	v_cmp_ngt_f32_e32 vcc_lo, 0xc2ce8ed0, v1
	v_cndmask_b32_e32 v3, 0, v3, vcc_lo
	v_cmp_nlt_f32_e32 vcc_lo, 0x42b17218, v0
	s_delay_alu instid0(VALU_DEP_4) | instskip(SKIP_1) | instid1(VALU_DEP_4)
	v_cndmask_b32_e32 v0, 0x7f800000, v2, vcc_lo
	v_cmp_nlt_f32_e32 vcc_lo, 0x42b17218, v1
	v_cndmask_b32_e32 v1, 0x7f800000, v3, vcc_lo
	s_delay_alu instid0(VALU_DEP_1) | instskip(NEXT) | instid1(VALU_DEP_1)
	v_add_f32_e32 v2, v0, v1
	v_div_scale_f32 v3, null, v2, v2, 1.0
	v_div_scale_f32 v6, vcc_lo, 1.0, v2, 1.0
	s_delay_alu instid0(VALU_DEP_2) | instskip(SKIP_2) | instid1(VALU_DEP_1)
	v_rcp_f32_e32 v4, v3
	s_waitcnt_depctr 0xfff
	v_fma_f32 v5, -v3, v4, 1.0
	v_fmac_f32_e32 v4, v5, v4
	s_delay_alu instid0(VALU_DEP_1) | instskip(NEXT) | instid1(VALU_DEP_1)
	v_mul_f32_e32 v5, v6, v4
	v_fma_f32 v7, -v3, v5, v6
	s_delay_alu instid0(VALU_DEP_1) | instskip(NEXT) | instid1(VALU_DEP_1)
	v_fmac_f32_e32 v5, v7, v4
	v_fma_f32 v3, -v3, v5, v6
	s_delay_alu instid0(VALU_DEP_1) | instskip(NEXT) | instid1(VALU_DEP_1)
	v_div_fmas_f32 v3, v3, v4, v5
	v_div_fixup_f32 v2, v3, v2, 1.0
	s_delay_alu instid0(VALU_DEP_1) | instskip(SKIP_1) | instid1(VALU_DEP_1)
	v_mul_f32_e32 v1, v2, v1
	v_mul_f32_e32 v0, v2, v0
	v_cmp_class_f32_e64 vcc_lo, v0, 0x1f8
	v_cndmask_b32_e32 v0, 0, v0, vcc_lo
	s_delay_alu instid0(VALU_DEP_4) | instskip(SKIP_1) | instid1(VALU_DEP_1)
	v_cmp_class_f32_e64 vcc_lo, v1, 0x1f8
	v_cndmask_b32_e32 v1, 0, v1, vcc_lo
	v_dual_mov_b32 v3, v1 :: v_dual_mov_b32 v2, v0
	s_cbranch_scc1 .LBB90_6
; %bb.5:
	s_load_b64 s[2:3], s[2:3], 0x0
	s_waitcnt lgkmcnt(0)
	v_dual_add_f32 v2, s2, v0 :: v_dual_add_f32 v3, s3, v1
.LBB90_6:
	s_load_b128 s[4:7], s[0:1], 0x30
	s_waitcnt lgkmcnt(0)
	s_bitcmp1_b32 s7, 0
	s_cselect_b32 vcc_lo, -1, 0
	s_cmp_gt_i32 s4, 0
	s_cselect_b32 s3, -1, 0
	s_cmp_lt_i32 s4, 1
	s_cbranch_scc1 .LBB90_10
; %bb.7:
	v_mul_lo_u32 v4, v10, s4
	s_load_b128 s[12:15], s[0:1], 0x20
	v_dual_mov_b32 v11, 0 :: v_dual_mov_b32 v12, v10
	s_mov_b32 s7, 0
	s_delay_alu instid0(VALU_DEP_2) | instskip(NEXT) | instid1(VALU_DEP_1)
	v_ashrrev_i32_e32 v5, 31, v4
	v_lshlrev_b64 v[8:9], 2, v[4:5]
	s_delay_alu instid0(VALU_DEP_1) | instskip(NEXT) | instid1(VALU_DEP_1)
	v_add_co_u32 v4, s0, s8, v8
	v_add_co_ci_u32_e64 v5, s0, s9, v9, s0
	s_waitcnt lgkmcnt(0)
	v_add_co_u32 v6, s0, s12, v8
	s_delay_alu instid0(VALU_DEP_1) | instskip(SKIP_1) | instid1(VALU_DEP_1)
	v_add_co_ci_u32_e64 v7, s0, s13, v9, s0
	v_add_co_u32 v8, s0, s14, v8
	v_add_co_ci_u32_e64 v9, s0, s15, v9, s0
.LBB90_8:                               ; =>This Inner Loop Header: Depth=1
	v_cmp_gt_f32_e64 s0, v3, v2
	s_add_i32 s7, s7, 1
	s_delay_alu instid0(VALU_DEP_1) | instskip(SKIP_3) | instid1(VALU_DEP_4)
	v_cndmask_b32_e64 v14, 0, 1, s0
	v_cndmask_b32_e64 v13, v0, v1, s0
	;; [unrolled: 1-line block ×4, first 2 shown]
	v_cmp_le_i32_e64 s1, s5, v14
	v_cmp_gt_i32_e64 s2, s6, v14
	v_subrev_nc_u32_e32 v14, s5, v14
	global_store_b32 v[4:5], v13, off
	v_add_f32_e32 v13, v11, v13
	s_and_b32 s1, s1, s2
	s_delay_alu instid0(SALU_CYCLE_1)
	s_and_b32 s0, s11, s1
	s_cmp_lt_i32 s7, s4
	v_cndmask_b32_e64 v14, 2, v14, s0
	s_cselect_b32 s0, -1, 0
	s_cmp_eq_u32 s4, s7
	v_cndmask_b32_e64 v3, v3, v16, s0
	v_cndmask_b32_e64 v2, v2, v15, s0
	v_add_co_u32 v4, s0, v4, 4
	s_delay_alu instid0(VALU_DEP_1) | instskip(SKIP_4) | instid1(VALU_DEP_1)
	v_add_co_ci_u32_e64 v5, s0, 0, v5, s0
	global_store_b32 v[6:7], v14, off
	global_store_b32 v[8:9], v12, off
	v_add_nc_u32_e32 v12, s10, v12
	v_add_co_u32 v6, s0, v6, 4
	v_add_co_ci_u32_e64 v7, s0, 0, v7, s0
	v_add_co_u32 v8, s0, v8, 4
	v_cndmask_b32_e32 v11, v11, v13, vcc_lo
	v_add_co_ci_u32_e64 v9, s0, 0, v9, s0
	s_cbranch_scc0 .LBB90_8
; %bb.9:
	s_and_b32 vcc_lo, exec_lo, vcc_lo
	s_cbranch_vccnz .LBB90_11
	s_branch .LBB90_14
.LBB90_10:
	v_mov_b32_e32 v11, 0
	s_and_b32 vcc_lo, exec_lo, vcc_lo
	s_cbranch_vccz .LBB90_14
.LBB90_11:
	s_and_not1_b32 vcc_lo, exec_lo, s3
	s_cbranch_vccnz .LBB90_14
; %bb.12:
	v_mul_lo_u32 v0, v10, s4
	v_cmp_lt_f32_e32 vcc_lo, 0, v11
	v_cndmask_b32_e32 v2, 1.0, v11, vcc_lo
	s_delay_alu instid0(VALU_DEP_3) | instskip(NEXT) | instid1(VALU_DEP_1)
	v_ashrrev_i32_e32 v1, 31, v0
	v_lshlrev_b64 v[0:1], 2, v[0:1]
	s_delay_alu instid0(VALU_DEP_1) | instskip(NEXT) | instid1(VALU_DEP_2)
	v_add_co_u32 v0, vcc_lo, s8, v0
	v_add_co_ci_u32_e32 v1, vcc_lo, s9, v1, vcc_lo
	.p2align	6
.LBB90_13:                              ; =>This Inner Loop Header: Depth=1
	global_load_b32 v3, v[0:1], off
	s_add_i32 s4, s4, -1
	s_delay_alu instid0(SALU_CYCLE_1) | instskip(SKIP_3) | instid1(VALU_DEP_2)
	s_cmp_lg_u32 s4, 0
	s_waitcnt vmcnt(0)
	v_div_scale_f32 v4, null, v2, v2, v3
	v_div_scale_f32 v7, vcc_lo, v3, v2, v3
	v_rcp_f32_e32 v5, v4
	s_waitcnt_depctr 0xfff
	v_fma_f32 v6, -v4, v5, 1.0
	s_delay_alu instid0(VALU_DEP_1) | instskip(NEXT) | instid1(VALU_DEP_1)
	v_fmac_f32_e32 v5, v6, v5
	v_mul_f32_e32 v6, v7, v5
	s_delay_alu instid0(VALU_DEP_1) | instskip(NEXT) | instid1(VALU_DEP_1)
	v_fma_f32 v8, -v4, v6, v7
	v_fmac_f32_e32 v6, v8, v5
	s_delay_alu instid0(VALU_DEP_1) | instskip(NEXT) | instid1(VALU_DEP_1)
	v_fma_f32 v4, -v4, v6, v7
	v_div_fmas_f32 v4, v4, v5, v6
	s_delay_alu instid0(VALU_DEP_1)
	v_div_fixup_f32 v3, v4, v2, v3
	global_store_b32 v[0:1], v3, off
	v_add_co_u32 v0, vcc_lo, v0, 4
	v_add_co_ci_u32_e32 v1, vcc_lo, 0, v1, vcc_lo
	s_cbranch_scc1 .LBB90_13
.LBB90_14:
	s_nop 0
	s_sendmsg sendmsg(MSG_DEALLOC_VGPRS)
	s_endpgm
	.section	.rodata,"a",@progbits
	.p2align	6, 0x0
	.amdhsa_kernel _ZN4vllm3moe10topkGatingILi2ELi2ELi4ELi4ELi32Ej6__halfLNS0_11ScoringFuncE0EEEvPKT5_PKbPfiPT4_PiiiibPKf
		.amdhsa_group_segment_fixed_size 0
		.amdhsa_private_segment_fixed_size 0
		.amdhsa_kernarg_size 72
		.amdhsa_user_sgpr_count 15
		.amdhsa_user_sgpr_dispatch_ptr 0
		.amdhsa_user_sgpr_queue_ptr 0
		.amdhsa_user_sgpr_kernarg_segment_ptr 1
		.amdhsa_user_sgpr_dispatch_id 0
		.amdhsa_user_sgpr_private_segment_size 0
		.amdhsa_wavefront_size32 1
		.amdhsa_uses_dynamic_stack 0
		.amdhsa_enable_private_segment 0
		.amdhsa_system_sgpr_workgroup_id_x 1
		.amdhsa_system_sgpr_workgroup_id_y 0
		.amdhsa_system_sgpr_workgroup_id_z 0
		.amdhsa_system_sgpr_workgroup_info 0
		.amdhsa_system_vgpr_workitem_id 1
		.amdhsa_next_free_vgpr 17
		.amdhsa_next_free_sgpr 16
		.amdhsa_reserve_vcc 1
		.amdhsa_float_round_mode_32 0
		.amdhsa_float_round_mode_16_64 0
		.amdhsa_float_denorm_mode_32 3
		.amdhsa_float_denorm_mode_16_64 3
		.amdhsa_dx10_clamp 1
		.amdhsa_ieee_mode 1
		.amdhsa_fp16_overflow 0
		.amdhsa_workgroup_processor_mode 1
		.amdhsa_memory_ordered 1
		.amdhsa_forward_progress 0
		.amdhsa_shared_vgpr_count 0
		.amdhsa_exception_fp_ieee_invalid_op 0
		.amdhsa_exception_fp_denorm_src 0
		.amdhsa_exception_fp_ieee_div_zero 0
		.amdhsa_exception_fp_ieee_overflow 0
		.amdhsa_exception_fp_ieee_underflow 0
		.amdhsa_exception_fp_ieee_inexact 0
		.amdhsa_exception_int_div_zero 0
	.end_amdhsa_kernel
	.section	.text._ZN4vllm3moe10topkGatingILi2ELi2ELi4ELi4ELi32Ej6__halfLNS0_11ScoringFuncE0EEEvPKT5_PKbPfiPT4_PiiiibPKf,"axG",@progbits,_ZN4vllm3moe10topkGatingILi2ELi2ELi4ELi4ELi32Ej6__halfLNS0_11ScoringFuncE0EEEvPKT5_PKbPfiPT4_PiiiibPKf,comdat
.Lfunc_end90:
	.size	_ZN4vllm3moe10topkGatingILi2ELi2ELi4ELi4ELi32Ej6__halfLNS0_11ScoringFuncE0EEEvPKT5_PKbPfiPT4_PiiiibPKf, .Lfunc_end90-_ZN4vllm3moe10topkGatingILi2ELi2ELi4ELi4ELi32Ej6__halfLNS0_11ScoringFuncE0EEEvPKT5_PKbPfiPT4_PiiiibPKf
                                        ; -- End function
	.section	.AMDGPU.csdata,"",@progbits
; Kernel info:
; codeLenInByte = 1224
; NumSgprs: 18
; NumVgprs: 17
; ScratchSize: 0
; MemoryBound: 0
; FloatMode: 240
; IeeeMode: 1
; LDSByteSize: 0 bytes/workgroup (compile time only)
; SGPRBlocks: 2
; VGPRBlocks: 2
; NumSGPRsForWavesPerEU: 18
; NumVGPRsForWavesPerEU: 17
; Occupancy: 16
; WaveLimiterHint : 0
; COMPUTE_PGM_RSRC2:SCRATCH_EN: 0
; COMPUTE_PGM_RSRC2:USER_SGPR: 15
; COMPUTE_PGM_RSRC2:TRAP_HANDLER: 0
; COMPUTE_PGM_RSRC2:TGID_X_EN: 1
; COMPUTE_PGM_RSRC2:TGID_Y_EN: 0
; COMPUTE_PGM_RSRC2:TGID_Z_EN: 0
; COMPUTE_PGM_RSRC2:TIDIG_COMP_CNT: 1
	.section	.text._ZN4vllm3moe10topkGatingILi4ELi4ELi4ELi8ELi64Ej6__halfLNS0_11ScoringFuncE0EEEvPKT5_PKbPfiPT4_PiiiibPKf,"axG",@progbits,_ZN4vllm3moe10topkGatingILi4ELi4ELi4ELi8ELi64Ej6__halfLNS0_11ScoringFuncE0EEEvPKT5_PKbPfiPT4_PiiiibPKf,comdat
	.protected	_ZN4vllm3moe10topkGatingILi4ELi4ELi4ELi8ELi64Ej6__halfLNS0_11ScoringFuncE0EEEvPKT5_PKbPfiPT4_PiiiibPKf ; -- Begin function _ZN4vllm3moe10topkGatingILi4ELi4ELi4ELi8ELi64Ej6__halfLNS0_11ScoringFuncE0EEEvPKT5_PKbPfiPT4_PiiiibPKf
	.globl	_ZN4vllm3moe10topkGatingILi4ELi4ELi4ELi8ELi64Ej6__halfLNS0_11ScoringFuncE0EEEvPKT5_PKbPfiPT4_PiiiibPKf
	.p2align	8
	.type	_ZN4vllm3moe10topkGatingILi4ELi4ELi4ELi8ELi64Ej6__halfLNS0_11ScoringFuncE0EEEvPKT5_PKbPfiPT4_PiiiibPKf,@function
_ZN4vllm3moe10topkGatingILi4ELi4ELi4ELi8ELi64Ej6__halfLNS0_11ScoringFuncE0EEEvPKT5_PKbPfiPT4_PiiiibPKf: ; @_ZN4vllm3moe10topkGatingILi4ELi4ELi4ELi8ELi64Ej6__halfLNS0_11ScoringFuncE0EEEvPKT5_PKbPfiPT4_PiiiibPKf
; %bb.0:
	s_load_b32 s10, s[0:1], 0x18
	v_bfe_u32 v1, v0, 10, 10
	v_and_b32_e32 v0, 0x3ff, v0
	s_lshl_b32 s2, s15, 8
	s_delay_alu instid0(VALU_DEP_2) | instskip(NEXT) | instid1(VALU_DEP_1)
	v_lshlrev_b32_e32 v1, 6, v1
	v_add3_u32 v14, v1, v0, s2
	s_mov_b32 s2, exec_lo
	s_waitcnt lgkmcnt(0)
	s_delay_alu instid0(VALU_DEP_1)
	v_cmpx_gt_i32_e64 s10, v14
	s_cbranch_execz .LBB91_15
; %bb.1:
	s_clause 0x1
	s_load_b128 s[4:7], s[0:1], 0x0
	s_load_b64 s[8:9], s[0:1], 0x10
	s_mov_b32 s12, -1
	s_mov_b32 s11, -1
	s_waitcnt lgkmcnt(0)
	s_cmp_eq_u64 s[6:7], 0
	s_cbranch_scc1 .LBB91_3
; %bb.2:
	v_ashrrev_i32_e32 v1, 31, v14
	v_add_co_u32 v0, vcc_lo, s6, v14
	s_delay_alu instid0(VALU_DEP_2) | instskip(SKIP_3) | instid1(VALU_DEP_1)
	v_add_co_ci_u32_e32 v1, vcc_lo, s7, v1, vcc_lo
	global_load_u8 v0, v[0:1], off
	s_waitcnt vmcnt(0)
	v_and_b32_e32 v0, 1, v0
	v_cmp_eq_u32_e32 vcc_lo, 1, v0
	s_xor_b32 s2, vcc_lo, -1
	s_delay_alu instid0(SALU_CYCLE_1)
	s_or_not1_b32 s11, s2, exec_lo
.LBB91_3:
	v_lshlrev_b32_e32 v0, 2, v14
	s_load_b64 s[2:3], s[0:1], 0x40
	s_delay_alu instid0(VALU_DEP_1) | instskip(NEXT) | instid1(VALU_DEP_1)
	v_ashrrev_i32_e32 v1, 31, v0
	v_lshlrev_b64 v[0:1], 1, v[0:1]
	s_delay_alu instid0(VALU_DEP_1) | instskip(NEXT) | instid1(VALU_DEP_2)
	v_add_co_u32 v0, vcc_lo, s4, v0
	v_add_co_ci_u32_e32 v1, vcc_lo, s5, v1, vcc_lo
	s_waitcnt lgkmcnt(0)
	s_cmp_eq_u64 s[2:3], 0
	global_load_b64 v[0:1], v[0:1], off
	s_waitcnt vmcnt(0)
	v_lshrrev_b32_e32 v2, 16, v0
	v_cvt_f32_f16_e32 v0, v0
	v_lshrrev_b32_e32 v3, 16, v1
	v_cvt_f32_f16_e32 v1, v1
	s_delay_alu instid0(VALU_DEP_4) | instskip(NEXT) | instid1(VALU_DEP_3)
	v_cvt_f32_f16_e32 v2, v2
	v_cvt_f32_f16_e32 v3, v3
	s_delay_alu instid0(VALU_DEP_2) | instskip(NEXT) | instid1(VALU_DEP_1)
	v_max_f32_e32 v4, v0, v2
	v_max3_f32 v4, v4, v1, v3
	s_delay_alu instid0(VALU_DEP_1) | instskip(SKIP_3) | instid1(VALU_DEP_4)
	v_sub_f32_e32 v2, v2, v4
	v_sub_f32_e32 v0, v0, v4
	;; [unrolled: 1-line block ×4, first 2 shown]
	v_mul_f32_e32 v5, 0x3fb8aa3b, v2
	s_delay_alu instid0(VALU_DEP_4) | instskip(NEXT) | instid1(VALU_DEP_3)
	v_cmp_ngt_f32_e32 vcc_lo, 0xc2ce8ed0, v0
	v_dual_mul_f32 v6, 0x3fb8aa3b, v1 :: v_dual_mul_f32 v7, 0x3fb8aa3b, v3
	s_delay_alu instid0(VALU_DEP_3) | instskip(SKIP_1) | instid1(VALU_DEP_3)
	v_fma_f32 v10, 0x3fb8aa3b, v2, -v5
	v_rndne_f32_e32 v11, v5
	v_fma_f32 v12, 0x3fb8aa3b, v1, -v6
	s_delay_alu instid0(VALU_DEP_4)
	v_fma_f32 v15, 0x3fb8aa3b, v3, -v7
	v_rndne_f32_e32 v16, v7
	v_rndne_f32_e32 v13, v6
	v_dual_sub_f32 v5, v5, v11 :: v_dual_fmac_f32 v10, 0x32a5705f, v2
	v_mul_f32_e32 v4, 0x3fb8aa3b, v0
	v_fmac_f32_e32 v12, 0x32a5705f, v1
	s_delay_alu instid0(VALU_DEP_4) | instskip(NEXT) | instid1(VALU_DEP_4)
	v_dual_sub_f32 v6, v6, v13 :: v_dual_fmac_f32 v15, 0x32a5705f, v3
	v_add_f32_e32 v5, v5, v10
	s_delay_alu instid0(VALU_DEP_4)
	v_fma_f32 v8, 0x3fb8aa3b, v0, -v4
	v_rndne_f32_e32 v9, v4
	v_sub_f32_e32 v7, v7, v16
	v_add_f32_e32 v6, v6, v12
	v_exp_f32_e32 v5, v5
	v_fmac_f32_e32 v8, 0x32a5705f, v0
	v_sub_f32_e32 v4, v4, v9
	v_cvt_i32_f32_e32 v10, v13
	v_exp_f32_e32 v6, v6
	s_delay_alu instid0(VALU_DEP_2) | instskip(SKIP_2) | instid1(VALU_DEP_3)
	v_dual_add_f32 v7, v7, v15 :: v_dual_add_f32 v4, v4, v8
	v_cvt_i32_f32_e32 v8, v9
	v_cvt_i32_f32_e32 v9, v11
	v_exp_f32_e32 v7, v7
	v_cvt_i32_f32_e32 v11, v16
	v_exp_f32_e32 v4, v4
	s_delay_alu instid0(VALU_DEP_2) | instskip(NEXT) | instid1(TRANS32_DEP_3)
	v_ldexp_f32 v5, v5, v9
	v_ldexp_f32 v6, v6, v10
	s_waitcnt_depctr 0xfff
	v_ldexp_f32 v7, v7, v11
	v_ldexp_f32 v4, v4, v8
	s_delay_alu instid0(VALU_DEP_1)
	v_cndmask_b32_e32 v4, 0, v4, vcc_lo
	v_cmp_ngt_f32_e32 vcc_lo, 0xc2ce8ed0, v2
	v_cndmask_b32_e32 v5, 0, v5, vcc_lo
	v_cmp_ngt_f32_e32 vcc_lo, 0xc2ce8ed0, v1
	v_cndmask_b32_e32 v6, 0, v6, vcc_lo
	v_cmp_nlt_f32_e32 vcc_lo, 0x42b17218, v0
	v_cndmask_b32_e32 v0, 0x7f800000, v4, vcc_lo
	v_cmp_nlt_f32_e32 vcc_lo, 0x42b17218, v2
	v_cndmask_b32_e32 v2, 0x7f800000, v5, vcc_lo
	v_cmp_ngt_f32_e32 vcc_lo, 0xc2ce8ed0, v3
	s_delay_alu instid0(VALU_DEP_2) | instskip(SKIP_3) | instid1(VALU_DEP_2)
	v_dual_add_f32 v5, v0, v2 :: v_dual_cndmask_b32 v4, 0, v7
	v_cmp_nlt_f32_e32 vcc_lo, 0x42b17218, v1
	v_cndmask_b32_e32 v1, 0x7f800000, v6, vcc_lo
	v_cmp_nlt_f32_e32 vcc_lo, 0x42b17218, v3
	v_dual_cndmask_b32 v3, 0x7f800000, v4 :: v_dual_add_f32 v4, v5, v1
	s_delay_alu instid0(VALU_DEP_1) | instskip(NEXT) | instid1(VALU_DEP_1)
	v_add_f32_e32 v4, v4, v3
	v_div_scale_f32 v5, null, v4, v4, 1.0
	v_div_scale_f32 v8, vcc_lo, 1.0, v4, 1.0
	s_delay_alu instid0(VALU_DEP_2) | instskip(SKIP_2) | instid1(VALU_DEP_1)
	v_rcp_f32_e32 v6, v5
	s_waitcnt_depctr 0xfff
	v_fma_f32 v7, -v5, v6, 1.0
	v_fmac_f32_e32 v6, v7, v6
	s_delay_alu instid0(VALU_DEP_1) | instskip(NEXT) | instid1(VALU_DEP_1)
	v_mul_f32_e32 v7, v8, v6
	v_fma_f32 v9, -v5, v7, v8
	s_delay_alu instid0(VALU_DEP_1) | instskip(NEXT) | instid1(VALU_DEP_1)
	v_fmac_f32_e32 v7, v9, v6
	v_fma_f32 v5, -v5, v7, v8
	s_delay_alu instid0(VALU_DEP_1) | instskip(NEXT) | instid1(VALU_DEP_1)
	v_div_fmas_f32 v5, v5, v6, v7
	v_div_fixup_f32 v4, v5, v4, 1.0
	s_delay_alu instid0(VALU_DEP_1) | instskip(SKIP_3) | instid1(VALU_DEP_4)
	v_mul_f32_e32 v0, v4, v0
	v_mul_f32_e32 v2, v4, v2
	;; [unrolled: 1-line block ×4, first 2 shown]
	v_cmp_class_f32_e64 vcc_lo, v0, 0x1f8
	v_cndmask_b32_e32 v0, 0, v0, vcc_lo
	v_cmp_class_f32_e64 vcc_lo, v2, 0x1f8
	v_cndmask_b32_e32 v1, 0, v2, vcc_lo
	v_cmp_class_f32_e64 vcc_lo, v5, 0x1f8
	v_cndmask_b32_e32 v2, 0, v5, vcc_lo
	v_cmp_class_f32_e64 vcc_lo, v3, 0x1f8
	v_cndmask_b32_e32 v3, 0, v3, vcc_lo
	s_cbranch_scc1 .LBB91_10
; %bb.4:
	s_load_b128 s[4:7], s[2:3], 0x0
	s_waitcnt lgkmcnt(0)
	v_dual_add_f32 v4, s4, v0 :: v_dual_add_f32 v5, s5, v1
	v_dual_add_f32 v6, s6, v2 :: v_dual_add_f32 v7, s7, v3
	s_cbranch_execnz .LBB91_6
.LBB91_5:
	v_dual_mov_b32 v7, v3 :: v_dual_mov_b32 v6, v2
	v_dual_mov_b32 v5, v1 :: v_dual_mov_b32 v4, v0
.LBB91_6:
	s_load_b128 s[4:7], s[0:1], 0x30
	s_waitcnt lgkmcnt(0)
	s_bitcmp1_b32 s7, 0
	s_mov_b32 s7, 0
	s_cselect_b32 vcc_lo, -1, 0
	s_cmp_gt_i32 s4, 0
	s_cselect_b32 s3, -1, 0
	s_cmp_lt_i32 s4, 1
	s_cbranch_scc1 .LBB91_11
; %bb.7:
	v_mul_lo_u32 v8, v14, s4
	s_load_b128 s[12:15], s[0:1], 0x20
	v_dual_mov_b32 v15, 0 :: v_dual_mov_b32 v16, v14
	s_delay_alu instid0(VALU_DEP_2) | instskip(NEXT) | instid1(VALU_DEP_1)
	v_ashrrev_i32_e32 v9, 31, v8
	v_lshlrev_b64 v[12:13], 2, v[8:9]
	s_delay_alu instid0(VALU_DEP_1) | instskip(NEXT) | instid1(VALU_DEP_1)
	v_add_co_u32 v8, s0, s8, v12
	v_add_co_ci_u32_e64 v9, s0, s9, v13, s0
	s_waitcnt lgkmcnt(0)
	v_add_co_u32 v10, s0, s12, v12
	s_delay_alu instid0(VALU_DEP_1) | instskip(SKIP_1) | instid1(VALU_DEP_1)
	v_add_co_ci_u32_e64 v11, s0, s13, v13, s0
	v_add_co_u32 v12, s0, s14, v12
	v_add_co_ci_u32_e64 v13, s0, s15, v13, s0
.LBB91_8:                               ; =>This Inner Loop Header: Depth=1
	v_cmp_gt_f32_e64 s0, v5, v4
	s_add_i32 s7, s7, 1
	s_delay_alu instid0(VALU_DEP_1) | instskip(SKIP_2) | instid1(VALU_DEP_3)
	v_cndmask_b32_e64 v17, v4, v5, s0
	v_cndmask_b32_e64 v18, v0, v1, s0
	;; [unrolled: 1-line block ×3, first 2 shown]
	v_cmp_gt_f32_e64 s1, v6, v17
	s_delay_alu instid0(VALU_DEP_1) | instskip(NEXT) | instid1(VALU_DEP_4)
	v_cndmask_b32_e64 v17, v17, v6, s1
	v_cndmask_b32_e64 v18, v18, v2, s1
	s_delay_alu instid0(VALU_DEP_4) | instskip(NEXT) | instid1(VALU_DEP_3)
	v_cndmask_b32_e64 v19, v19, 2, s1
	v_cmp_gt_f32_e64 s0, v7, v17
	s_delay_alu instid0(VALU_DEP_1) | instskip(NEXT) | instid1(VALU_DEP_3)
	v_cndmask_b32_e64 v17, v18, v3, s0
	v_cndmask_b32_e64 v18, v19, 3, s0
	global_store_b32 v[8:9], v17, off
	v_cmp_le_i32_e64 s0, s5, v18
	v_cmp_gt_i32_e64 s1, s6, v18
	v_subrev_nc_u32_e32 v19, s5, v18
	v_cmp_ne_u32_e64 s2, 0, v18
	v_add_f32_e32 v17, v15, v17
	s_delay_alu instid0(VALU_DEP_4) | instskip(SKIP_1) | instid1(VALU_DEP_3)
	s_and_b32 s1, s0, s1
	v_cmp_ne_u32_e64 s0, 2, v18
	v_cndmask_b32_e64 v20, 0xc61c4000, v4, s2
	v_cmp_ne_u32_e64 s2, 1, v18
	s_delay_alu instid0(VALU_DEP_3) | instskip(SKIP_1) | instid1(VALU_DEP_2)
	v_cndmask_b32_e64 v22, 0xc61c4000, v6, s0
	s_and_b32 s0, s11, s1
	v_cndmask_b32_e64 v21, 0xc61c4000, v5, s2
	v_cndmask_b32_e64 v19, 4, v19, s0
	v_cmp_ne_u32_e64 s0, 3, v18
	s_cmp_lt_i32 s7, s4
	global_store_b32 v[10:11], v19, off
	global_store_b32 v[12:13], v16, off
	v_add_nc_u32_e32 v16, s10, v16
	v_cndmask_b32_e64 v18, 0xc61c4000, v7, s0
	s_cselect_b32 s0, -1, 0
	v_cndmask_b32_e32 v15, v15, v17, vcc_lo
	v_cndmask_b32_e64 v6, v6, v22, s0
	v_cndmask_b32_e64 v5, v5, v21, s0
	;; [unrolled: 1-line block ×4, first 2 shown]
	v_add_co_u32 v8, s0, v8, 4
	s_delay_alu instid0(VALU_DEP_1) | instskip(SKIP_1) | instid1(VALU_DEP_1)
	v_add_co_ci_u32_e64 v9, s0, 0, v9, s0
	v_add_co_u32 v10, s0, v10, 4
	v_add_co_ci_u32_e64 v11, s0, 0, v11, s0
	v_add_co_u32 v12, s0, v12, 4
	s_delay_alu instid0(VALU_DEP_1)
	v_add_co_ci_u32_e64 v13, s0, 0, v13, s0
	s_cmp_eq_u32 s4, s7
	s_cbranch_scc0 .LBB91_8
; %bb.9:
	s_and_b32 vcc_lo, exec_lo, vcc_lo
	s_cbranch_vccnz .LBB91_12
	s_branch .LBB91_15
.LBB91_10:
                                        ; implicit-def: $vgpr4_vgpr5_vgpr6_vgpr7
	s_and_not1_b32 vcc_lo, exec_lo, s12
	s_cbranch_vccz .LBB91_5
	s_branch .LBB91_6
.LBB91_11:
	v_mov_b32_e32 v15, 0
	s_and_b32 vcc_lo, exec_lo, vcc_lo
	s_cbranch_vccz .LBB91_15
.LBB91_12:
	s_and_not1_b32 vcc_lo, exec_lo, s3
	s_cbranch_vccnz .LBB91_15
; %bb.13:
	v_mul_lo_u32 v0, v14, s4
	v_cmp_lt_f32_e32 vcc_lo, 0, v15
	v_cndmask_b32_e32 v2, 1.0, v15, vcc_lo
	s_delay_alu instid0(VALU_DEP_3) | instskip(NEXT) | instid1(VALU_DEP_1)
	v_ashrrev_i32_e32 v1, 31, v0
	v_lshlrev_b64 v[0:1], 2, v[0:1]
	s_delay_alu instid0(VALU_DEP_1) | instskip(NEXT) | instid1(VALU_DEP_2)
	v_add_co_u32 v0, vcc_lo, s8, v0
	v_add_co_ci_u32_e32 v1, vcc_lo, s9, v1, vcc_lo
	.p2align	6
.LBB91_14:                              ; =>This Inner Loop Header: Depth=1
	global_load_b32 v3, v[0:1], off
	s_add_i32 s4, s4, -1
	s_delay_alu instid0(SALU_CYCLE_1) | instskip(SKIP_3) | instid1(VALU_DEP_2)
	s_cmp_lg_u32 s4, 0
	s_waitcnt vmcnt(0)
	v_div_scale_f32 v4, null, v2, v2, v3
	v_div_scale_f32 v7, vcc_lo, v3, v2, v3
	v_rcp_f32_e32 v5, v4
	s_waitcnt_depctr 0xfff
	v_fma_f32 v6, -v4, v5, 1.0
	s_delay_alu instid0(VALU_DEP_1) | instskip(NEXT) | instid1(VALU_DEP_1)
	v_fmac_f32_e32 v5, v6, v5
	v_mul_f32_e32 v6, v7, v5
	s_delay_alu instid0(VALU_DEP_1) | instskip(NEXT) | instid1(VALU_DEP_1)
	v_fma_f32 v8, -v4, v6, v7
	v_fmac_f32_e32 v6, v8, v5
	s_delay_alu instid0(VALU_DEP_1) | instskip(NEXT) | instid1(VALU_DEP_1)
	v_fma_f32 v4, -v4, v6, v7
	v_div_fmas_f32 v4, v4, v5, v6
	s_delay_alu instid0(VALU_DEP_1)
	v_div_fixup_f32 v3, v4, v2, v3
	global_store_b32 v[0:1], v3, off
	v_add_co_u32 v0, vcc_lo, v0, 4
	v_add_co_ci_u32_e32 v1, vcc_lo, 0, v1, vcc_lo
	s_cbranch_scc1 .LBB91_14
.LBB91_15:
	s_nop 0
	s_sendmsg sendmsg(MSG_DEALLOC_VGPRS)
	s_endpgm
	.section	.rodata,"a",@progbits
	.p2align	6, 0x0
	.amdhsa_kernel _ZN4vllm3moe10topkGatingILi4ELi4ELi4ELi8ELi64Ej6__halfLNS0_11ScoringFuncE0EEEvPKT5_PKbPfiPT4_PiiiibPKf
		.amdhsa_group_segment_fixed_size 0
		.amdhsa_private_segment_fixed_size 0
		.amdhsa_kernarg_size 72
		.amdhsa_user_sgpr_count 15
		.amdhsa_user_sgpr_dispatch_ptr 0
		.amdhsa_user_sgpr_queue_ptr 0
		.amdhsa_user_sgpr_kernarg_segment_ptr 1
		.amdhsa_user_sgpr_dispatch_id 0
		.amdhsa_user_sgpr_private_segment_size 0
		.amdhsa_wavefront_size32 1
		.amdhsa_uses_dynamic_stack 0
		.amdhsa_enable_private_segment 0
		.amdhsa_system_sgpr_workgroup_id_x 1
		.amdhsa_system_sgpr_workgroup_id_y 0
		.amdhsa_system_sgpr_workgroup_id_z 0
		.amdhsa_system_sgpr_workgroup_info 0
		.amdhsa_system_vgpr_workitem_id 1
		.amdhsa_next_free_vgpr 23
		.amdhsa_next_free_sgpr 16
		.amdhsa_reserve_vcc 1
		.amdhsa_float_round_mode_32 0
		.amdhsa_float_round_mode_16_64 0
		.amdhsa_float_denorm_mode_32 3
		.amdhsa_float_denorm_mode_16_64 3
		.amdhsa_dx10_clamp 1
		.amdhsa_ieee_mode 1
		.amdhsa_fp16_overflow 0
		.amdhsa_workgroup_processor_mode 1
		.amdhsa_memory_ordered 1
		.amdhsa_forward_progress 0
		.amdhsa_shared_vgpr_count 0
		.amdhsa_exception_fp_ieee_invalid_op 0
		.amdhsa_exception_fp_denorm_src 0
		.amdhsa_exception_fp_ieee_div_zero 0
		.amdhsa_exception_fp_ieee_overflow 0
		.amdhsa_exception_fp_ieee_underflow 0
		.amdhsa_exception_fp_ieee_inexact 0
		.amdhsa_exception_int_div_zero 0
	.end_amdhsa_kernel
	.section	.text._ZN4vllm3moe10topkGatingILi4ELi4ELi4ELi8ELi64Ej6__halfLNS0_11ScoringFuncE0EEEvPKT5_PKbPfiPT4_PiiiibPKf,"axG",@progbits,_ZN4vllm3moe10topkGatingILi4ELi4ELi4ELi8ELi64Ej6__halfLNS0_11ScoringFuncE0EEEvPKT5_PKbPfiPT4_PiiiibPKf,comdat
.Lfunc_end91:
	.size	_ZN4vllm3moe10topkGatingILi4ELi4ELi4ELi8ELi64Ej6__halfLNS0_11ScoringFuncE0EEEvPKT5_PKbPfiPT4_PiiiibPKf, .Lfunc_end91-_ZN4vllm3moe10topkGatingILi4ELi4ELi4ELi8ELi64Ej6__halfLNS0_11ScoringFuncE0EEEvPKT5_PKbPfiPT4_PiiiibPKf
                                        ; -- End function
	.section	.AMDGPU.csdata,"",@progbits
; Kernel info:
; codeLenInByte = 1660
; NumSgprs: 18
; NumVgprs: 23
; ScratchSize: 0
; MemoryBound: 0
; FloatMode: 240
; IeeeMode: 1
; LDSByteSize: 0 bytes/workgroup (compile time only)
; SGPRBlocks: 2
; VGPRBlocks: 2
; NumSGPRsForWavesPerEU: 18
; NumVGPRsForWavesPerEU: 23
; Occupancy: 16
; WaveLimiterHint : 0
; COMPUTE_PGM_RSRC2:SCRATCH_EN: 0
; COMPUTE_PGM_RSRC2:USER_SGPR: 15
; COMPUTE_PGM_RSRC2:TRAP_HANDLER: 0
; COMPUTE_PGM_RSRC2:TGID_X_EN: 1
; COMPUTE_PGM_RSRC2:TGID_Y_EN: 0
; COMPUTE_PGM_RSRC2:TGID_Z_EN: 0
; COMPUTE_PGM_RSRC2:TIDIG_COMP_CNT: 1
	.section	.text._ZN4vllm3moe10topkGatingILi4ELi4ELi4ELi8ELi32Ej6__halfLNS0_11ScoringFuncE0EEEvPKT5_PKbPfiPT4_PiiiibPKf,"axG",@progbits,_ZN4vllm3moe10topkGatingILi4ELi4ELi4ELi8ELi32Ej6__halfLNS0_11ScoringFuncE0EEEvPKT5_PKbPfiPT4_PiiiibPKf,comdat
	.protected	_ZN4vllm3moe10topkGatingILi4ELi4ELi4ELi8ELi32Ej6__halfLNS0_11ScoringFuncE0EEEvPKT5_PKbPfiPT4_PiiiibPKf ; -- Begin function _ZN4vllm3moe10topkGatingILi4ELi4ELi4ELi8ELi32Ej6__halfLNS0_11ScoringFuncE0EEEvPKT5_PKbPfiPT4_PiiiibPKf
	.globl	_ZN4vllm3moe10topkGatingILi4ELi4ELi4ELi8ELi32Ej6__halfLNS0_11ScoringFuncE0EEEvPKT5_PKbPfiPT4_PiiiibPKf
	.p2align	8
	.type	_ZN4vllm3moe10topkGatingILi4ELi4ELi4ELi8ELi32Ej6__halfLNS0_11ScoringFuncE0EEEvPKT5_PKbPfiPT4_PiiiibPKf,@function
_ZN4vllm3moe10topkGatingILi4ELi4ELi4ELi8ELi32Ej6__halfLNS0_11ScoringFuncE0EEEvPKT5_PKbPfiPT4_PiiiibPKf: ; @_ZN4vllm3moe10topkGatingILi4ELi4ELi4ELi8ELi32Ej6__halfLNS0_11ScoringFuncE0EEEvPKT5_PKbPfiPT4_PiiiibPKf
; %bb.0:
	s_load_b32 s10, s[0:1], 0x18
	v_bfe_u32 v1, v0, 10, 10
	v_and_b32_e32 v0, 0x3ff, v0
	s_lshl_b32 s2, s15, 7
	s_delay_alu instid0(VALU_DEP_2) | instskip(NEXT) | instid1(VALU_DEP_1)
	v_lshlrev_b32_e32 v1, 5, v1
	v_add3_u32 v14, v1, v0, s2
	s_mov_b32 s2, exec_lo
	s_waitcnt lgkmcnt(0)
	s_delay_alu instid0(VALU_DEP_1)
	v_cmpx_gt_i32_e64 s10, v14
	s_cbranch_execz .LBB92_15
; %bb.1:
	s_clause 0x1
	s_load_b128 s[4:7], s[0:1], 0x0
	s_load_b64 s[8:9], s[0:1], 0x10
	s_mov_b32 s12, -1
	s_mov_b32 s11, -1
	s_waitcnt lgkmcnt(0)
	s_cmp_eq_u64 s[6:7], 0
	s_cbranch_scc1 .LBB92_3
; %bb.2:
	v_ashrrev_i32_e32 v1, 31, v14
	v_add_co_u32 v0, vcc_lo, s6, v14
	s_delay_alu instid0(VALU_DEP_2) | instskip(SKIP_3) | instid1(VALU_DEP_1)
	v_add_co_ci_u32_e32 v1, vcc_lo, s7, v1, vcc_lo
	global_load_u8 v0, v[0:1], off
	s_waitcnt vmcnt(0)
	v_and_b32_e32 v0, 1, v0
	v_cmp_eq_u32_e32 vcc_lo, 1, v0
	s_xor_b32 s2, vcc_lo, -1
	s_delay_alu instid0(SALU_CYCLE_1)
	s_or_not1_b32 s11, s2, exec_lo
.LBB92_3:
	v_lshlrev_b32_e32 v0, 2, v14
	s_load_b64 s[2:3], s[0:1], 0x40
	s_delay_alu instid0(VALU_DEP_1) | instskip(NEXT) | instid1(VALU_DEP_1)
	v_ashrrev_i32_e32 v1, 31, v0
	v_lshlrev_b64 v[0:1], 1, v[0:1]
	s_delay_alu instid0(VALU_DEP_1) | instskip(NEXT) | instid1(VALU_DEP_2)
	v_add_co_u32 v0, vcc_lo, s4, v0
	v_add_co_ci_u32_e32 v1, vcc_lo, s5, v1, vcc_lo
	s_waitcnt lgkmcnt(0)
	s_cmp_eq_u64 s[2:3], 0
	global_load_b64 v[0:1], v[0:1], off
	s_waitcnt vmcnt(0)
	v_lshrrev_b32_e32 v2, 16, v0
	v_cvt_f32_f16_e32 v0, v0
	v_lshrrev_b32_e32 v3, 16, v1
	v_cvt_f32_f16_e32 v1, v1
	s_delay_alu instid0(VALU_DEP_4) | instskip(NEXT) | instid1(VALU_DEP_3)
	v_cvt_f32_f16_e32 v2, v2
	v_cvt_f32_f16_e32 v3, v3
	s_delay_alu instid0(VALU_DEP_2) | instskip(NEXT) | instid1(VALU_DEP_1)
	v_max_f32_e32 v4, v0, v2
	v_max3_f32 v4, v4, v1, v3
	s_delay_alu instid0(VALU_DEP_1) | instskip(SKIP_3) | instid1(VALU_DEP_4)
	v_sub_f32_e32 v2, v2, v4
	v_sub_f32_e32 v0, v0, v4
	;; [unrolled: 1-line block ×4, first 2 shown]
	v_mul_f32_e32 v5, 0x3fb8aa3b, v2
	s_delay_alu instid0(VALU_DEP_4) | instskip(NEXT) | instid1(VALU_DEP_3)
	v_cmp_ngt_f32_e32 vcc_lo, 0xc2ce8ed0, v0
	v_dual_mul_f32 v6, 0x3fb8aa3b, v1 :: v_dual_mul_f32 v7, 0x3fb8aa3b, v3
	s_delay_alu instid0(VALU_DEP_3) | instskip(SKIP_1) | instid1(VALU_DEP_3)
	v_fma_f32 v10, 0x3fb8aa3b, v2, -v5
	v_rndne_f32_e32 v11, v5
	v_fma_f32 v12, 0x3fb8aa3b, v1, -v6
	s_delay_alu instid0(VALU_DEP_4)
	v_fma_f32 v15, 0x3fb8aa3b, v3, -v7
	v_rndne_f32_e32 v16, v7
	v_rndne_f32_e32 v13, v6
	v_dual_sub_f32 v5, v5, v11 :: v_dual_fmac_f32 v10, 0x32a5705f, v2
	v_mul_f32_e32 v4, 0x3fb8aa3b, v0
	v_fmac_f32_e32 v12, 0x32a5705f, v1
	s_delay_alu instid0(VALU_DEP_4) | instskip(NEXT) | instid1(VALU_DEP_4)
	v_dual_sub_f32 v6, v6, v13 :: v_dual_fmac_f32 v15, 0x32a5705f, v3
	v_add_f32_e32 v5, v5, v10
	s_delay_alu instid0(VALU_DEP_4)
	v_fma_f32 v8, 0x3fb8aa3b, v0, -v4
	v_rndne_f32_e32 v9, v4
	v_sub_f32_e32 v7, v7, v16
	v_add_f32_e32 v6, v6, v12
	v_exp_f32_e32 v5, v5
	v_fmac_f32_e32 v8, 0x32a5705f, v0
	v_sub_f32_e32 v4, v4, v9
	v_cvt_i32_f32_e32 v10, v13
	v_exp_f32_e32 v6, v6
	s_delay_alu instid0(VALU_DEP_2) | instskip(SKIP_2) | instid1(VALU_DEP_3)
	v_dual_add_f32 v7, v7, v15 :: v_dual_add_f32 v4, v4, v8
	v_cvt_i32_f32_e32 v8, v9
	v_cvt_i32_f32_e32 v9, v11
	v_exp_f32_e32 v7, v7
	v_cvt_i32_f32_e32 v11, v16
	v_exp_f32_e32 v4, v4
	s_delay_alu instid0(VALU_DEP_2) | instskip(NEXT) | instid1(TRANS32_DEP_3)
	v_ldexp_f32 v5, v5, v9
	v_ldexp_f32 v6, v6, v10
	s_waitcnt_depctr 0xfff
	v_ldexp_f32 v7, v7, v11
	v_ldexp_f32 v4, v4, v8
	s_delay_alu instid0(VALU_DEP_1)
	v_cndmask_b32_e32 v4, 0, v4, vcc_lo
	v_cmp_ngt_f32_e32 vcc_lo, 0xc2ce8ed0, v2
	v_cndmask_b32_e32 v5, 0, v5, vcc_lo
	v_cmp_ngt_f32_e32 vcc_lo, 0xc2ce8ed0, v1
	v_cndmask_b32_e32 v6, 0, v6, vcc_lo
	v_cmp_nlt_f32_e32 vcc_lo, 0x42b17218, v0
	v_cndmask_b32_e32 v0, 0x7f800000, v4, vcc_lo
	v_cmp_nlt_f32_e32 vcc_lo, 0x42b17218, v2
	v_cndmask_b32_e32 v2, 0x7f800000, v5, vcc_lo
	v_cmp_ngt_f32_e32 vcc_lo, 0xc2ce8ed0, v3
	s_delay_alu instid0(VALU_DEP_2) | instskip(SKIP_3) | instid1(VALU_DEP_2)
	v_dual_add_f32 v5, v0, v2 :: v_dual_cndmask_b32 v4, 0, v7
	v_cmp_nlt_f32_e32 vcc_lo, 0x42b17218, v1
	v_cndmask_b32_e32 v1, 0x7f800000, v6, vcc_lo
	v_cmp_nlt_f32_e32 vcc_lo, 0x42b17218, v3
	v_dual_cndmask_b32 v3, 0x7f800000, v4 :: v_dual_add_f32 v4, v5, v1
	s_delay_alu instid0(VALU_DEP_1) | instskip(NEXT) | instid1(VALU_DEP_1)
	v_add_f32_e32 v4, v4, v3
	v_div_scale_f32 v5, null, v4, v4, 1.0
	v_div_scale_f32 v8, vcc_lo, 1.0, v4, 1.0
	s_delay_alu instid0(VALU_DEP_2) | instskip(SKIP_2) | instid1(VALU_DEP_1)
	v_rcp_f32_e32 v6, v5
	s_waitcnt_depctr 0xfff
	v_fma_f32 v7, -v5, v6, 1.0
	v_fmac_f32_e32 v6, v7, v6
	s_delay_alu instid0(VALU_DEP_1) | instskip(NEXT) | instid1(VALU_DEP_1)
	v_mul_f32_e32 v7, v8, v6
	v_fma_f32 v9, -v5, v7, v8
	s_delay_alu instid0(VALU_DEP_1) | instskip(NEXT) | instid1(VALU_DEP_1)
	v_fmac_f32_e32 v7, v9, v6
	v_fma_f32 v5, -v5, v7, v8
	s_delay_alu instid0(VALU_DEP_1) | instskip(NEXT) | instid1(VALU_DEP_1)
	v_div_fmas_f32 v5, v5, v6, v7
	v_div_fixup_f32 v4, v5, v4, 1.0
	s_delay_alu instid0(VALU_DEP_1) | instskip(SKIP_3) | instid1(VALU_DEP_4)
	v_mul_f32_e32 v0, v4, v0
	v_mul_f32_e32 v2, v4, v2
	v_mul_f32_e32 v5, v4, v1
	v_mul_f32_e32 v3, v4, v3
	v_cmp_class_f32_e64 vcc_lo, v0, 0x1f8
	v_cndmask_b32_e32 v0, 0, v0, vcc_lo
	v_cmp_class_f32_e64 vcc_lo, v2, 0x1f8
	v_cndmask_b32_e32 v1, 0, v2, vcc_lo
	;; [unrolled: 2-line block ×4, first 2 shown]
	s_cbranch_scc1 .LBB92_10
; %bb.4:
	s_load_b128 s[4:7], s[2:3], 0x0
	s_waitcnt lgkmcnt(0)
	v_dual_add_f32 v4, s4, v0 :: v_dual_add_f32 v5, s5, v1
	v_dual_add_f32 v6, s6, v2 :: v_dual_add_f32 v7, s7, v3
	s_cbranch_execnz .LBB92_6
.LBB92_5:
	v_dual_mov_b32 v7, v3 :: v_dual_mov_b32 v6, v2
	v_dual_mov_b32 v5, v1 :: v_dual_mov_b32 v4, v0
.LBB92_6:
	s_load_b128 s[4:7], s[0:1], 0x30
	s_waitcnt lgkmcnt(0)
	s_bitcmp1_b32 s7, 0
	s_mov_b32 s7, 0
	s_cselect_b32 vcc_lo, -1, 0
	s_cmp_gt_i32 s4, 0
	s_cselect_b32 s3, -1, 0
	s_cmp_lt_i32 s4, 1
	s_cbranch_scc1 .LBB92_11
; %bb.7:
	v_mul_lo_u32 v8, v14, s4
	s_load_b128 s[12:15], s[0:1], 0x20
	v_dual_mov_b32 v15, 0 :: v_dual_mov_b32 v16, v14
	s_delay_alu instid0(VALU_DEP_2) | instskip(NEXT) | instid1(VALU_DEP_1)
	v_ashrrev_i32_e32 v9, 31, v8
	v_lshlrev_b64 v[12:13], 2, v[8:9]
	s_delay_alu instid0(VALU_DEP_1) | instskip(NEXT) | instid1(VALU_DEP_1)
	v_add_co_u32 v8, s0, s8, v12
	v_add_co_ci_u32_e64 v9, s0, s9, v13, s0
	s_waitcnt lgkmcnt(0)
	v_add_co_u32 v10, s0, s12, v12
	s_delay_alu instid0(VALU_DEP_1) | instskip(SKIP_1) | instid1(VALU_DEP_1)
	v_add_co_ci_u32_e64 v11, s0, s13, v13, s0
	v_add_co_u32 v12, s0, s14, v12
	v_add_co_ci_u32_e64 v13, s0, s15, v13, s0
.LBB92_8:                               ; =>This Inner Loop Header: Depth=1
	v_cmp_gt_f32_e64 s0, v5, v4
	s_add_i32 s7, s7, 1
	s_delay_alu instid0(VALU_DEP_1) | instskip(SKIP_2) | instid1(VALU_DEP_3)
	v_cndmask_b32_e64 v17, v4, v5, s0
	v_cndmask_b32_e64 v18, v0, v1, s0
	;; [unrolled: 1-line block ×3, first 2 shown]
	v_cmp_gt_f32_e64 s1, v6, v17
	s_delay_alu instid0(VALU_DEP_1) | instskip(NEXT) | instid1(VALU_DEP_4)
	v_cndmask_b32_e64 v17, v17, v6, s1
	v_cndmask_b32_e64 v18, v18, v2, s1
	s_delay_alu instid0(VALU_DEP_4) | instskip(NEXT) | instid1(VALU_DEP_3)
	v_cndmask_b32_e64 v19, v19, 2, s1
	v_cmp_gt_f32_e64 s0, v7, v17
	s_delay_alu instid0(VALU_DEP_1) | instskip(NEXT) | instid1(VALU_DEP_3)
	v_cndmask_b32_e64 v17, v18, v3, s0
	v_cndmask_b32_e64 v18, v19, 3, s0
	global_store_b32 v[8:9], v17, off
	v_cmp_le_i32_e64 s0, s5, v18
	v_cmp_gt_i32_e64 s1, s6, v18
	v_subrev_nc_u32_e32 v19, s5, v18
	v_cmp_ne_u32_e64 s2, 0, v18
	v_add_f32_e32 v17, v15, v17
	s_delay_alu instid0(VALU_DEP_4) | instskip(SKIP_1) | instid1(VALU_DEP_3)
	s_and_b32 s1, s0, s1
	v_cmp_ne_u32_e64 s0, 2, v18
	v_cndmask_b32_e64 v20, 0xc61c4000, v4, s2
	v_cmp_ne_u32_e64 s2, 1, v18
	s_delay_alu instid0(VALU_DEP_3) | instskip(SKIP_1) | instid1(VALU_DEP_2)
	v_cndmask_b32_e64 v22, 0xc61c4000, v6, s0
	s_and_b32 s0, s11, s1
	v_cndmask_b32_e64 v21, 0xc61c4000, v5, s2
	v_cndmask_b32_e64 v19, 4, v19, s0
	v_cmp_ne_u32_e64 s0, 3, v18
	s_cmp_lt_i32 s7, s4
	global_store_b32 v[10:11], v19, off
	global_store_b32 v[12:13], v16, off
	v_add_nc_u32_e32 v16, s10, v16
	v_cndmask_b32_e64 v18, 0xc61c4000, v7, s0
	s_cselect_b32 s0, -1, 0
	v_cndmask_b32_e32 v15, v15, v17, vcc_lo
	v_cndmask_b32_e64 v6, v6, v22, s0
	v_cndmask_b32_e64 v5, v5, v21, s0
	;; [unrolled: 1-line block ×4, first 2 shown]
	v_add_co_u32 v8, s0, v8, 4
	s_delay_alu instid0(VALU_DEP_1) | instskip(SKIP_1) | instid1(VALU_DEP_1)
	v_add_co_ci_u32_e64 v9, s0, 0, v9, s0
	v_add_co_u32 v10, s0, v10, 4
	v_add_co_ci_u32_e64 v11, s0, 0, v11, s0
	v_add_co_u32 v12, s0, v12, 4
	s_delay_alu instid0(VALU_DEP_1)
	v_add_co_ci_u32_e64 v13, s0, 0, v13, s0
	s_cmp_eq_u32 s4, s7
	s_cbranch_scc0 .LBB92_8
; %bb.9:
	s_and_b32 vcc_lo, exec_lo, vcc_lo
	s_cbranch_vccnz .LBB92_12
	s_branch .LBB92_15
.LBB92_10:
                                        ; implicit-def: $vgpr4_vgpr5_vgpr6_vgpr7
	s_and_not1_b32 vcc_lo, exec_lo, s12
	s_cbranch_vccz .LBB92_5
	s_branch .LBB92_6
.LBB92_11:
	v_mov_b32_e32 v15, 0
	s_and_b32 vcc_lo, exec_lo, vcc_lo
	s_cbranch_vccz .LBB92_15
.LBB92_12:
	s_and_not1_b32 vcc_lo, exec_lo, s3
	s_cbranch_vccnz .LBB92_15
; %bb.13:
	v_mul_lo_u32 v0, v14, s4
	v_cmp_lt_f32_e32 vcc_lo, 0, v15
	v_cndmask_b32_e32 v2, 1.0, v15, vcc_lo
	s_delay_alu instid0(VALU_DEP_3) | instskip(NEXT) | instid1(VALU_DEP_1)
	v_ashrrev_i32_e32 v1, 31, v0
	v_lshlrev_b64 v[0:1], 2, v[0:1]
	s_delay_alu instid0(VALU_DEP_1) | instskip(NEXT) | instid1(VALU_DEP_2)
	v_add_co_u32 v0, vcc_lo, s8, v0
	v_add_co_ci_u32_e32 v1, vcc_lo, s9, v1, vcc_lo
	.p2align	6
.LBB92_14:                              ; =>This Inner Loop Header: Depth=1
	global_load_b32 v3, v[0:1], off
	s_add_i32 s4, s4, -1
	s_delay_alu instid0(SALU_CYCLE_1) | instskip(SKIP_3) | instid1(VALU_DEP_2)
	s_cmp_lg_u32 s4, 0
	s_waitcnt vmcnt(0)
	v_div_scale_f32 v4, null, v2, v2, v3
	v_div_scale_f32 v7, vcc_lo, v3, v2, v3
	v_rcp_f32_e32 v5, v4
	s_waitcnt_depctr 0xfff
	v_fma_f32 v6, -v4, v5, 1.0
	s_delay_alu instid0(VALU_DEP_1) | instskip(NEXT) | instid1(VALU_DEP_1)
	v_fmac_f32_e32 v5, v6, v5
	v_mul_f32_e32 v6, v7, v5
	s_delay_alu instid0(VALU_DEP_1) | instskip(NEXT) | instid1(VALU_DEP_1)
	v_fma_f32 v8, -v4, v6, v7
	v_fmac_f32_e32 v6, v8, v5
	s_delay_alu instid0(VALU_DEP_1) | instskip(NEXT) | instid1(VALU_DEP_1)
	v_fma_f32 v4, -v4, v6, v7
	v_div_fmas_f32 v4, v4, v5, v6
	s_delay_alu instid0(VALU_DEP_1)
	v_div_fixup_f32 v3, v4, v2, v3
	global_store_b32 v[0:1], v3, off
	v_add_co_u32 v0, vcc_lo, v0, 4
	v_add_co_ci_u32_e32 v1, vcc_lo, 0, v1, vcc_lo
	s_cbranch_scc1 .LBB92_14
.LBB92_15:
	s_nop 0
	s_sendmsg sendmsg(MSG_DEALLOC_VGPRS)
	s_endpgm
	.section	.rodata,"a",@progbits
	.p2align	6, 0x0
	.amdhsa_kernel _ZN4vllm3moe10topkGatingILi4ELi4ELi4ELi8ELi32Ej6__halfLNS0_11ScoringFuncE0EEEvPKT5_PKbPfiPT4_PiiiibPKf
		.amdhsa_group_segment_fixed_size 0
		.amdhsa_private_segment_fixed_size 0
		.amdhsa_kernarg_size 72
		.amdhsa_user_sgpr_count 15
		.amdhsa_user_sgpr_dispatch_ptr 0
		.amdhsa_user_sgpr_queue_ptr 0
		.amdhsa_user_sgpr_kernarg_segment_ptr 1
		.amdhsa_user_sgpr_dispatch_id 0
		.amdhsa_user_sgpr_private_segment_size 0
		.amdhsa_wavefront_size32 1
		.amdhsa_uses_dynamic_stack 0
		.amdhsa_enable_private_segment 0
		.amdhsa_system_sgpr_workgroup_id_x 1
		.amdhsa_system_sgpr_workgroup_id_y 0
		.amdhsa_system_sgpr_workgroup_id_z 0
		.amdhsa_system_sgpr_workgroup_info 0
		.amdhsa_system_vgpr_workitem_id 1
		.amdhsa_next_free_vgpr 23
		.amdhsa_next_free_sgpr 16
		.amdhsa_reserve_vcc 1
		.amdhsa_float_round_mode_32 0
		.amdhsa_float_round_mode_16_64 0
		.amdhsa_float_denorm_mode_32 3
		.amdhsa_float_denorm_mode_16_64 3
		.amdhsa_dx10_clamp 1
		.amdhsa_ieee_mode 1
		.amdhsa_fp16_overflow 0
		.amdhsa_workgroup_processor_mode 1
		.amdhsa_memory_ordered 1
		.amdhsa_forward_progress 0
		.amdhsa_shared_vgpr_count 0
		.amdhsa_exception_fp_ieee_invalid_op 0
		.amdhsa_exception_fp_denorm_src 0
		.amdhsa_exception_fp_ieee_div_zero 0
		.amdhsa_exception_fp_ieee_overflow 0
		.amdhsa_exception_fp_ieee_underflow 0
		.amdhsa_exception_fp_ieee_inexact 0
		.amdhsa_exception_int_div_zero 0
	.end_amdhsa_kernel
	.section	.text._ZN4vllm3moe10topkGatingILi4ELi4ELi4ELi8ELi32Ej6__halfLNS0_11ScoringFuncE0EEEvPKT5_PKbPfiPT4_PiiiibPKf,"axG",@progbits,_ZN4vllm3moe10topkGatingILi4ELi4ELi4ELi8ELi32Ej6__halfLNS0_11ScoringFuncE0EEEvPKT5_PKbPfiPT4_PiiiibPKf,comdat
.Lfunc_end92:
	.size	_ZN4vllm3moe10topkGatingILi4ELi4ELi4ELi8ELi32Ej6__halfLNS0_11ScoringFuncE0EEEvPKT5_PKbPfiPT4_PiiiibPKf, .Lfunc_end92-_ZN4vllm3moe10topkGatingILi4ELi4ELi4ELi8ELi32Ej6__halfLNS0_11ScoringFuncE0EEEvPKT5_PKbPfiPT4_PiiiibPKf
                                        ; -- End function
	.section	.AMDGPU.csdata,"",@progbits
; Kernel info:
; codeLenInByte = 1660
; NumSgprs: 18
; NumVgprs: 23
; ScratchSize: 0
; MemoryBound: 0
; FloatMode: 240
; IeeeMode: 1
; LDSByteSize: 0 bytes/workgroup (compile time only)
; SGPRBlocks: 2
; VGPRBlocks: 2
; NumSGPRsForWavesPerEU: 18
; NumVGPRsForWavesPerEU: 23
; Occupancy: 16
; WaveLimiterHint : 0
; COMPUTE_PGM_RSRC2:SCRATCH_EN: 0
; COMPUTE_PGM_RSRC2:USER_SGPR: 15
; COMPUTE_PGM_RSRC2:TRAP_HANDLER: 0
; COMPUTE_PGM_RSRC2:TGID_X_EN: 1
; COMPUTE_PGM_RSRC2:TGID_Y_EN: 0
; COMPUTE_PGM_RSRC2:TGID_Z_EN: 0
; COMPUTE_PGM_RSRC2:TIDIG_COMP_CNT: 1
	.section	.text._ZN4vllm3moe10topkGatingILi8ELi8ELi4ELi16ELi64Ej6__halfLNS0_11ScoringFuncE0EEEvPKT5_PKbPfiPT4_PiiiibPKf,"axG",@progbits,_ZN4vllm3moe10topkGatingILi8ELi8ELi4ELi16ELi64Ej6__halfLNS0_11ScoringFuncE0EEEvPKT5_PKbPfiPT4_PiiiibPKf,comdat
	.protected	_ZN4vllm3moe10topkGatingILi8ELi8ELi4ELi16ELi64Ej6__halfLNS0_11ScoringFuncE0EEEvPKT5_PKbPfiPT4_PiiiibPKf ; -- Begin function _ZN4vllm3moe10topkGatingILi8ELi8ELi4ELi16ELi64Ej6__halfLNS0_11ScoringFuncE0EEEvPKT5_PKbPfiPT4_PiiiibPKf
	.globl	_ZN4vllm3moe10topkGatingILi8ELi8ELi4ELi16ELi64Ej6__halfLNS0_11ScoringFuncE0EEEvPKT5_PKbPfiPT4_PiiiibPKf
	.p2align	8
	.type	_ZN4vllm3moe10topkGatingILi8ELi8ELi4ELi16ELi64Ej6__halfLNS0_11ScoringFuncE0EEEvPKT5_PKbPfiPT4_PiiiibPKf,@function
_ZN4vllm3moe10topkGatingILi8ELi8ELi4ELi16ELi64Ej6__halfLNS0_11ScoringFuncE0EEEvPKT5_PKbPfiPT4_PiiiibPKf: ; @_ZN4vllm3moe10topkGatingILi8ELi8ELi4ELi16ELi64Ej6__halfLNS0_11ScoringFuncE0EEEvPKT5_PKbPfiPT4_PiiiibPKf
; %bb.0:
	s_load_b32 s14, s[0:1], 0x18
	v_bfe_u32 v1, v0, 10, 10
	v_and_b32_e32 v0, 0x3ff, v0
	s_lshl_b32 s2, s15, 8
	s_delay_alu instid0(VALU_DEP_2) | instskip(NEXT) | instid1(VALU_DEP_1)
	v_lshlrev_b32_e32 v1, 6, v1
	v_add3_u32 v16, v1, v0, s2
	s_mov_b32 s2, exec_lo
	s_waitcnt lgkmcnt(0)
	s_delay_alu instid0(VALU_DEP_1)
	v_cmpx_gt_i32_e64 s14, v16
	s_cbranch_execz .LBB93_15
; %bb.1:
	s_clause 0x1
	s_load_b128 s[4:7], s[0:1], 0x0
	s_load_b64 s[12:13], s[0:1], 0x10
	s_mov_b32 s8, -1
	s_mov_b32 s15, -1
	s_waitcnt lgkmcnt(0)
	s_cmp_eq_u64 s[6:7], 0
	s_cbranch_scc1 .LBB93_3
; %bb.2:
	v_ashrrev_i32_e32 v1, 31, v16
	v_add_co_u32 v0, vcc_lo, s6, v16
	s_delay_alu instid0(VALU_DEP_2) | instskip(SKIP_3) | instid1(VALU_DEP_1)
	v_add_co_ci_u32_e32 v1, vcc_lo, s7, v1, vcc_lo
	global_load_u8 v0, v[0:1], off
	s_waitcnt vmcnt(0)
	v_and_b32_e32 v0, 1, v0
	v_cmp_eq_u32_e32 vcc_lo, 1, v0
	s_xor_b32 s2, vcc_lo, -1
	s_delay_alu instid0(SALU_CYCLE_1)
	s_or_not1_b32 s15, s2, exec_lo
.LBB93_3:
	v_lshlrev_b32_e32 v0, 3, v16
	s_load_b64 s[2:3], s[0:1], 0x40
	s_delay_alu instid0(VALU_DEP_1) | instskip(NEXT) | instid1(VALU_DEP_1)
	v_ashrrev_i32_e32 v1, 31, v0
	v_lshlrev_b64 v[0:1], 1, v[0:1]
	s_delay_alu instid0(VALU_DEP_1) | instskip(NEXT) | instid1(VALU_DEP_2)
	v_add_co_u32 v0, vcc_lo, s4, v0
	v_add_co_ci_u32_e32 v1, vcc_lo, s5, v1, vcc_lo
	s_waitcnt lgkmcnt(0)
	s_cmp_eq_u64 s[2:3], 0
	global_load_b128 v[0:3], v[0:1], off
	s_waitcnt vmcnt(0)
	v_lshrrev_b32_e32 v4, 16, v0
	v_cvt_f32_f16_e32 v0, v0
	v_lshrrev_b32_e32 v5, 16, v1
	v_cvt_f32_f16_e32 v1, v1
	;; [unrolled: 2-line block ×3, first 2 shown]
	v_cvt_f32_f16_e32 v2, v2
	v_cvt_f32_f16_e32 v5, v5
	v_lshrrev_b32_e32 v8, 16, v3
	v_cvt_f32_f16_e32 v6, v6
	v_max_f32_e32 v7, v0, v4
	v_cvt_f32_f16_e32 v3, v3
	s_delay_alu instid0(VALU_DEP_4) | instskip(NEXT) | instid1(VALU_DEP_3)
	v_cvt_f32_f16_e32 v8, v8
	v_max3_f32 v7, v7, v1, v5
	s_delay_alu instid0(VALU_DEP_1) | instskip(NEXT) | instid1(VALU_DEP_1)
	v_max3_f32 v7, v7, v2, v6
	v_max3_f32 v7, v7, v3, v8
	s_delay_alu instid0(VALU_DEP_1) | instskip(SKIP_2) | instid1(VALU_DEP_3)
	v_sub_f32_e32 v1, v1, v7
	v_sub_f32_e32 v5, v5, v7
	v_sub_f32_e32 v4, v4, v7
	v_mul_f32_e32 v10, 0x3fb8aa3b, v1
	s_delay_alu instid0(VALU_DEP_3) | instskip(NEXT) | instid1(VALU_DEP_3)
	v_dual_mul_f32 v11, 0x3fb8aa3b, v5 :: v_dual_sub_f32 v0, v0, v7
	v_dual_mul_f32 v9, 0x3fb8aa3b, v4 :: v_dual_sub_f32 v6, v6, v7
	v_sub_f32_e32 v2, v2, v7
	v_sub_f32_e32 v3, v3, v7
	v_rndne_f32_e32 v22, v10
	v_dual_sub_f32 v7, v8, v7 :: v_dual_mul_f32 v8, 0x3fb8aa3b, v0
	v_fma_f32 v21, 0x3fb8aa3b, v1, -v10
	v_rndne_f32_e32 v24, v11
	s_delay_alu instid0(VALU_DEP_4)
	v_sub_f32_e32 v10, v10, v22
	v_fma_f32 v23, 0x3fb8aa3b, v5, -v11
	v_fma_f32 v17, 0x3fb8aa3b, v0, -v8
	v_rndne_f32_e32 v18, v8
	v_mul_f32_e32 v15, 0x3fb8aa3b, v7
	v_fma_f32 v19, 0x3fb8aa3b, v4, -v9
	v_rndne_f32_e32 v20, v9
	s_delay_alu instid0(VALU_DEP_4)
	v_dual_fmac_f32 v17, 0x32a5705f, v0 :: v_dual_sub_f32 v8, v8, v18
	v_sub_f32_e32 v11, v11, v24
	v_mul_f32_e32 v13, 0x3fb8aa3b, v6
	v_mul_f32_e32 v12, 0x3fb8aa3b, v2
	v_cvt_i32_f32_e32 v18, v18
	v_add_f32_e32 v8, v8, v17
	v_dual_mul_f32 v14, 0x3fb8aa3b, v3 :: v_dual_sub_f32 v9, v9, v20
	s_delay_alu instid0(VALU_DEP_4) | instskip(SKIP_1) | instid1(VALU_DEP_4)
	v_rndne_f32_e32 v26, v12
	v_fmac_f32_e32 v19, 0x32a5705f, v4
	v_exp_f32_e32 v8, v8
	v_cmp_ngt_f32_e32 vcc_lo, 0xc2ce8ed0, v0
	v_fma_f32 v25, 0x3fb8aa3b, v2, -v12
	v_sub_f32_e32 v12, v12, v26
	v_rndne_f32_e32 v30, v14
	v_fmac_f32_e32 v21, 0x32a5705f, v1
	v_fma_f32 v29, 0x3fb8aa3b, v3, -v14
	v_cvt_i32_f32_e32 v20, v20
	v_cvt_i32_f32_e32 v22, v22
	v_sub_f32_e32 v14, v14, v30
	v_ldexp_f32 v8, v8, v18
	v_fmac_f32_e32 v23, 0x32a5705f, v5
	v_dual_fmac_f32 v25, 0x32a5705f, v2 :: v_dual_add_f32 v10, v10, v21
	v_rndne_f32_e32 v28, v13
	s_delay_alu instid0(VALU_DEP_4) | instskip(SKIP_1) | instid1(VALU_DEP_4)
	v_dual_cndmask_b32 v8, 0, v8 :: v_dual_add_f32 v9, v9, v19
	v_cmp_ngt_f32_e32 vcc_lo, 0xc2ce8ed0, v4
	v_exp_f32_e32 v10, v10
	v_fma_f32 v27, 0x3fb8aa3b, v6, -v13
	v_rndne_f32_e32 v32, v15
	v_exp_f32_e32 v9, v9
	v_fma_f32 v31, 0x3fb8aa3b, v7, -v15
	v_cvt_i32_f32_e32 v17, v30
	v_cvt_i32_f32_e32 v24, v24
	v_dual_fmac_f32 v27, 0x32a5705f, v6 :: v_dual_add_f32 v12, v12, v25
	v_cvt_i32_f32_e32 v26, v26
	s_delay_alu instid0(TRANS32_DEP_2) | instskip(SKIP_1) | instid1(TRANS32_DEP_1)
	v_ldexp_f32 v10, v10, v22
	v_cvt_i32_f32_e32 v19, v32
	v_ldexp_f32 v9, v9, v20
	v_exp_f32_e32 v12, v12
	s_delay_alu instid0(VALU_DEP_1) | instskip(SKIP_2) | instid1(VALU_DEP_1)
	v_cndmask_b32_e32 v9, 0, v9, vcc_lo
	v_cmp_ngt_f32_e32 vcc_lo, 0xc2ce8ed0, v1
	v_dual_fmac_f32 v29, 0x32a5705f, v3 :: v_dual_cndmask_b32 v10, 0, v10
	v_dual_sub_f32 v13, v13, v28 :: v_dual_add_f32 v14, v14, v29
	v_cmp_nlt_f32_e32 vcc_lo, 0x42b17218, v0
	s_waitcnt_depctr 0xfff
	v_ldexp_f32 v12, v12, v26
	v_cvt_i32_f32_e32 v28, v28
	v_exp_f32_e32 v14, v14
	v_cndmask_b32_e32 v0, 0x7f800000, v8, vcc_lo
	v_cmp_nlt_f32_e32 vcc_lo, 0x42b17218, v4
	v_dual_sub_f32 v15, v15, v32 :: v_dual_cndmask_b32 v4, 0x7f800000, v9
	v_cmp_ngt_f32_e32 vcc_lo, 0xc2ce8ed0, v5
	s_waitcnt_depctr 0xfff
	v_ldexp_f32 v14, v14, v17
	v_add_f32_e32 v9, v0, v4
	v_add_f32_e32 v11, v11, v23
	s_delay_alu instid0(VALU_DEP_1) | instskip(SKIP_2) | instid1(VALU_DEP_1)
	v_exp_f32_e32 v11, v11
	s_waitcnt_depctr 0xfff
	v_ldexp_f32 v11, v11, v24
	v_cndmask_b32_e32 v8, 0, v11, vcc_lo
	v_cmp_nlt_f32_e32 vcc_lo, 0x42b17218, v1
	v_cndmask_b32_e32 v1, 0x7f800000, v10, vcc_lo
	v_cmp_ngt_f32_e32 vcc_lo, 0xc2ce8ed0, v2
	v_dual_fmac_f32 v31, 0x32a5705f, v7 :: v_dual_cndmask_b32 v10, 0, v12
	v_add_f32_e32 v13, v13, v27
	v_cmp_nlt_f32_e32 vcc_lo, 0x42b17218, v5
	s_delay_alu instid0(VALU_DEP_2) | instskip(SKIP_3) | instid1(VALU_DEP_1)
	v_exp_f32_e32 v13, v13
	v_cndmask_b32_e32 v5, 0x7f800000, v8, vcc_lo
	v_cmp_ngt_f32_e32 vcc_lo, 0xc2ce8ed0, v6
	v_dual_add_f32 v8, v9, v1 :: v_dual_add_f32 v15, v15, v31
	v_add_f32_e32 v8, v8, v5
	s_delay_alu instid0(VALU_DEP_2) | instskip(SKIP_2) | instid1(VALU_DEP_1)
	v_exp_f32_e32 v15, v15
	s_waitcnt_depctr 0xfff
	v_ldexp_f32 v13, v13, v28
	v_cndmask_b32_e32 v9, 0, v13, vcc_lo
	v_cmp_nlt_f32_e32 vcc_lo, 0x42b17218, v2
	v_ldexp_f32 v15, v15, v19
	v_cndmask_b32_e32 v2, 0x7f800000, v10, vcc_lo
	v_cmp_ngt_f32_e32 vcc_lo, 0xc2ce8ed0, v3
	s_delay_alu instid0(VALU_DEP_2) | instskip(SKIP_4) | instid1(VALU_DEP_2)
	v_add_f32_e32 v8, v8, v2
	v_cndmask_b32_e32 v10, 0, v14, vcc_lo
	v_cmp_nlt_f32_e32 vcc_lo, 0x42b17218, v6
	v_cndmask_b32_e32 v6, 0x7f800000, v9, vcc_lo
	v_cmp_ngt_f32_e32 vcc_lo, 0xc2ce8ed0, v7
	v_dual_add_f32 v8, v8, v6 :: v_dual_cndmask_b32 v9, 0, v15
	v_cmp_nlt_f32_e32 vcc_lo, 0x42b17218, v3
	v_cndmask_b32_e32 v3, 0x7f800000, v10, vcc_lo
	v_cmp_nlt_f32_e32 vcc_lo, 0x42b17218, v7
	s_delay_alu instid0(VALU_DEP_2) | instskip(NEXT) | instid1(VALU_DEP_1)
	v_dual_add_f32 v8, v8, v3 :: v_dual_cndmask_b32 v7, 0x7f800000, v9
	v_add_f32_e32 v8, v8, v7
	s_delay_alu instid0(VALU_DEP_1) | instskip(SKIP_1) | instid1(VALU_DEP_2)
	v_div_scale_f32 v9, null, v8, v8, 1.0
	v_div_scale_f32 v12, vcc_lo, 1.0, v8, 1.0
	v_rcp_f32_e32 v10, v9
	s_waitcnt_depctr 0xfff
	v_fma_f32 v11, -v9, v10, 1.0
	s_delay_alu instid0(VALU_DEP_1) | instskip(NEXT) | instid1(VALU_DEP_1)
	v_fmac_f32_e32 v10, v11, v10
	v_mul_f32_e32 v11, v12, v10
	s_delay_alu instid0(VALU_DEP_1) | instskip(NEXT) | instid1(VALU_DEP_1)
	v_fma_f32 v13, -v9, v11, v12
	v_fmac_f32_e32 v11, v13, v10
	s_delay_alu instid0(VALU_DEP_1) | instskip(NEXT) | instid1(VALU_DEP_1)
	v_fma_f32 v9, -v9, v11, v12
	v_div_fmas_f32 v9, v9, v10, v11
	s_delay_alu instid0(VALU_DEP_1) | instskip(NEXT) | instid1(VALU_DEP_1)
	v_div_fixup_f32 v8, v9, v8, 1.0
	v_mul_f32_e32 v4, v8, v4
	v_mul_f32_e32 v0, v8, v0
	;; [unrolled: 1-line block ×3, first 2 shown]
	s_delay_alu instid0(VALU_DEP_2) | instskip(SKIP_4) | instid1(VALU_DEP_4)
	v_cmp_class_f32_e64 vcc_lo, v0, 0x1f8
	v_dual_mul_f32 v9, v8, v1 :: v_dual_cndmask_b32 v0, 0, v0
	v_cmp_class_f32_e64 vcc_lo, v4, 0x1f8
	v_dual_mul_f32 v10, v8, v2 :: v_dual_cndmask_b32 v1, 0, v4
	v_mul_f32_e32 v5, v8, v5
	v_cmp_class_f32_e64 vcc_lo, v9, 0x1f8
	v_dual_mul_f32 v11, v8, v3 :: v_dual_cndmask_b32 v2, 0, v9
	s_delay_alu instid0(VALU_DEP_3) | instskip(SKIP_3) | instid1(VALU_DEP_3)
	v_cmp_class_f32_e64 vcc_lo, v5, 0x1f8
	v_dual_mul_f32 v6, v8, v6 :: v_dual_cndmask_b32 v3, 0, v5
	v_cmp_class_f32_e64 vcc_lo, v10, 0x1f8
	v_cndmask_b32_e32 v4, 0, v10, vcc_lo
	v_cmp_class_f32_e64 vcc_lo, v6, 0x1f8
	v_cndmask_b32_e32 v5, 0, v6, vcc_lo
	;; [unrolled: 2-line block ×4, first 2 shown]
	s_cbranch_scc1 .LBB93_10
; %bb.4:
	s_load_b256 s[4:11], s[2:3], 0x0
	s_waitcnt lgkmcnt(0)
	v_dual_add_f32 v8, s4, v0 :: v_dual_add_f32 v9, s5, v1
	v_dual_add_f32 v10, s6, v2 :: v_dual_add_f32 v11, s7, v3
	;; [unrolled: 1-line block ×4, first 2 shown]
	s_cbranch_execnz .LBB93_6
.LBB93_5:
	v_dual_mov_b32 v15, v7 :: v_dual_mov_b32 v14, v6
	v_dual_mov_b32 v13, v5 :: v_dual_mov_b32 v12, v4
	;; [unrolled: 1-line block ×4, first 2 shown]
.LBB93_6:
	s_load_b128 s[4:7], s[0:1], 0x30
	s_waitcnt lgkmcnt(0)
	s_bitcmp1_b32 s7, 0
	s_mov_b32 s7, 0
	s_cselect_b32 vcc_lo, -1, 0
	s_cmp_gt_i32 s4, 0
	s_cselect_b32 s3, -1, 0
	s_cmp_lt_i32 s4, 1
	s_cbranch_scc1 .LBB93_11
; %bb.7:
	s_load_b128 s[8:11], s[0:1], 0x20
	v_mul_lo_u32 v18, v16, s4
	v_mov_b32_e32 v17, 0
	v_mov_b32_e32 v19, v16
.LBB93_8:                               ; =>This Inner Loop Header: Depth=1
	s_delay_alu instid0(VALU_DEP_1) | instskip(NEXT) | instid1(VALU_DEP_1)
	v_cmp_gt_f32_e64 s0, v9, v8
	v_cndmask_b32_e64 v20, v8, v9, s0
	v_cndmask_b32_e64 v21, v0, v1, s0
	;; [unrolled: 1-line block ×3, first 2 shown]
	s_delay_alu instid0(VALU_DEP_3) | instskip(NEXT) | instid1(VALU_DEP_1)
	v_cmp_gt_f32_e64 s1, v10, v20
	v_cndmask_b32_e64 v20, v20, v10, s1
	s_delay_alu instid0(VALU_DEP_4) | instskip(NEXT) | instid1(VALU_DEP_4)
	v_cndmask_b32_e64 v21, v21, v2, s1
	v_cndmask_b32_e64 v22, v22, 2, s1
	s_delay_alu instid0(VALU_DEP_3) | instskip(NEXT) | instid1(VALU_DEP_1)
	v_cmp_gt_f32_e64 s0, v11, v20
	v_cndmask_b32_e64 v20, v20, v11, s0
	s_delay_alu instid0(VALU_DEP_4) | instskip(NEXT) | instid1(VALU_DEP_4)
	v_cndmask_b32_e64 v21, v21, v3, s0
	v_cndmask_b32_e64 v22, v22, 3, s0
	;; [unrolled: 6-line block ×5, first 2 shown]
	s_delay_alu instid0(VALU_DEP_3) | instskip(NEXT) | instid1(VALU_DEP_1)
	v_cmp_gt_f32_e64 s0, v15, v23
	v_cndmask_b32_e64 v26, v24, v7, s0
	s_delay_alu instid0(VALU_DEP_3) | instskip(NEXT) | instid1(VALU_DEP_2)
	v_cndmask_b32_e64 v27, v22, 7, s0
	v_add_f32_e32 v29, v17, v26
	v_add_nc_u32_e32 v20, s7, v18
	s_delay_alu instid0(VALU_DEP_3) | instskip(SKIP_4) | instid1(VALU_DEP_1)
	v_cmp_gt_i32_e64 s1, s6, v27
	v_subrev_nc_u32_e32 v28, s5, v27
	s_add_i32 s7, s7, 1
	v_cndmask_b32_e32 v17, v17, v29, vcc_lo
	v_ashrrev_i32_e32 v21, 31, v20
	v_lshlrev_b64 v[20:21], 2, v[20:21]
	s_waitcnt lgkmcnt(0)
	s_delay_alu instid0(VALU_DEP_1) | instskip(NEXT) | instid1(VALU_DEP_1)
	v_add_co_u32 v22, s0, s8, v20
	v_add_co_ci_u32_e64 v23, s0, s9, v21, s0
	v_cmp_le_i32_e64 s0, s5, v27
	v_add_co_u32 v24, s2, s10, v20
	s_delay_alu instid0(VALU_DEP_1) | instskip(NEXT) | instid1(VALU_DEP_3)
	v_add_co_ci_u32_e64 v25, s2, s11, v21, s2
	s_and_b32 s0, s0, s1
	s_delay_alu instid0(SALU_CYCLE_1) | instskip(SKIP_3) | instid1(VALU_DEP_1)
	s_and_b32 s0, s15, s0
	s_cmp_lt_i32 s7, s4
	v_cndmask_b32_e64 v28, 8, v28, s0
	v_add_co_u32 v20, s0, s12, v20
	v_add_co_ci_u32_e64 v21, s0, s13, v21, s0
	v_cmp_ne_u32_e64 s0, 0, v27
	global_store_b32 v[22:23], v28, off
	global_store_b32 v[24:25], v19, off
	v_add_nc_u32_e32 v19, s14, v19
	global_store_b32 v[20:21], v26, off
	v_cndmask_b32_e64 v22, 0xc61c4000, v8, s0
	v_cmp_ne_u32_e64 s0, 1, v27
	s_delay_alu instid0(VALU_DEP_1) | instskip(SKIP_1) | instid1(VALU_DEP_1)
	v_cndmask_b32_e64 v23, 0xc61c4000, v9, s0
	v_cmp_ne_u32_e64 s0, 2, v27
	v_cndmask_b32_e64 v24, 0xc61c4000, v10, s0
	v_cmp_ne_u32_e64 s0, 3, v27
	s_delay_alu instid0(VALU_DEP_1) | instskip(SKIP_1) | instid1(VALU_DEP_1)
	v_cndmask_b32_e64 v25, 0xc61c4000, v11, s0
	v_cmp_ne_u32_e64 s0, 5, v27
	v_cndmask_b32_e64 v28, 0xc61c4000, v13, s0
	v_cmp_ne_u32_e64 s0, 7, v27
	s_delay_alu instid0(VALU_DEP_1) | instskip(SKIP_1) | instid1(VALU_DEP_1)
	v_cndmask_b32_e64 v29, 0xc61c4000, v15, s0
	v_cmp_ne_u32_e64 s0, 6, v27
	v_cndmask_b32_e64 v30, 0xc61c4000, v14, s0
	v_cmp_ne_u32_e64 s0, 4, v27
	s_delay_alu instid0(VALU_DEP_1)
	v_cndmask_b32_e64 v27, 0xc61c4000, v12, s0
	s_cselect_b32 s0, -1, 0
	s_cmp_eq_u32 s4, s7
	v_cndmask_b32_e64 v15, v15, v29, s0
	v_cndmask_b32_e64 v14, v14, v30, s0
	;; [unrolled: 1-line block ×8, first 2 shown]
	s_cbranch_scc0 .LBB93_8
; %bb.9:
	s_and_b32 vcc_lo, exec_lo, vcc_lo
	s_cbranch_vccnz .LBB93_12
	s_branch .LBB93_15
.LBB93_10:
                                        ; implicit-def: $vgpr8_vgpr9_vgpr10_vgpr11_vgpr12_vgpr13_vgpr14_vgpr15
	s_and_not1_b32 vcc_lo, exec_lo, s8
	s_cbranch_vccz .LBB93_5
	s_branch .LBB93_6
.LBB93_11:
	v_mov_b32_e32 v17, 0
	s_and_b32 vcc_lo, exec_lo, vcc_lo
	s_cbranch_vccz .LBB93_15
.LBB93_12:
	s_and_not1_b32 vcc_lo, exec_lo, s3
	s_cbranch_vccnz .LBB93_15
; %bb.13:
	v_mul_lo_u32 v0, v16, s4
	v_cmp_lt_f32_e32 vcc_lo, 0, v17
	v_cndmask_b32_e32 v2, 1.0, v17, vcc_lo
	s_delay_alu instid0(VALU_DEP_3) | instskip(NEXT) | instid1(VALU_DEP_1)
	v_ashrrev_i32_e32 v1, 31, v0
	v_lshlrev_b64 v[0:1], 2, v[0:1]
	s_delay_alu instid0(VALU_DEP_1) | instskip(NEXT) | instid1(VALU_DEP_2)
	v_add_co_u32 v0, vcc_lo, s12, v0
	v_add_co_ci_u32_e32 v1, vcc_lo, s13, v1, vcc_lo
	.p2align	6
.LBB93_14:                              ; =>This Inner Loop Header: Depth=1
	global_load_b32 v3, v[0:1], off
	s_add_i32 s4, s4, -1
	s_delay_alu instid0(SALU_CYCLE_1) | instskip(SKIP_3) | instid1(VALU_DEP_2)
	s_cmp_lg_u32 s4, 0
	s_waitcnt vmcnt(0)
	v_div_scale_f32 v4, null, v2, v2, v3
	v_div_scale_f32 v7, vcc_lo, v3, v2, v3
	v_rcp_f32_e32 v5, v4
	s_waitcnt_depctr 0xfff
	v_fma_f32 v6, -v4, v5, 1.0
	s_delay_alu instid0(VALU_DEP_1) | instskip(NEXT) | instid1(VALU_DEP_1)
	v_fmac_f32_e32 v5, v6, v5
	v_mul_f32_e32 v6, v7, v5
	s_delay_alu instid0(VALU_DEP_1) | instskip(NEXT) | instid1(VALU_DEP_1)
	v_fma_f32 v8, -v4, v6, v7
	v_fmac_f32_e32 v6, v8, v5
	s_delay_alu instid0(VALU_DEP_1) | instskip(NEXT) | instid1(VALU_DEP_1)
	v_fma_f32 v4, -v4, v6, v7
	v_div_fmas_f32 v4, v4, v5, v6
	s_delay_alu instid0(VALU_DEP_1)
	v_div_fixup_f32 v3, v4, v2, v3
	global_store_b32 v[0:1], v3, off
	v_add_co_u32 v0, vcc_lo, v0, 4
	v_add_co_ci_u32_e32 v1, vcc_lo, 0, v1, vcc_lo
	s_cbranch_scc1 .LBB93_14
.LBB93_15:
	s_nop 0
	s_sendmsg sendmsg(MSG_DEALLOC_VGPRS)
	s_endpgm
	.section	.rodata,"a",@progbits
	.p2align	6, 0x0
	.amdhsa_kernel _ZN4vllm3moe10topkGatingILi8ELi8ELi4ELi16ELi64Ej6__halfLNS0_11ScoringFuncE0EEEvPKT5_PKbPfiPT4_PiiiibPKf
		.amdhsa_group_segment_fixed_size 0
		.amdhsa_private_segment_fixed_size 0
		.amdhsa_kernarg_size 72
		.amdhsa_user_sgpr_count 15
		.amdhsa_user_sgpr_dispatch_ptr 0
		.amdhsa_user_sgpr_queue_ptr 0
		.amdhsa_user_sgpr_kernarg_segment_ptr 1
		.amdhsa_user_sgpr_dispatch_id 0
		.amdhsa_user_sgpr_private_segment_size 0
		.amdhsa_wavefront_size32 1
		.amdhsa_uses_dynamic_stack 0
		.amdhsa_enable_private_segment 0
		.amdhsa_system_sgpr_workgroup_id_x 1
		.amdhsa_system_sgpr_workgroup_id_y 0
		.amdhsa_system_sgpr_workgroup_id_z 0
		.amdhsa_system_sgpr_workgroup_info 0
		.amdhsa_system_vgpr_workitem_id 1
		.amdhsa_next_free_vgpr 33
		.amdhsa_next_free_sgpr 16
		.amdhsa_reserve_vcc 1
		.amdhsa_float_round_mode_32 0
		.amdhsa_float_round_mode_16_64 0
		.amdhsa_float_denorm_mode_32 3
		.amdhsa_float_denorm_mode_16_64 3
		.amdhsa_dx10_clamp 1
		.amdhsa_ieee_mode 1
		.amdhsa_fp16_overflow 0
		.amdhsa_workgroup_processor_mode 1
		.amdhsa_memory_ordered 1
		.amdhsa_forward_progress 0
		.amdhsa_shared_vgpr_count 0
		.amdhsa_exception_fp_ieee_invalid_op 0
		.amdhsa_exception_fp_denorm_src 0
		.amdhsa_exception_fp_ieee_div_zero 0
		.amdhsa_exception_fp_ieee_overflow 0
		.amdhsa_exception_fp_ieee_underflow 0
		.amdhsa_exception_fp_ieee_inexact 0
		.amdhsa_exception_int_div_zero 0
	.end_amdhsa_kernel
	.section	.text._ZN4vllm3moe10topkGatingILi8ELi8ELi4ELi16ELi64Ej6__halfLNS0_11ScoringFuncE0EEEvPKT5_PKbPfiPT4_PiiiibPKf,"axG",@progbits,_ZN4vllm3moe10topkGatingILi8ELi8ELi4ELi16ELi64Ej6__halfLNS0_11ScoringFuncE0EEEvPKT5_PKbPfiPT4_PiiiibPKf,comdat
.Lfunc_end93:
	.size	_ZN4vllm3moe10topkGatingILi8ELi8ELi4ELi16ELi64Ej6__halfLNS0_11ScoringFuncE0EEEvPKT5_PKbPfiPT4_PiiiibPKf, .Lfunc_end93-_ZN4vllm3moe10topkGatingILi8ELi8ELi4ELi16ELi64Ej6__halfLNS0_11ScoringFuncE0EEEvPKT5_PKbPfiPT4_PiiiibPKf
                                        ; -- End function
	.section	.AMDGPU.csdata,"",@progbits
; Kernel info:
; codeLenInByte = 2448
; NumSgprs: 18
; NumVgprs: 33
; ScratchSize: 0
; MemoryBound: 0
; FloatMode: 240
; IeeeMode: 1
; LDSByteSize: 0 bytes/workgroup (compile time only)
; SGPRBlocks: 2
; VGPRBlocks: 4
; NumSGPRsForWavesPerEU: 18
; NumVGPRsForWavesPerEU: 33
; Occupancy: 16
; WaveLimiterHint : 0
; COMPUTE_PGM_RSRC2:SCRATCH_EN: 0
; COMPUTE_PGM_RSRC2:USER_SGPR: 15
; COMPUTE_PGM_RSRC2:TRAP_HANDLER: 0
; COMPUTE_PGM_RSRC2:TGID_X_EN: 1
; COMPUTE_PGM_RSRC2:TGID_Y_EN: 0
; COMPUTE_PGM_RSRC2:TGID_Z_EN: 0
; COMPUTE_PGM_RSRC2:TIDIG_COMP_CNT: 1
	.section	.text._ZN4vllm3moe10topkGatingILi8ELi8ELi4ELi16ELi32Ej6__halfLNS0_11ScoringFuncE0EEEvPKT5_PKbPfiPT4_PiiiibPKf,"axG",@progbits,_ZN4vllm3moe10topkGatingILi8ELi8ELi4ELi16ELi32Ej6__halfLNS0_11ScoringFuncE0EEEvPKT5_PKbPfiPT4_PiiiibPKf,comdat
	.protected	_ZN4vllm3moe10topkGatingILi8ELi8ELi4ELi16ELi32Ej6__halfLNS0_11ScoringFuncE0EEEvPKT5_PKbPfiPT4_PiiiibPKf ; -- Begin function _ZN4vllm3moe10topkGatingILi8ELi8ELi4ELi16ELi32Ej6__halfLNS0_11ScoringFuncE0EEEvPKT5_PKbPfiPT4_PiiiibPKf
	.globl	_ZN4vllm3moe10topkGatingILi8ELi8ELi4ELi16ELi32Ej6__halfLNS0_11ScoringFuncE0EEEvPKT5_PKbPfiPT4_PiiiibPKf
	.p2align	8
	.type	_ZN4vllm3moe10topkGatingILi8ELi8ELi4ELi16ELi32Ej6__halfLNS0_11ScoringFuncE0EEEvPKT5_PKbPfiPT4_PiiiibPKf,@function
_ZN4vllm3moe10topkGatingILi8ELi8ELi4ELi16ELi32Ej6__halfLNS0_11ScoringFuncE0EEEvPKT5_PKbPfiPT4_PiiiibPKf: ; @_ZN4vllm3moe10topkGatingILi8ELi8ELi4ELi16ELi32Ej6__halfLNS0_11ScoringFuncE0EEEvPKT5_PKbPfiPT4_PiiiibPKf
; %bb.0:
	s_load_b32 s14, s[0:1], 0x18
	v_bfe_u32 v1, v0, 10, 10
	v_and_b32_e32 v0, 0x3ff, v0
	s_lshl_b32 s2, s15, 7
	s_delay_alu instid0(VALU_DEP_2) | instskip(NEXT) | instid1(VALU_DEP_1)
	v_lshlrev_b32_e32 v1, 5, v1
	v_add3_u32 v16, v1, v0, s2
	s_mov_b32 s2, exec_lo
	s_waitcnt lgkmcnt(0)
	s_delay_alu instid0(VALU_DEP_1)
	v_cmpx_gt_i32_e64 s14, v16
	s_cbranch_execz .LBB94_15
; %bb.1:
	s_clause 0x1
	s_load_b128 s[4:7], s[0:1], 0x0
	s_load_b64 s[12:13], s[0:1], 0x10
	s_mov_b32 s8, -1
	s_mov_b32 s15, -1
	s_waitcnt lgkmcnt(0)
	s_cmp_eq_u64 s[6:7], 0
	s_cbranch_scc1 .LBB94_3
; %bb.2:
	v_ashrrev_i32_e32 v1, 31, v16
	v_add_co_u32 v0, vcc_lo, s6, v16
	s_delay_alu instid0(VALU_DEP_2) | instskip(SKIP_3) | instid1(VALU_DEP_1)
	v_add_co_ci_u32_e32 v1, vcc_lo, s7, v1, vcc_lo
	global_load_u8 v0, v[0:1], off
	s_waitcnt vmcnt(0)
	v_and_b32_e32 v0, 1, v0
	v_cmp_eq_u32_e32 vcc_lo, 1, v0
	s_xor_b32 s2, vcc_lo, -1
	s_delay_alu instid0(SALU_CYCLE_1)
	s_or_not1_b32 s15, s2, exec_lo
.LBB94_3:
	v_lshlrev_b32_e32 v0, 3, v16
	s_load_b64 s[2:3], s[0:1], 0x40
	s_delay_alu instid0(VALU_DEP_1) | instskip(NEXT) | instid1(VALU_DEP_1)
	v_ashrrev_i32_e32 v1, 31, v0
	v_lshlrev_b64 v[0:1], 1, v[0:1]
	s_delay_alu instid0(VALU_DEP_1) | instskip(NEXT) | instid1(VALU_DEP_2)
	v_add_co_u32 v0, vcc_lo, s4, v0
	v_add_co_ci_u32_e32 v1, vcc_lo, s5, v1, vcc_lo
	s_waitcnt lgkmcnt(0)
	s_cmp_eq_u64 s[2:3], 0
	global_load_b128 v[0:3], v[0:1], off
	s_waitcnt vmcnt(0)
	v_lshrrev_b32_e32 v4, 16, v0
	v_cvt_f32_f16_e32 v0, v0
	v_lshrrev_b32_e32 v5, 16, v1
	v_cvt_f32_f16_e32 v1, v1
	;; [unrolled: 2-line block ×3, first 2 shown]
	v_cvt_f32_f16_e32 v2, v2
	v_cvt_f32_f16_e32 v5, v5
	v_lshrrev_b32_e32 v8, 16, v3
	v_cvt_f32_f16_e32 v6, v6
	v_max_f32_e32 v7, v0, v4
	v_cvt_f32_f16_e32 v3, v3
	s_delay_alu instid0(VALU_DEP_4) | instskip(NEXT) | instid1(VALU_DEP_3)
	v_cvt_f32_f16_e32 v8, v8
	v_max3_f32 v7, v7, v1, v5
	s_delay_alu instid0(VALU_DEP_1) | instskip(NEXT) | instid1(VALU_DEP_1)
	v_max3_f32 v7, v7, v2, v6
	v_max3_f32 v7, v7, v3, v8
	s_delay_alu instid0(VALU_DEP_1) | instskip(SKIP_2) | instid1(VALU_DEP_3)
	v_sub_f32_e32 v1, v1, v7
	v_sub_f32_e32 v5, v5, v7
	;; [unrolled: 1-line block ×3, first 2 shown]
	v_mul_f32_e32 v10, 0x3fb8aa3b, v1
	s_delay_alu instid0(VALU_DEP_3) | instskip(NEXT) | instid1(VALU_DEP_3)
	v_dual_mul_f32 v11, 0x3fb8aa3b, v5 :: v_dual_sub_f32 v0, v0, v7
	v_dual_mul_f32 v9, 0x3fb8aa3b, v4 :: v_dual_sub_f32 v6, v6, v7
	v_sub_f32_e32 v2, v2, v7
	v_sub_f32_e32 v3, v3, v7
	v_rndne_f32_e32 v22, v10
	v_dual_sub_f32 v7, v8, v7 :: v_dual_mul_f32 v8, 0x3fb8aa3b, v0
	v_fma_f32 v21, 0x3fb8aa3b, v1, -v10
	v_rndne_f32_e32 v24, v11
	s_delay_alu instid0(VALU_DEP_4)
	v_sub_f32_e32 v10, v10, v22
	v_fma_f32 v23, 0x3fb8aa3b, v5, -v11
	v_fma_f32 v17, 0x3fb8aa3b, v0, -v8
	v_rndne_f32_e32 v18, v8
	v_mul_f32_e32 v15, 0x3fb8aa3b, v7
	v_fma_f32 v19, 0x3fb8aa3b, v4, -v9
	v_rndne_f32_e32 v20, v9
	s_delay_alu instid0(VALU_DEP_4)
	v_dual_fmac_f32 v17, 0x32a5705f, v0 :: v_dual_sub_f32 v8, v8, v18
	v_sub_f32_e32 v11, v11, v24
	v_mul_f32_e32 v13, 0x3fb8aa3b, v6
	v_mul_f32_e32 v12, 0x3fb8aa3b, v2
	v_cvt_i32_f32_e32 v18, v18
	v_add_f32_e32 v8, v8, v17
	v_dual_mul_f32 v14, 0x3fb8aa3b, v3 :: v_dual_sub_f32 v9, v9, v20
	s_delay_alu instid0(VALU_DEP_4) | instskip(SKIP_1) | instid1(VALU_DEP_4)
	v_rndne_f32_e32 v26, v12
	v_fmac_f32_e32 v19, 0x32a5705f, v4
	v_exp_f32_e32 v8, v8
	v_cmp_ngt_f32_e32 vcc_lo, 0xc2ce8ed0, v0
	v_fma_f32 v25, 0x3fb8aa3b, v2, -v12
	v_sub_f32_e32 v12, v12, v26
	v_rndne_f32_e32 v30, v14
	v_fmac_f32_e32 v21, 0x32a5705f, v1
	v_fma_f32 v29, 0x3fb8aa3b, v3, -v14
	v_cvt_i32_f32_e32 v20, v20
	v_cvt_i32_f32_e32 v22, v22
	v_sub_f32_e32 v14, v14, v30
	v_ldexp_f32 v8, v8, v18
	v_fmac_f32_e32 v23, 0x32a5705f, v5
	v_dual_fmac_f32 v25, 0x32a5705f, v2 :: v_dual_add_f32 v10, v10, v21
	v_rndne_f32_e32 v28, v13
	s_delay_alu instid0(VALU_DEP_4) | instskip(SKIP_1) | instid1(VALU_DEP_4)
	v_dual_cndmask_b32 v8, 0, v8 :: v_dual_add_f32 v9, v9, v19
	v_cmp_ngt_f32_e32 vcc_lo, 0xc2ce8ed0, v4
	v_exp_f32_e32 v10, v10
	v_fma_f32 v27, 0x3fb8aa3b, v6, -v13
	v_rndne_f32_e32 v32, v15
	v_exp_f32_e32 v9, v9
	v_fma_f32 v31, 0x3fb8aa3b, v7, -v15
	v_cvt_i32_f32_e32 v17, v30
	v_cvt_i32_f32_e32 v24, v24
	v_dual_fmac_f32 v27, 0x32a5705f, v6 :: v_dual_add_f32 v12, v12, v25
	v_cvt_i32_f32_e32 v26, v26
	s_delay_alu instid0(TRANS32_DEP_2) | instskip(SKIP_1) | instid1(TRANS32_DEP_1)
	v_ldexp_f32 v10, v10, v22
	v_cvt_i32_f32_e32 v19, v32
	v_ldexp_f32 v9, v9, v20
	v_exp_f32_e32 v12, v12
	s_delay_alu instid0(VALU_DEP_1) | instskip(SKIP_2) | instid1(VALU_DEP_1)
	v_cndmask_b32_e32 v9, 0, v9, vcc_lo
	v_cmp_ngt_f32_e32 vcc_lo, 0xc2ce8ed0, v1
	v_dual_fmac_f32 v29, 0x32a5705f, v3 :: v_dual_cndmask_b32 v10, 0, v10
	v_dual_sub_f32 v13, v13, v28 :: v_dual_add_f32 v14, v14, v29
	v_cmp_nlt_f32_e32 vcc_lo, 0x42b17218, v0
	s_waitcnt_depctr 0xfff
	v_ldexp_f32 v12, v12, v26
	v_cvt_i32_f32_e32 v28, v28
	v_exp_f32_e32 v14, v14
	v_cndmask_b32_e32 v0, 0x7f800000, v8, vcc_lo
	v_cmp_nlt_f32_e32 vcc_lo, 0x42b17218, v4
	v_dual_sub_f32 v15, v15, v32 :: v_dual_cndmask_b32 v4, 0x7f800000, v9
	v_cmp_ngt_f32_e32 vcc_lo, 0xc2ce8ed0, v5
	s_waitcnt_depctr 0xfff
	v_ldexp_f32 v14, v14, v17
	v_add_f32_e32 v9, v0, v4
	v_add_f32_e32 v11, v11, v23
	s_delay_alu instid0(VALU_DEP_1) | instskip(SKIP_2) | instid1(VALU_DEP_1)
	v_exp_f32_e32 v11, v11
	s_waitcnt_depctr 0xfff
	v_ldexp_f32 v11, v11, v24
	v_cndmask_b32_e32 v8, 0, v11, vcc_lo
	v_cmp_nlt_f32_e32 vcc_lo, 0x42b17218, v1
	v_cndmask_b32_e32 v1, 0x7f800000, v10, vcc_lo
	v_cmp_ngt_f32_e32 vcc_lo, 0xc2ce8ed0, v2
	v_dual_fmac_f32 v31, 0x32a5705f, v7 :: v_dual_cndmask_b32 v10, 0, v12
	v_add_f32_e32 v13, v13, v27
	v_cmp_nlt_f32_e32 vcc_lo, 0x42b17218, v5
	s_delay_alu instid0(VALU_DEP_2) | instskip(SKIP_3) | instid1(VALU_DEP_1)
	v_exp_f32_e32 v13, v13
	v_cndmask_b32_e32 v5, 0x7f800000, v8, vcc_lo
	v_cmp_ngt_f32_e32 vcc_lo, 0xc2ce8ed0, v6
	v_dual_add_f32 v8, v9, v1 :: v_dual_add_f32 v15, v15, v31
	v_add_f32_e32 v8, v8, v5
	s_delay_alu instid0(VALU_DEP_2) | instskip(SKIP_2) | instid1(VALU_DEP_1)
	v_exp_f32_e32 v15, v15
	s_waitcnt_depctr 0xfff
	v_ldexp_f32 v13, v13, v28
	v_cndmask_b32_e32 v9, 0, v13, vcc_lo
	v_cmp_nlt_f32_e32 vcc_lo, 0x42b17218, v2
	v_ldexp_f32 v15, v15, v19
	v_cndmask_b32_e32 v2, 0x7f800000, v10, vcc_lo
	v_cmp_ngt_f32_e32 vcc_lo, 0xc2ce8ed0, v3
	s_delay_alu instid0(VALU_DEP_2) | instskip(SKIP_4) | instid1(VALU_DEP_2)
	v_add_f32_e32 v8, v8, v2
	v_cndmask_b32_e32 v10, 0, v14, vcc_lo
	v_cmp_nlt_f32_e32 vcc_lo, 0x42b17218, v6
	v_cndmask_b32_e32 v6, 0x7f800000, v9, vcc_lo
	v_cmp_ngt_f32_e32 vcc_lo, 0xc2ce8ed0, v7
	v_dual_add_f32 v8, v8, v6 :: v_dual_cndmask_b32 v9, 0, v15
	v_cmp_nlt_f32_e32 vcc_lo, 0x42b17218, v3
	v_cndmask_b32_e32 v3, 0x7f800000, v10, vcc_lo
	v_cmp_nlt_f32_e32 vcc_lo, 0x42b17218, v7
	s_delay_alu instid0(VALU_DEP_2) | instskip(NEXT) | instid1(VALU_DEP_1)
	v_dual_add_f32 v8, v8, v3 :: v_dual_cndmask_b32 v7, 0x7f800000, v9
	v_add_f32_e32 v8, v8, v7
	s_delay_alu instid0(VALU_DEP_1) | instskip(SKIP_1) | instid1(VALU_DEP_2)
	v_div_scale_f32 v9, null, v8, v8, 1.0
	v_div_scale_f32 v12, vcc_lo, 1.0, v8, 1.0
	v_rcp_f32_e32 v10, v9
	s_waitcnt_depctr 0xfff
	v_fma_f32 v11, -v9, v10, 1.0
	s_delay_alu instid0(VALU_DEP_1) | instskip(NEXT) | instid1(VALU_DEP_1)
	v_fmac_f32_e32 v10, v11, v10
	v_mul_f32_e32 v11, v12, v10
	s_delay_alu instid0(VALU_DEP_1) | instskip(NEXT) | instid1(VALU_DEP_1)
	v_fma_f32 v13, -v9, v11, v12
	v_fmac_f32_e32 v11, v13, v10
	s_delay_alu instid0(VALU_DEP_1) | instskip(NEXT) | instid1(VALU_DEP_1)
	v_fma_f32 v9, -v9, v11, v12
	v_div_fmas_f32 v9, v9, v10, v11
	s_delay_alu instid0(VALU_DEP_1) | instskip(NEXT) | instid1(VALU_DEP_1)
	v_div_fixup_f32 v8, v9, v8, 1.0
	v_mul_f32_e32 v4, v8, v4
	v_mul_f32_e32 v0, v8, v0
	;; [unrolled: 1-line block ×3, first 2 shown]
	s_delay_alu instid0(VALU_DEP_2) | instskip(SKIP_4) | instid1(VALU_DEP_4)
	v_cmp_class_f32_e64 vcc_lo, v0, 0x1f8
	v_dual_mul_f32 v9, v8, v1 :: v_dual_cndmask_b32 v0, 0, v0
	v_cmp_class_f32_e64 vcc_lo, v4, 0x1f8
	v_dual_mul_f32 v10, v8, v2 :: v_dual_cndmask_b32 v1, 0, v4
	v_mul_f32_e32 v5, v8, v5
	v_cmp_class_f32_e64 vcc_lo, v9, 0x1f8
	v_dual_mul_f32 v11, v8, v3 :: v_dual_cndmask_b32 v2, 0, v9
	s_delay_alu instid0(VALU_DEP_3) | instskip(SKIP_3) | instid1(VALU_DEP_3)
	v_cmp_class_f32_e64 vcc_lo, v5, 0x1f8
	v_dual_mul_f32 v6, v8, v6 :: v_dual_cndmask_b32 v3, 0, v5
	v_cmp_class_f32_e64 vcc_lo, v10, 0x1f8
	v_cndmask_b32_e32 v4, 0, v10, vcc_lo
	v_cmp_class_f32_e64 vcc_lo, v6, 0x1f8
	v_cndmask_b32_e32 v5, 0, v6, vcc_lo
	;; [unrolled: 2-line block ×4, first 2 shown]
	s_cbranch_scc1 .LBB94_10
; %bb.4:
	s_load_b256 s[4:11], s[2:3], 0x0
	s_waitcnt lgkmcnt(0)
	v_dual_add_f32 v8, s4, v0 :: v_dual_add_f32 v9, s5, v1
	v_dual_add_f32 v10, s6, v2 :: v_dual_add_f32 v11, s7, v3
	v_dual_add_f32 v12, s8, v4 :: v_dual_add_f32 v13, s9, v5
	v_dual_add_f32 v14, s10, v6 :: v_dual_add_f32 v15, s11, v7
	s_cbranch_execnz .LBB94_6
.LBB94_5:
	v_dual_mov_b32 v15, v7 :: v_dual_mov_b32 v14, v6
	v_dual_mov_b32 v13, v5 :: v_dual_mov_b32 v12, v4
	;; [unrolled: 1-line block ×4, first 2 shown]
.LBB94_6:
	s_load_b128 s[4:7], s[0:1], 0x30
	s_waitcnt lgkmcnt(0)
	s_bitcmp1_b32 s7, 0
	s_mov_b32 s7, 0
	s_cselect_b32 vcc_lo, -1, 0
	s_cmp_gt_i32 s4, 0
	s_cselect_b32 s3, -1, 0
	s_cmp_lt_i32 s4, 1
	s_cbranch_scc1 .LBB94_11
; %bb.7:
	s_load_b128 s[8:11], s[0:1], 0x20
	v_mul_lo_u32 v18, v16, s4
	v_mov_b32_e32 v17, 0
	v_mov_b32_e32 v19, v16
.LBB94_8:                               ; =>This Inner Loop Header: Depth=1
	s_delay_alu instid0(VALU_DEP_1) | instskip(NEXT) | instid1(VALU_DEP_1)
	v_cmp_gt_f32_e64 s0, v9, v8
	v_cndmask_b32_e64 v20, v8, v9, s0
	v_cndmask_b32_e64 v21, v0, v1, s0
	;; [unrolled: 1-line block ×3, first 2 shown]
	s_delay_alu instid0(VALU_DEP_3) | instskip(NEXT) | instid1(VALU_DEP_1)
	v_cmp_gt_f32_e64 s1, v10, v20
	v_cndmask_b32_e64 v20, v20, v10, s1
	s_delay_alu instid0(VALU_DEP_4) | instskip(NEXT) | instid1(VALU_DEP_4)
	v_cndmask_b32_e64 v21, v21, v2, s1
	v_cndmask_b32_e64 v22, v22, 2, s1
	s_delay_alu instid0(VALU_DEP_3) | instskip(NEXT) | instid1(VALU_DEP_1)
	v_cmp_gt_f32_e64 s0, v11, v20
	v_cndmask_b32_e64 v20, v20, v11, s0
	s_delay_alu instid0(VALU_DEP_4) | instskip(NEXT) | instid1(VALU_DEP_4)
	v_cndmask_b32_e64 v21, v21, v3, s0
	v_cndmask_b32_e64 v22, v22, 3, s0
	;; [unrolled: 6-line block ×5, first 2 shown]
	s_delay_alu instid0(VALU_DEP_3) | instskip(NEXT) | instid1(VALU_DEP_1)
	v_cmp_gt_f32_e64 s0, v15, v23
	v_cndmask_b32_e64 v26, v24, v7, s0
	s_delay_alu instid0(VALU_DEP_3) | instskip(NEXT) | instid1(VALU_DEP_2)
	v_cndmask_b32_e64 v27, v22, 7, s0
	v_add_f32_e32 v29, v17, v26
	v_add_nc_u32_e32 v20, s7, v18
	s_delay_alu instid0(VALU_DEP_3) | instskip(SKIP_4) | instid1(VALU_DEP_1)
	v_cmp_gt_i32_e64 s1, s6, v27
	v_subrev_nc_u32_e32 v28, s5, v27
	s_add_i32 s7, s7, 1
	v_cndmask_b32_e32 v17, v17, v29, vcc_lo
	v_ashrrev_i32_e32 v21, 31, v20
	v_lshlrev_b64 v[20:21], 2, v[20:21]
	s_waitcnt lgkmcnt(0)
	s_delay_alu instid0(VALU_DEP_1) | instskip(NEXT) | instid1(VALU_DEP_1)
	v_add_co_u32 v22, s0, s8, v20
	v_add_co_ci_u32_e64 v23, s0, s9, v21, s0
	v_cmp_le_i32_e64 s0, s5, v27
	v_add_co_u32 v24, s2, s10, v20
	s_delay_alu instid0(VALU_DEP_1) | instskip(NEXT) | instid1(VALU_DEP_3)
	v_add_co_ci_u32_e64 v25, s2, s11, v21, s2
	s_and_b32 s0, s0, s1
	s_delay_alu instid0(SALU_CYCLE_1) | instskip(SKIP_3) | instid1(VALU_DEP_1)
	s_and_b32 s0, s15, s0
	s_cmp_lt_i32 s7, s4
	v_cndmask_b32_e64 v28, 8, v28, s0
	v_add_co_u32 v20, s0, s12, v20
	v_add_co_ci_u32_e64 v21, s0, s13, v21, s0
	v_cmp_ne_u32_e64 s0, 0, v27
	global_store_b32 v[22:23], v28, off
	global_store_b32 v[24:25], v19, off
	v_add_nc_u32_e32 v19, s14, v19
	global_store_b32 v[20:21], v26, off
	v_cndmask_b32_e64 v22, 0xc61c4000, v8, s0
	v_cmp_ne_u32_e64 s0, 1, v27
	s_delay_alu instid0(VALU_DEP_1) | instskip(SKIP_1) | instid1(VALU_DEP_1)
	v_cndmask_b32_e64 v23, 0xc61c4000, v9, s0
	v_cmp_ne_u32_e64 s0, 2, v27
	v_cndmask_b32_e64 v24, 0xc61c4000, v10, s0
	v_cmp_ne_u32_e64 s0, 3, v27
	s_delay_alu instid0(VALU_DEP_1) | instskip(SKIP_1) | instid1(VALU_DEP_1)
	v_cndmask_b32_e64 v25, 0xc61c4000, v11, s0
	v_cmp_ne_u32_e64 s0, 5, v27
	;; [unrolled: 5-line block ×3, first 2 shown]
	v_cndmask_b32_e64 v30, 0xc61c4000, v14, s0
	v_cmp_ne_u32_e64 s0, 4, v27
	s_delay_alu instid0(VALU_DEP_1)
	v_cndmask_b32_e64 v27, 0xc61c4000, v12, s0
	s_cselect_b32 s0, -1, 0
	s_cmp_eq_u32 s4, s7
	v_cndmask_b32_e64 v15, v15, v29, s0
	v_cndmask_b32_e64 v14, v14, v30, s0
	v_cndmask_b32_e64 v13, v13, v28, s0
	v_cndmask_b32_e64 v12, v12, v27, s0
	v_cndmask_b32_e64 v11, v11, v25, s0
	v_cndmask_b32_e64 v10, v10, v24, s0
	v_cndmask_b32_e64 v9, v9, v23, s0
	v_cndmask_b32_e64 v8, v8, v22, s0
	s_cbranch_scc0 .LBB94_8
; %bb.9:
	s_and_b32 vcc_lo, exec_lo, vcc_lo
	s_cbranch_vccnz .LBB94_12
	s_branch .LBB94_15
.LBB94_10:
                                        ; implicit-def: $vgpr8_vgpr9_vgpr10_vgpr11_vgpr12_vgpr13_vgpr14_vgpr15
	s_and_not1_b32 vcc_lo, exec_lo, s8
	s_cbranch_vccz .LBB94_5
	s_branch .LBB94_6
.LBB94_11:
	v_mov_b32_e32 v17, 0
	s_and_b32 vcc_lo, exec_lo, vcc_lo
	s_cbranch_vccz .LBB94_15
.LBB94_12:
	s_and_not1_b32 vcc_lo, exec_lo, s3
	s_cbranch_vccnz .LBB94_15
; %bb.13:
	v_mul_lo_u32 v0, v16, s4
	v_cmp_lt_f32_e32 vcc_lo, 0, v17
	v_cndmask_b32_e32 v2, 1.0, v17, vcc_lo
	s_delay_alu instid0(VALU_DEP_3) | instskip(NEXT) | instid1(VALU_DEP_1)
	v_ashrrev_i32_e32 v1, 31, v0
	v_lshlrev_b64 v[0:1], 2, v[0:1]
	s_delay_alu instid0(VALU_DEP_1) | instskip(NEXT) | instid1(VALU_DEP_2)
	v_add_co_u32 v0, vcc_lo, s12, v0
	v_add_co_ci_u32_e32 v1, vcc_lo, s13, v1, vcc_lo
	.p2align	6
.LBB94_14:                              ; =>This Inner Loop Header: Depth=1
	global_load_b32 v3, v[0:1], off
	s_add_i32 s4, s4, -1
	s_delay_alu instid0(SALU_CYCLE_1) | instskip(SKIP_3) | instid1(VALU_DEP_2)
	s_cmp_lg_u32 s4, 0
	s_waitcnt vmcnt(0)
	v_div_scale_f32 v4, null, v2, v2, v3
	v_div_scale_f32 v7, vcc_lo, v3, v2, v3
	v_rcp_f32_e32 v5, v4
	s_waitcnt_depctr 0xfff
	v_fma_f32 v6, -v4, v5, 1.0
	s_delay_alu instid0(VALU_DEP_1) | instskip(NEXT) | instid1(VALU_DEP_1)
	v_fmac_f32_e32 v5, v6, v5
	v_mul_f32_e32 v6, v7, v5
	s_delay_alu instid0(VALU_DEP_1) | instskip(NEXT) | instid1(VALU_DEP_1)
	v_fma_f32 v8, -v4, v6, v7
	v_fmac_f32_e32 v6, v8, v5
	s_delay_alu instid0(VALU_DEP_1) | instskip(NEXT) | instid1(VALU_DEP_1)
	v_fma_f32 v4, -v4, v6, v7
	v_div_fmas_f32 v4, v4, v5, v6
	s_delay_alu instid0(VALU_DEP_1)
	v_div_fixup_f32 v3, v4, v2, v3
	global_store_b32 v[0:1], v3, off
	v_add_co_u32 v0, vcc_lo, v0, 4
	v_add_co_ci_u32_e32 v1, vcc_lo, 0, v1, vcc_lo
	s_cbranch_scc1 .LBB94_14
.LBB94_15:
	s_nop 0
	s_sendmsg sendmsg(MSG_DEALLOC_VGPRS)
	s_endpgm
	.section	.rodata,"a",@progbits
	.p2align	6, 0x0
	.amdhsa_kernel _ZN4vllm3moe10topkGatingILi8ELi8ELi4ELi16ELi32Ej6__halfLNS0_11ScoringFuncE0EEEvPKT5_PKbPfiPT4_PiiiibPKf
		.amdhsa_group_segment_fixed_size 0
		.amdhsa_private_segment_fixed_size 0
		.amdhsa_kernarg_size 72
		.amdhsa_user_sgpr_count 15
		.amdhsa_user_sgpr_dispatch_ptr 0
		.amdhsa_user_sgpr_queue_ptr 0
		.amdhsa_user_sgpr_kernarg_segment_ptr 1
		.amdhsa_user_sgpr_dispatch_id 0
		.amdhsa_user_sgpr_private_segment_size 0
		.amdhsa_wavefront_size32 1
		.amdhsa_uses_dynamic_stack 0
		.amdhsa_enable_private_segment 0
		.amdhsa_system_sgpr_workgroup_id_x 1
		.amdhsa_system_sgpr_workgroup_id_y 0
		.amdhsa_system_sgpr_workgroup_id_z 0
		.amdhsa_system_sgpr_workgroup_info 0
		.amdhsa_system_vgpr_workitem_id 1
		.amdhsa_next_free_vgpr 33
		.amdhsa_next_free_sgpr 16
		.amdhsa_reserve_vcc 1
		.amdhsa_float_round_mode_32 0
		.amdhsa_float_round_mode_16_64 0
		.amdhsa_float_denorm_mode_32 3
		.amdhsa_float_denorm_mode_16_64 3
		.amdhsa_dx10_clamp 1
		.amdhsa_ieee_mode 1
		.amdhsa_fp16_overflow 0
		.amdhsa_workgroup_processor_mode 1
		.amdhsa_memory_ordered 1
		.amdhsa_forward_progress 0
		.amdhsa_shared_vgpr_count 0
		.amdhsa_exception_fp_ieee_invalid_op 0
		.amdhsa_exception_fp_denorm_src 0
		.amdhsa_exception_fp_ieee_div_zero 0
		.amdhsa_exception_fp_ieee_overflow 0
		.amdhsa_exception_fp_ieee_underflow 0
		.amdhsa_exception_fp_ieee_inexact 0
		.amdhsa_exception_int_div_zero 0
	.end_amdhsa_kernel
	.section	.text._ZN4vllm3moe10topkGatingILi8ELi8ELi4ELi16ELi32Ej6__halfLNS0_11ScoringFuncE0EEEvPKT5_PKbPfiPT4_PiiiibPKf,"axG",@progbits,_ZN4vllm3moe10topkGatingILi8ELi8ELi4ELi16ELi32Ej6__halfLNS0_11ScoringFuncE0EEEvPKT5_PKbPfiPT4_PiiiibPKf,comdat
.Lfunc_end94:
	.size	_ZN4vllm3moe10topkGatingILi8ELi8ELi4ELi16ELi32Ej6__halfLNS0_11ScoringFuncE0EEEvPKT5_PKbPfiPT4_PiiiibPKf, .Lfunc_end94-_ZN4vllm3moe10topkGatingILi8ELi8ELi4ELi16ELi32Ej6__halfLNS0_11ScoringFuncE0EEEvPKT5_PKbPfiPT4_PiiiibPKf
                                        ; -- End function
	.section	.AMDGPU.csdata,"",@progbits
; Kernel info:
; codeLenInByte = 2448
; NumSgprs: 18
; NumVgprs: 33
; ScratchSize: 0
; MemoryBound: 0
; FloatMode: 240
; IeeeMode: 1
; LDSByteSize: 0 bytes/workgroup (compile time only)
; SGPRBlocks: 2
; VGPRBlocks: 4
; NumSGPRsForWavesPerEU: 18
; NumVGPRsForWavesPerEU: 33
; Occupancy: 16
; WaveLimiterHint : 0
; COMPUTE_PGM_RSRC2:SCRATCH_EN: 0
; COMPUTE_PGM_RSRC2:USER_SGPR: 15
; COMPUTE_PGM_RSRC2:TRAP_HANDLER: 0
; COMPUTE_PGM_RSRC2:TGID_X_EN: 1
; COMPUTE_PGM_RSRC2:TGID_Y_EN: 0
; COMPUTE_PGM_RSRC2:TGID_Z_EN: 0
; COMPUTE_PGM_RSRC2:TIDIG_COMP_CNT: 1
	.section	.text._ZN4vllm3moe10topkGatingILi8ELi16ELi4ELi16ELi64Ej6__halfLNS0_11ScoringFuncE0EEEvPKT5_PKbPfiPT4_PiiiibPKf,"axG",@progbits,_ZN4vllm3moe10topkGatingILi8ELi16ELi4ELi16ELi64Ej6__halfLNS0_11ScoringFuncE0EEEvPKT5_PKbPfiPT4_PiiiibPKf,comdat
	.protected	_ZN4vllm3moe10topkGatingILi8ELi16ELi4ELi16ELi64Ej6__halfLNS0_11ScoringFuncE0EEEvPKT5_PKbPfiPT4_PiiiibPKf ; -- Begin function _ZN4vllm3moe10topkGatingILi8ELi16ELi4ELi16ELi64Ej6__halfLNS0_11ScoringFuncE0EEEvPKT5_PKbPfiPT4_PiiiibPKf
	.globl	_ZN4vllm3moe10topkGatingILi8ELi16ELi4ELi16ELi64Ej6__halfLNS0_11ScoringFuncE0EEEvPKT5_PKbPfiPT4_PiiiibPKf
	.p2align	8
	.type	_ZN4vllm3moe10topkGatingILi8ELi16ELi4ELi16ELi64Ej6__halfLNS0_11ScoringFuncE0EEEvPKT5_PKbPfiPT4_PiiiibPKf,@function
_ZN4vllm3moe10topkGatingILi8ELi16ELi4ELi16ELi64Ej6__halfLNS0_11ScoringFuncE0EEEvPKT5_PKbPfiPT4_PiiiibPKf: ; @_ZN4vllm3moe10topkGatingILi8ELi16ELi4ELi16ELi64Ej6__halfLNS0_11ScoringFuncE0EEEvPKT5_PKbPfiPT4_PiiiibPKf
; %bb.0:
	s_load_b32 s14, s[0:1], 0x18
	v_bfe_u32 v1, v0, 10, 10
	v_and_b32_e32 v0, 0x3ff, v0
	s_lshl_b32 s2, s15, 7
	s_delay_alu instid0(VALU_DEP_2) | instskip(NEXT) | instid1(VALU_DEP_2)
	v_lshlrev_b32_e32 v1, 5, v1
	v_lshrrev_b32_e32 v2, 1, v0
	s_delay_alu instid0(VALU_DEP_1) | instskip(SKIP_2) | instid1(VALU_DEP_1)
	v_add3_u32 v16, s2, v1, v2
	s_mov_b32 s2, exec_lo
	s_waitcnt lgkmcnt(0)
	v_cmpx_gt_i32_e64 s14, v16
	s_cbranch_execz .LBB95_25
; %bb.1:
	s_clause 0x1
	s_load_b128 s[4:7], s[0:1], 0x0
	s_load_b64 s[12:13], s[0:1], 0x10
	s_mov_b32 s8, -1
	s_mov_b32 s15, -1
	s_waitcnt lgkmcnt(0)
	s_cmp_eq_u64 s[6:7], 0
	s_cbranch_scc1 .LBB95_3
; %bb.2:
	v_ashrrev_i32_e32 v2, 31, v16
	v_add_co_u32 v1, vcc_lo, s6, v16
	s_delay_alu instid0(VALU_DEP_2) | instskip(SKIP_3) | instid1(VALU_DEP_1)
	v_add_co_ci_u32_e32 v2, vcc_lo, s7, v2, vcc_lo
	global_load_u8 v1, v[1:2], off
	s_waitcnt vmcnt(0)
	v_and_b32_e32 v1, 1, v1
	v_cmp_eq_u32_e32 vcc_lo, 1, v1
	s_xor_b32 s2, vcc_lo, -1
	s_delay_alu instid0(SALU_CYCLE_1)
	s_or_not1_b32 s15, s2, exec_lo
.LBB95_3:
	v_lshlrev_b32_e32 v1, 4, v16
	v_mbcnt_lo_u32_b32 v4, -1, 0
	s_load_b64 s[2:3], s[0:1], 0x40
	s_delay_alu instid0(VALU_DEP_2) | instskip(NEXT) | instid1(VALU_DEP_2)
	v_ashrrev_i32_e32 v2, 31, v1
	v_xor_b32_e32 v6, 1, v4
	v_and_b32_e32 v17, 1, v0
	v_and_b32_e32 v8, 30, v4
	s_delay_alu instid0(VALU_DEP_4) | instskip(NEXT) | instid1(VALU_DEP_3)
	v_lshlrev_b64 v[0:1], 1, v[1:2]
	v_lshlrev_b32_e32 v2, 4, v17
	s_delay_alu instid0(VALU_DEP_3) | instskip(NEXT) | instid1(VALU_DEP_3)
	v_add_nc_u32_e32 v8, 2, v8
	v_add_co_u32 v0, vcc_lo, s4, v0
	s_delay_alu instid0(VALU_DEP_4) | instskip(NEXT) | instid1(VALU_DEP_2)
	v_add_co_ci_u32_e32 v1, vcc_lo, s5, v1, vcc_lo
	v_add_co_u32 v0, vcc_lo, v0, v2
	s_delay_alu instid0(VALU_DEP_2)
	v_add_co_ci_u32_e32 v1, vcc_lo, 0, v1, vcc_lo
	v_cmp_lt_i32_e32 vcc_lo, v6, v8
	s_waitcnt lgkmcnt(0)
	s_cmp_eq_u64 s[2:3], 0
	global_load_b128 v[0:3], v[0:1], off
	v_cndmask_b32_e32 v4, v4, v6, vcc_lo
	s_delay_alu instid0(VALU_DEP_1)
	v_lshlrev_b32_e32 v18, 2, v4
	s_waitcnt vmcnt(0)
	v_lshrrev_b32_e32 v5, 16, v0
	v_cvt_f32_f16_e32 v0, v0
	v_lshrrev_b32_e32 v7, 16, v1
	v_cvt_f32_f16_e32 v1, v1
	;; [unrolled: 2-line block ×3, first 2 shown]
	v_cvt_f32_f16_e32 v2, v2
	v_cvt_f32_f16_e32 v7, v7
	v_lshrrev_b32_e32 v11, 16, v3
	v_cvt_f32_f16_e32 v9, v9
	v_max_f32_e32 v10, v0, v5
	v_cvt_f32_f16_e32 v3, v3
	s_delay_alu instid0(VALU_DEP_4) | instskip(NEXT) | instid1(VALU_DEP_3)
	v_cvt_f32_f16_e32 v6, v11
	v_max3_f32 v10, v10, v1, v7
	s_delay_alu instid0(VALU_DEP_1) | instskip(NEXT) | instid1(VALU_DEP_1)
	v_max3_f32 v8, v10, v2, v9
	v_max3_f32 v4, v8, v3, v6
	ds_bpermute_b32 v8, v18, v4
	s_waitcnt lgkmcnt(0)
	v_max_f32_e32 v8, v8, v8
	s_delay_alu instid0(VALU_DEP_1) | instskip(NEXT) | instid1(VALU_DEP_1)
	v_max_f32_e32 v4, v4, v8
	v_sub_f32_e32 v1, v1, v4
	s_delay_alu instid0(VALU_DEP_1) | instskip(NEXT) | instid1(VALU_DEP_1)
	v_mul_f32_e32 v10, 0x3fb8aa3b, v1
	v_fma_f32 v23, 0x3fb8aa3b, v1, -v10
	s_delay_alu instid0(VALU_DEP_1) | instskip(SKIP_2) | instid1(VALU_DEP_2)
	v_fmac_f32_e32 v23, 0x32a5705f, v1
	v_sub_f32_e32 v3, v3, v4
	v_sub_f32_e32 v7, v7, v4
	v_dual_sub_f32 v5, v5, v4 :: v_dual_mul_f32 v14, 0x3fb8aa3b, v3
	s_delay_alu instid0(VALU_DEP_2) | instskip(NEXT) | instid1(VALU_DEP_2)
	v_mul_f32_e32 v11, 0x3fb8aa3b, v7
	v_rndne_f32_e32 v32, v14
	s_delay_alu instid0(VALU_DEP_2) | instskip(SKIP_2) | instid1(VALU_DEP_3)
	v_rndne_f32_e32 v26, v11
	v_sub_f32_e32 v2, v2, v4
	v_fma_f32 v25, 0x3fb8aa3b, v7, -v11
	v_dual_sub_f32 v0, v0, v4 :: v_dual_sub_f32 v11, v11, v26
	s_delay_alu instid0(VALU_DEP_3) | instskip(NEXT) | instid1(VALU_DEP_3)
	v_mul_f32_e32 v12, 0x3fb8aa3b, v2
	v_fmac_f32_e32 v25, 0x32a5705f, v7
	s_delay_alu instid0(VALU_DEP_3) | instskip(SKIP_1) | instid1(VALU_DEP_4)
	v_cmp_ngt_f32_e32 vcc_lo, 0xc2ce8ed0, v0
	v_cvt_i32_f32_e32 v26, v26
	v_fma_f32 v27, 0x3fb8aa3b, v2, -v12
	v_dual_sub_f32 v8, v9, v4 :: v_dual_mul_f32 v9, 0x3fb8aa3b, v5
	v_rndne_f32_e32 v28, v12
	v_add_f32_e32 v11, v11, v25
	s_delay_alu instid0(VALU_DEP_4) | instskip(NEXT) | instid1(VALU_DEP_4)
	v_fmac_f32_e32 v27, 0x32a5705f, v2
	v_mul_f32_e32 v13, 0x3fb8aa3b, v8
	v_fma_f32 v21, 0x3fb8aa3b, v5, -v9
	v_rndne_f32_e32 v22, v9
	v_rndne_f32_e32 v24, v10
	v_sub_f32_e32 v12, v12, v28
	v_rndne_f32_e32 v30, v13
	v_dual_sub_f32 v4, v6, v4 :: v_dual_fmac_f32 v21, 0x32a5705f, v5
	v_sub_f32_e32 v9, v9, v22
	v_fma_f32 v29, 0x3fb8aa3b, v8, -v13
	s_delay_alu instid0(VALU_DEP_4) | instskip(SKIP_1) | instid1(VALU_DEP_4)
	v_dual_sub_f32 v13, v13, v30 :: v_dual_sub_f32 v10, v10, v24
	v_cvt_i32_f32_e32 v22, v22
	v_add_f32_e32 v9, v9, v21
	v_mul_f32_e32 v15, 0x3fb8aa3b, v4
	v_exp_f32_e32 v11, v11
	v_add_f32_e32 v10, v10, v23
	v_cvt_i32_f32_e32 v24, v24
	v_exp_f32_e32 v9, v9
	v_rndne_f32_e32 v34, v15
	v_mul_f32_e32 v6, 0x3fb8aa3b, v0
	v_fma_f32 v33, 0x3fb8aa3b, v4, -v15
	v_add_f32_e32 v12, v12, v27
	v_exp_f32_e32 v10, v10
	v_sub_f32_e32 v15, v15, v34
	v_fma_f32 v19, 0x3fb8aa3b, v0, -v6
	v_rndne_f32_e32 v20, v6
	v_ldexp_f32 v11, v11, v26
	v_ldexp_f32 v9, v9, v22
	v_exp_f32_e32 v12, v12
	v_fmac_f32_e32 v19, 0x32a5705f, v0
	v_sub_f32_e32 v6, v6, v20
	v_cvt_i32_f32_e32 v20, v20
	v_ldexp_f32 v10, v10, v24
	v_cvt_i32_f32_e32 v28, v28
	v_cvt_i32_f32_e32 v30, v30
	v_add_f32_e32 v6, v6, v19
	v_fma_f32 v31, 0x3fb8aa3b, v3, -v14
	v_sub_f32_e32 v14, v14, v32
	v_ldexp_f32 v12, v12, v28
	v_cvt_i32_f32_e32 v19, v32
	v_exp_f32_e32 v6, v6
	v_fmac_f32_e32 v31, 0x32a5705f, v3
	v_fmac_f32_e32 v29, 0x32a5705f, v8
	v_cvt_i32_f32_e32 v21, v34
	s_delay_alu instid0(VALU_DEP_2)
	v_dual_add_f32 v14, v14, v31 :: v_dual_add_f32 v13, v13, v29
	s_waitcnt_depctr 0xfff
	v_ldexp_f32 v6, v6, v20
	v_fmac_f32_e32 v33, 0x32a5705f, v4
	v_exp_f32_e32 v13, v13
	v_exp_f32_e32 v14, v14
	s_delay_alu instid0(VALU_DEP_2) | instskip(SKIP_4) | instid1(TRANS32_DEP_2)
	v_cndmask_b32_e32 v6, 0, v6, vcc_lo
	v_cmp_ngt_f32_e32 vcc_lo, 0xc2ce8ed0, v5
	v_cndmask_b32_e32 v9, 0, v9, vcc_lo
	v_cmp_ngt_f32_e32 vcc_lo, 0xc2ce8ed0, v1
	v_add_f32_e32 v15, v15, v33
	v_ldexp_f32 v13, v13, v30
	s_delay_alu instid0(TRANS32_DEP_1)
	v_ldexp_f32 v14, v14, v19
	v_cndmask_b32_e32 v10, 0, v10, vcc_lo
	v_cmp_nlt_f32_e32 vcc_lo, 0x42b17218, v0
	v_exp_f32_e32 v15, v15
	v_cndmask_b32_e32 v0, 0x7f800000, v6, vcc_lo
	v_cmp_nlt_f32_e32 vcc_lo, 0x42b17218, v5
	v_cndmask_b32_e32 v5, 0x7f800000, v9, vcc_lo
	v_cmp_ngt_f32_e32 vcc_lo, 0xc2ce8ed0, v7
	s_waitcnt_depctr 0xfff
	v_ldexp_f32 v15, v15, v21
	v_cndmask_b32_e32 v6, 0, v11, vcc_lo
	v_cmp_nlt_f32_e32 vcc_lo, 0x42b17218, v1
	v_cndmask_b32_e32 v1, 0x7f800000, v10, vcc_lo
	v_cmp_ngt_f32_e32 vcc_lo, 0xc2ce8ed0, v2
	v_dual_add_f32 v9, v0, v5 :: v_dual_cndmask_b32 v10, 0, v12
	v_cmp_nlt_f32_e32 vcc_lo, 0x42b17218, v7
	s_delay_alu instid0(VALU_DEP_2)
	v_dual_add_f32 v7, v9, v1 :: v_dual_cndmask_b32 v6, 0x7f800000, v6
	v_cmp_ngt_f32_e32 vcc_lo, 0xc2ce8ed0, v8
	v_cndmask_b32_e32 v9, 0, v13, vcc_lo
	v_cmp_nlt_f32_e32 vcc_lo, 0x42b17218, v2
	v_cndmask_b32_e32 v2, 0x7f800000, v10, vcc_lo
	v_cmp_ngt_f32_e32 vcc_lo, 0xc2ce8ed0, v3
	v_cndmask_b32_e32 v10, 0, v14, vcc_lo
	v_cmp_nlt_f32_e32 vcc_lo, 0x42b17218, v8
	v_dual_add_f32 v7, v7, v6 :: v_dual_cndmask_b32 v8, 0x7f800000, v9
	v_cmp_ngt_f32_e32 vcc_lo, 0xc2ce8ed0, v4
	v_cndmask_b32_e32 v9, 0, v15, vcc_lo
	v_cmp_nlt_f32_e32 vcc_lo, 0x42b17218, v3
	v_cndmask_b32_e32 v3, 0x7f800000, v10, vcc_lo
	v_cmp_nlt_f32_e32 vcc_lo, 0x42b17218, v4
	s_delay_alu instid0(VALU_DEP_4) | instskip(NEXT) | instid1(VALU_DEP_1)
	v_dual_add_f32 v7, v7, v2 :: v_dual_cndmask_b32 v4, 0x7f800000, v9
	v_add_f32_e32 v7, v7, v8
	s_delay_alu instid0(VALU_DEP_1) | instskip(NEXT) | instid1(VALU_DEP_1)
	v_add_f32_e32 v7, v7, v3
	v_add_f32_e32 v7, v7, v4
	ds_bpermute_b32 v9, v18, v7
	s_waitcnt lgkmcnt(0)
	v_add_f32_e32 v7, v7, v9
	s_delay_alu instid0(VALU_DEP_1) | instskip(SKIP_1) | instid1(VALU_DEP_2)
	v_div_scale_f32 v9, null, v7, v7, 1.0
	v_div_scale_f32 v12, vcc_lo, 1.0, v7, 1.0
	v_rcp_f32_e32 v10, v9
	s_waitcnt_depctr 0xfff
	v_fma_f32 v11, -v9, v10, 1.0
	s_delay_alu instid0(VALU_DEP_1) | instskip(NEXT) | instid1(VALU_DEP_1)
	v_fmac_f32_e32 v10, v11, v10
	v_mul_f32_e32 v11, v12, v10
	s_delay_alu instid0(VALU_DEP_1) | instskip(NEXT) | instid1(VALU_DEP_1)
	v_fma_f32 v13, -v9, v11, v12
	v_fmac_f32_e32 v11, v13, v10
	s_delay_alu instid0(VALU_DEP_1) | instskip(NEXT) | instid1(VALU_DEP_1)
	v_fma_f32 v9, -v9, v11, v12
	v_div_fmas_f32 v9, v9, v10, v11
	s_delay_alu instid0(VALU_DEP_1) | instskip(NEXT) | instid1(VALU_DEP_1)
	v_div_fixup_f32 v7, v9, v7, 1.0
	v_dual_mul_f32 v10, v7, v2 :: v_dual_lshlrev_b32 v19, 3, v17
	v_mul_f32_e32 v0, v7, v0
	v_mul_f32_e32 v5, v7, v5
	;; [unrolled: 1-line block ×5, first 2 shown]
	v_cmp_class_f32_e64 vcc_lo, v0, 0x1f8
	v_mul_f32_e32 v6, v7, v6
	v_mul_f32_e32 v7, v7, v4
	v_cndmask_b32_e32 v0, 0, v0, vcc_lo
	v_cmp_class_f32_e64 vcc_lo, v5, 0x1f8
	v_cndmask_b32_e32 v1, 0, v5, vcc_lo
	v_cmp_class_f32_e64 vcc_lo, v9, 0x1f8
	;; [unrolled: 2-line block ×7, first 2 shown]
	v_cndmask_b32_e32 v7, 0, v7, vcc_lo
	s_cbranch_scc1 .LBB95_19
; %bb.4:
	v_lshlrev_b32_e32 v12, 2, v19
	s_clause 0x1
	global_load_b128 v[8:11], v12, s[2:3]
	global_load_b128 v[12:15], v12, s[2:3] offset:16
	s_waitcnt vmcnt(1)
	v_dual_add_f32 v9, v9, v1 :: v_dual_add_f32 v8, v8, v0
	v_dual_add_f32 v11, v11, v3 :: v_dual_add_f32 v10, v10, v2
	s_waitcnt vmcnt(0)
	v_dual_add_f32 v13, v13, v5 :: v_dual_add_f32 v12, v12, v4
	v_dual_add_f32 v15, v15, v7 :: v_dual_add_f32 v14, v14, v6
	s_cbranch_execnz .LBB95_6
.LBB95_5:
	v_dual_mov_b32 v15, v7 :: v_dual_mov_b32 v14, v6
	v_dual_mov_b32 v13, v5 :: v_dual_mov_b32 v12, v4
	;; [unrolled: 1-line block ×4, first 2 shown]
.LBB95_6:
	s_load_b128 s[4:7], s[0:1], 0x30
	v_cmp_eq_u32_e64 s2, 0, v17
	s_waitcnt lgkmcnt(0)
	s_bitcmp1_b32 s7, 0
	s_mov_b32 s7, 0
	s_cselect_b32 vcc_lo, -1, 0
	s_cmp_gt_i32 s4, 0
	s_cselect_b32 s3, -1, 0
	s_cmp_lt_i32 s4, 1
	s_cbranch_scc1 .LBB95_20
; %bb.7:
	s_load_b128 s[8:11], s[0:1], 0x20
	v_mul_lo_u32 v21, v16, s4
	v_mov_b32_e32 v20, 0
	v_mov_b32_e32 v22, v16
	s_branch .LBB95_10
.LBB95_8:                               ;   in Loop: Header=BB95_10 Depth=1
	s_or_b32 exec_lo, exec_lo, s1
.LBB95_9:                               ;   in Loop: Header=BB95_10 Depth=1
	v_add_nc_u32_e32 v22, s14, v22
	s_cmp_eq_u32 s4, s7
	s_cbranch_scc1 .LBB95_21
.LBB95_10:                              ; =>This Inner Loop Header: Depth=1
	v_cmp_gt_f32_e64 s0, v9, v8
	s_mov_b32 s17, exec_lo
	s_delay_alu instid0(VALU_DEP_1) | instskip(SKIP_2) | instid1(VALU_DEP_3)
	v_cndmask_b32_e64 v23, v8, v9, s0
	v_cndmask_b32_e64 v24, 0, 1, s0
	;; [unrolled: 1-line block ×3, first 2 shown]
	v_cmp_gt_f32_e64 s1, v10, v23
	s_delay_alu instid0(VALU_DEP_1) | instskip(NEXT) | instid1(VALU_DEP_4)
	v_cndmask_b32_e64 v23, v23, v10, s1
	v_cndmask_b32_e64 v24, v24, 2, s1
	s_delay_alu instid0(VALU_DEP_4) | instskip(NEXT) | instid1(VALU_DEP_3)
	v_cndmask_b32_e64 v25, v25, v2, s1
	v_cmp_gt_f32_e64 s0, v11, v23
	s_delay_alu instid0(VALU_DEP_1) | instskip(NEXT) | instid1(VALU_DEP_4)
	v_cndmask_b32_e64 v23, v23, v11, s0
	v_cndmask_b32_e64 v24, v24, 3, s0
	s_delay_alu instid0(VALU_DEP_4) | instskip(NEXT) | instid1(VALU_DEP_3)
	v_cndmask_b32_e64 v25, v25, v3, s0
	;; [unrolled: 6-line block ×5, first 2 shown]
	v_cmp_gt_f32_e64 s0, v15, v23
	s_delay_alu instid0(VALU_DEP_1) | instskip(NEXT) | instid1(VALU_DEP_4)
	v_cndmask_b32_e64 v27, v23, v15, s0
	v_cndmask_b32_e64 v23, v24, 7, s0
	s_delay_alu instid0(VALU_DEP_4)
	v_cndmask_b32_e64 v24, v25, v7, s0
	ds_bpermute_b32 v28, v18, v27
	v_or_b32_e32 v23, v19, v23
	ds_bpermute_b32 v26, v18, v24
	ds_bpermute_b32 v25, v18, v23
	s_waitcnt lgkmcnt(0)
	v_cmp_lt_f32_e64 s16, v27, v28
	v_cmpx_nlt_f32_e32 v27, v28
	s_cbranch_execnz .LBB95_14
; %bb.11:                               ;   in Loop: Header=BB95_10 Depth=1
	s_or_b32 exec_lo, exec_lo, s17
	s_delay_alu instid0(VALU_DEP_2)
	s_and_saveexec_b32 s0, s16
	s_cbranch_execnz .LBB95_15
.LBB95_12:                              ;   in Loop: Header=BB95_10 Depth=1
	s_or_b32 exec_lo, exec_lo, s0
	s_and_saveexec_b32 s16, s2
	s_cbranch_execnz .LBB95_16
.LBB95_13:                              ;   in Loop: Header=BB95_10 Depth=1
	s_or_b32 exec_lo, exec_lo, s16
	s_add_i32 s7, s7, 1
	s_delay_alu instid0(SALU_CYCLE_1)
	s_cmp_ge_i32 s7, s4
	s_cbranch_scc1 .LBB95_9
	s_branch .LBB95_17
.LBB95_14:                              ;   in Loop: Header=BB95_10 Depth=1
	v_cmp_eq_f32_e64 s0, v27, v28
	v_cmp_lt_i32_e64 s1, v25, v23
	s_delay_alu instid0(VALU_DEP_1) | instskip(SKIP_2) | instid1(SALU_CYCLE_1)
	s_and_b32 s0, s0, s1
	s_and_not1_b32 s1, s16, exec_lo
	s_and_b32 s0, s0, exec_lo
	s_or_b32 s16, s1, s0
	s_or_b32 exec_lo, exec_lo, s17
	s_and_saveexec_b32 s0, s16
	s_cbranch_execz .LBB95_12
.LBB95_15:                              ;   in Loop: Header=BB95_10 Depth=1
	v_dual_mov_b32 v24, v26 :: v_dual_mov_b32 v23, v25
	s_or_b32 exec_lo, exec_lo, s0
	s_and_saveexec_b32 s16, s2
	s_cbranch_execz .LBB95_13
.LBB95_16:                              ;   in Loop: Header=BB95_10 Depth=1
	s_delay_alu instid0(VALU_DEP_1) | instskip(SKIP_3) | instid1(VALU_DEP_4)
	v_dual_add_f32 v32, v20, v24 :: v_dual_add_nc_u32 v25, s7, v21
	v_cmp_le_i32_e64 s0, s5, v23
	v_cmp_gt_i32_e64 s1, s6, v23
	v_subrev_nc_u32_e32 v27, s5, v23
	v_ashrrev_i32_e32 v26, 31, v25
	v_cndmask_b32_e32 v20, v20, v32, vcc_lo
	s_delay_alu instid0(VALU_DEP_4) | instskip(NEXT) | instid1(SALU_CYCLE_1)
	s_and_b32 s0, s0, s1
	s_and_b32 s0, s15, s0
	s_delay_alu instid0(VALU_DEP_2) | instskip(SKIP_1) | instid1(VALU_DEP_2)
	v_lshlrev_b64 v[25:26], 2, v[25:26]
	v_cndmask_b32_e64 v31, 16, v27, s0
	v_add_co_u32 v27, s0, s12, v25
	s_delay_alu instid0(VALU_DEP_1) | instskip(SKIP_1) | instid1(VALU_DEP_1)
	v_add_co_ci_u32_e64 v28, s0, s13, v26, s0
	v_add_co_u32 v29, s0, s8, v25
	v_add_co_ci_u32_e64 v30, s0, s9, v26, s0
	v_add_co_u32 v25, s0, s10, v25
	s_delay_alu instid0(VALU_DEP_1)
	v_add_co_ci_u32_e64 v26, s0, s11, v26, s0
	global_store_b32 v[27:28], v24, off
	global_store_b32 v[29:30], v31, off
	;; [unrolled: 1-line block ×3, first 2 shown]
	s_or_b32 exec_lo, exec_lo, s16
	s_add_i32 s7, s7, 1
	s_delay_alu instid0(SALU_CYCLE_1)
	s_cmp_ge_i32 s7, s4
	s_cbranch_scc1 .LBB95_9
.LBB95_17:                              ;   in Loop: Header=BB95_10 Depth=1
	v_ashrrev_i32_e32 v25, 31, v23
	s_mov_b32 s1, exec_lo
	s_delay_alu instid0(VALU_DEP_1) | instskip(NEXT) | instid1(VALU_DEP_1)
	v_lshrrev_b32_e32 v24, 29, v25
	v_add_nc_u32_e32 v26, v23, v24
	s_delay_alu instid0(VALU_DEP_1) | instskip(SKIP_1) | instid1(VALU_DEP_1)
	v_ashrrev_i32_e32 v24, 3, v26
	v_lshrrev_b32_e32 v26, 31, v26
	v_add_nc_u32_e32 v26, v24, v26
	s_delay_alu instid0(VALU_DEP_1) | instskip(NEXT) | instid1(VALU_DEP_1)
	v_and_b32_e32 v26, -2, v26
	v_sub_nc_u32_e32 v26, v24, v26
	s_delay_alu instid0(VALU_DEP_1)
	v_cmpx_eq_u32_e64 v17, v26
	s_cbranch_execz .LBB95_8
; %bb.18:                               ;   in Loop: Header=BB95_10 Depth=1
	v_lshrrev_b32_e32 v25, 28, v25
	v_lshlrev_b32_e32 v24, 3, v24
	s_delay_alu instid0(VALU_DEP_2) | instskip(NEXT) | instid1(VALU_DEP_2)
	v_add_nc_u32_e32 v25, v23, v25
	v_sub_nc_u32_e32 v23, v23, v24
	s_delay_alu instid0(VALU_DEP_2) | instskip(NEXT) | instid1(VALU_DEP_1)
	v_ashrrev_i32_e32 v24, 4, v25
	v_lshl_add_u32 v23, v24, 3, v23
	s_delay_alu instid0(VALU_DEP_1) | instskip(NEXT) | instid1(VALU_DEP_1)
	v_cmp_ne_u32_e64 s0, 7, v23
	v_cndmask_b32_e64 v15, 0xc61c4000, v15, s0
	v_cmp_ne_u32_e64 s0, 6, v23
	s_delay_alu instid0(VALU_DEP_1) | instskip(SKIP_1) | instid1(VALU_DEP_1)
	v_cndmask_b32_e64 v14, 0xc61c4000, v14, s0
	v_cmp_ne_u32_e64 s0, 5, v23
	v_cndmask_b32_e64 v13, 0xc61c4000, v13, s0
	v_cmp_ne_u32_e64 s0, 4, v23
	s_delay_alu instid0(VALU_DEP_1) | instskip(SKIP_1) | instid1(VALU_DEP_1)
	v_cndmask_b32_e64 v12, 0xc61c4000, v12, s0
	;; [unrolled: 5-line block ×3, first 2 shown]
	v_cmp_ne_u32_e64 s0, 1, v23
	v_cndmask_b32_e64 v9, 0xc61c4000, v9, s0
	v_cmp_ne_u32_e64 s0, 0, v23
	s_delay_alu instid0(VALU_DEP_1)
	v_cndmask_b32_e64 v8, 0xc61c4000, v8, s0
	s_branch .LBB95_8
.LBB95_19:
                                        ; implicit-def: $vgpr8_vgpr9_vgpr10_vgpr11_vgpr12_vgpr13_vgpr14_vgpr15
	s_and_not1_b32 vcc_lo, exec_lo, s8
	s_cbranch_vccz .LBB95_5
	s_branch .LBB95_6
.LBB95_20:
	v_mov_b32_e32 v20, 0
.LBB95_21:
	v_cmp_eq_u32_e64 s0, 0, v17
	s_delay_alu instid0(VALU_DEP_1) | instskip(NEXT) | instid1(SALU_CYCLE_1)
	s_and_b32 s0, s0, vcc_lo
	s_and_b32 exec_lo, exec_lo, s0
	s_cbranch_execz .LBB95_25
; %bb.22:
	s_and_not1_b32 vcc_lo, exec_lo, s3
	s_cbranch_vccnz .LBB95_25
; %bb.23:
	v_mul_lo_u32 v0, v16, s4
	v_cmp_lt_f32_e32 vcc_lo, 0, v20
	v_cndmask_b32_e32 v2, 1.0, v20, vcc_lo
	s_delay_alu instid0(VALU_DEP_3) | instskip(NEXT) | instid1(VALU_DEP_1)
	v_ashrrev_i32_e32 v1, 31, v0
	v_lshlrev_b64 v[0:1], 2, v[0:1]
	s_delay_alu instid0(VALU_DEP_1) | instskip(NEXT) | instid1(VALU_DEP_2)
	v_add_co_u32 v0, vcc_lo, s12, v0
	v_add_co_ci_u32_e32 v1, vcc_lo, s13, v1, vcc_lo
	.p2align	6
.LBB95_24:                              ; =>This Inner Loop Header: Depth=1
	global_load_b32 v3, v[0:1], off
	s_add_i32 s4, s4, -1
	s_delay_alu instid0(SALU_CYCLE_1) | instskip(SKIP_3) | instid1(VALU_DEP_2)
	s_cmp_lg_u32 s4, 0
	s_waitcnt vmcnt(0)
	v_div_scale_f32 v4, null, v2, v2, v3
	v_div_scale_f32 v7, vcc_lo, v3, v2, v3
	v_rcp_f32_e32 v5, v4
	s_waitcnt_depctr 0xfff
	v_fma_f32 v6, -v4, v5, 1.0
	s_delay_alu instid0(VALU_DEP_1) | instskip(NEXT) | instid1(VALU_DEP_1)
	v_fmac_f32_e32 v5, v6, v5
	v_mul_f32_e32 v6, v7, v5
	s_delay_alu instid0(VALU_DEP_1) | instskip(NEXT) | instid1(VALU_DEP_1)
	v_fma_f32 v8, -v4, v6, v7
	v_fmac_f32_e32 v6, v8, v5
	s_delay_alu instid0(VALU_DEP_1) | instskip(NEXT) | instid1(VALU_DEP_1)
	v_fma_f32 v4, -v4, v6, v7
	v_div_fmas_f32 v4, v4, v5, v6
	s_delay_alu instid0(VALU_DEP_1)
	v_div_fixup_f32 v3, v4, v2, v3
	global_store_b32 v[0:1], v3, off
	v_add_co_u32 v0, vcc_lo, v0, 4
	v_add_co_ci_u32_e32 v1, vcc_lo, 0, v1, vcc_lo
	s_cbranch_scc1 .LBB95_24
.LBB95_25:
	s_nop 0
	s_sendmsg sendmsg(MSG_DEALLOC_VGPRS)
	s_endpgm
	.section	.rodata,"a",@progbits
	.p2align	6, 0x0
	.amdhsa_kernel _ZN4vllm3moe10topkGatingILi8ELi16ELi4ELi16ELi64Ej6__halfLNS0_11ScoringFuncE0EEEvPKT5_PKbPfiPT4_PiiiibPKf
		.amdhsa_group_segment_fixed_size 0
		.amdhsa_private_segment_fixed_size 0
		.amdhsa_kernarg_size 72
		.amdhsa_user_sgpr_count 15
		.amdhsa_user_sgpr_dispatch_ptr 0
		.amdhsa_user_sgpr_queue_ptr 0
		.amdhsa_user_sgpr_kernarg_segment_ptr 1
		.amdhsa_user_sgpr_dispatch_id 0
		.amdhsa_user_sgpr_private_segment_size 0
		.amdhsa_wavefront_size32 1
		.amdhsa_uses_dynamic_stack 0
		.amdhsa_enable_private_segment 0
		.amdhsa_system_sgpr_workgroup_id_x 1
		.amdhsa_system_sgpr_workgroup_id_y 0
		.amdhsa_system_sgpr_workgroup_id_z 0
		.amdhsa_system_sgpr_workgroup_info 0
		.amdhsa_system_vgpr_workitem_id 1
		.amdhsa_next_free_vgpr 35
		.amdhsa_next_free_sgpr 18
		.amdhsa_reserve_vcc 1
		.amdhsa_float_round_mode_32 0
		.amdhsa_float_round_mode_16_64 0
		.amdhsa_float_denorm_mode_32 3
		.amdhsa_float_denorm_mode_16_64 3
		.amdhsa_dx10_clamp 1
		.amdhsa_ieee_mode 1
		.amdhsa_fp16_overflow 0
		.amdhsa_workgroup_processor_mode 1
		.amdhsa_memory_ordered 1
		.amdhsa_forward_progress 0
		.amdhsa_shared_vgpr_count 0
		.amdhsa_exception_fp_ieee_invalid_op 0
		.amdhsa_exception_fp_denorm_src 0
		.amdhsa_exception_fp_ieee_div_zero 0
		.amdhsa_exception_fp_ieee_overflow 0
		.amdhsa_exception_fp_ieee_underflow 0
		.amdhsa_exception_fp_ieee_inexact 0
		.amdhsa_exception_int_div_zero 0
	.end_amdhsa_kernel
	.section	.text._ZN4vllm3moe10topkGatingILi8ELi16ELi4ELi16ELi64Ej6__halfLNS0_11ScoringFuncE0EEEvPKT5_PKbPfiPT4_PiiiibPKf,"axG",@progbits,_ZN4vllm3moe10topkGatingILi8ELi16ELi4ELi16ELi64Ej6__halfLNS0_11ScoringFuncE0EEEvPKT5_PKbPfiPT4_PiiiibPKf,comdat
.Lfunc_end95:
	.size	_ZN4vllm3moe10topkGatingILi8ELi16ELi4ELi16ELi64Ej6__halfLNS0_11ScoringFuncE0EEEvPKT5_PKbPfiPT4_PiiiibPKf, .Lfunc_end95-_ZN4vllm3moe10topkGatingILi8ELi16ELi4ELi16ELi64Ej6__halfLNS0_11ScoringFuncE0EEEvPKT5_PKbPfiPT4_PiiiibPKf
                                        ; -- End function
	.section	.AMDGPU.csdata,"",@progbits
; Kernel info:
; codeLenInByte = 2824
; NumSgprs: 20
; NumVgprs: 35
; ScratchSize: 0
; MemoryBound: 0
; FloatMode: 240
; IeeeMode: 1
; LDSByteSize: 0 bytes/workgroup (compile time only)
; SGPRBlocks: 2
; VGPRBlocks: 4
; NumSGPRsForWavesPerEU: 20
; NumVGPRsForWavesPerEU: 35
; Occupancy: 16
; WaveLimiterHint : 0
; COMPUTE_PGM_RSRC2:SCRATCH_EN: 0
; COMPUTE_PGM_RSRC2:USER_SGPR: 15
; COMPUTE_PGM_RSRC2:TRAP_HANDLER: 0
; COMPUTE_PGM_RSRC2:TGID_X_EN: 1
; COMPUTE_PGM_RSRC2:TGID_Y_EN: 0
; COMPUTE_PGM_RSRC2:TGID_Z_EN: 0
; COMPUTE_PGM_RSRC2:TIDIG_COMP_CNT: 1
	.section	.text._ZN4vllm3moe10topkGatingILi8ELi16ELi4ELi16ELi32Ej6__halfLNS0_11ScoringFuncE0EEEvPKT5_PKbPfiPT4_PiiiibPKf,"axG",@progbits,_ZN4vllm3moe10topkGatingILi8ELi16ELi4ELi16ELi32Ej6__halfLNS0_11ScoringFuncE0EEEvPKT5_PKbPfiPT4_PiiiibPKf,comdat
	.protected	_ZN4vllm3moe10topkGatingILi8ELi16ELi4ELi16ELi32Ej6__halfLNS0_11ScoringFuncE0EEEvPKT5_PKbPfiPT4_PiiiibPKf ; -- Begin function _ZN4vllm3moe10topkGatingILi8ELi16ELi4ELi16ELi32Ej6__halfLNS0_11ScoringFuncE0EEEvPKT5_PKbPfiPT4_PiiiibPKf
	.globl	_ZN4vllm3moe10topkGatingILi8ELi16ELi4ELi16ELi32Ej6__halfLNS0_11ScoringFuncE0EEEvPKT5_PKbPfiPT4_PiiiibPKf
	.p2align	8
	.type	_ZN4vllm3moe10topkGatingILi8ELi16ELi4ELi16ELi32Ej6__halfLNS0_11ScoringFuncE0EEEvPKT5_PKbPfiPT4_PiiiibPKf,@function
_ZN4vllm3moe10topkGatingILi8ELi16ELi4ELi16ELi32Ej6__halfLNS0_11ScoringFuncE0EEEvPKT5_PKbPfiPT4_PiiiibPKf: ; @_ZN4vllm3moe10topkGatingILi8ELi16ELi4ELi16ELi32Ej6__halfLNS0_11ScoringFuncE0EEEvPKT5_PKbPfiPT4_PiiiibPKf
; %bb.0:
	s_load_b32 s14, s[0:1], 0x18
	v_bfe_u32 v1, v0, 10, 10
	v_and_b32_e32 v0, 0x3ff, v0
	s_lshl_b32 s2, s15, 6
	s_delay_alu instid0(VALU_DEP_2) | instskip(NEXT) | instid1(VALU_DEP_2)
	v_lshlrev_b32_e32 v1, 4, v1
	v_lshrrev_b32_e32 v2, 1, v0
	s_delay_alu instid0(VALU_DEP_1) | instskip(SKIP_2) | instid1(VALU_DEP_1)
	v_add3_u32 v16, s2, v1, v2
	s_mov_b32 s2, exec_lo
	s_waitcnt lgkmcnt(0)
	v_cmpx_gt_i32_e64 s14, v16
	s_cbranch_execz .LBB96_25
; %bb.1:
	s_clause 0x1
	s_load_b128 s[4:7], s[0:1], 0x0
	s_load_b64 s[12:13], s[0:1], 0x10
	s_mov_b32 s8, -1
	s_mov_b32 s15, -1
	s_waitcnt lgkmcnt(0)
	s_cmp_eq_u64 s[6:7], 0
	s_cbranch_scc1 .LBB96_3
; %bb.2:
	v_ashrrev_i32_e32 v2, 31, v16
	v_add_co_u32 v1, vcc_lo, s6, v16
	s_delay_alu instid0(VALU_DEP_2) | instskip(SKIP_3) | instid1(VALU_DEP_1)
	v_add_co_ci_u32_e32 v2, vcc_lo, s7, v2, vcc_lo
	global_load_u8 v1, v[1:2], off
	s_waitcnt vmcnt(0)
	v_and_b32_e32 v1, 1, v1
	v_cmp_eq_u32_e32 vcc_lo, 1, v1
	s_xor_b32 s2, vcc_lo, -1
	s_delay_alu instid0(SALU_CYCLE_1)
	s_or_not1_b32 s15, s2, exec_lo
.LBB96_3:
	v_lshlrev_b32_e32 v1, 4, v16
	v_mbcnt_lo_u32_b32 v4, -1, 0
	s_load_b64 s[2:3], s[0:1], 0x40
	s_delay_alu instid0(VALU_DEP_2) | instskip(NEXT) | instid1(VALU_DEP_2)
	v_ashrrev_i32_e32 v2, 31, v1
	v_xor_b32_e32 v6, 1, v4
	v_and_b32_e32 v17, 1, v0
	v_and_b32_e32 v8, 30, v4
	s_delay_alu instid0(VALU_DEP_4) | instskip(NEXT) | instid1(VALU_DEP_3)
	v_lshlrev_b64 v[0:1], 1, v[1:2]
	v_lshlrev_b32_e32 v2, 4, v17
	s_delay_alu instid0(VALU_DEP_3) | instskip(NEXT) | instid1(VALU_DEP_3)
	v_add_nc_u32_e32 v8, 2, v8
	v_add_co_u32 v0, vcc_lo, s4, v0
	s_delay_alu instid0(VALU_DEP_4) | instskip(NEXT) | instid1(VALU_DEP_2)
	v_add_co_ci_u32_e32 v1, vcc_lo, s5, v1, vcc_lo
	v_add_co_u32 v0, vcc_lo, v0, v2
	s_delay_alu instid0(VALU_DEP_2)
	v_add_co_ci_u32_e32 v1, vcc_lo, 0, v1, vcc_lo
	v_cmp_lt_i32_e32 vcc_lo, v6, v8
	s_waitcnt lgkmcnt(0)
	s_cmp_eq_u64 s[2:3], 0
	global_load_b128 v[0:3], v[0:1], off
	v_cndmask_b32_e32 v4, v4, v6, vcc_lo
	s_delay_alu instid0(VALU_DEP_1)
	v_lshlrev_b32_e32 v18, 2, v4
	s_waitcnt vmcnt(0)
	v_lshrrev_b32_e32 v5, 16, v0
	v_cvt_f32_f16_e32 v0, v0
	v_lshrrev_b32_e32 v7, 16, v1
	v_cvt_f32_f16_e32 v1, v1
	v_lshrrev_b32_e32 v9, 16, v2
	v_cvt_f32_f16_e32 v5, v5
	v_cvt_f32_f16_e32 v2, v2
	v_cvt_f32_f16_e32 v7, v7
	v_lshrrev_b32_e32 v11, 16, v3
	v_cvt_f32_f16_e32 v9, v9
	v_max_f32_e32 v10, v0, v5
	v_cvt_f32_f16_e32 v3, v3
	s_delay_alu instid0(VALU_DEP_4) | instskip(NEXT) | instid1(VALU_DEP_3)
	v_cvt_f32_f16_e32 v6, v11
	v_max3_f32 v10, v10, v1, v7
	s_delay_alu instid0(VALU_DEP_1) | instskip(NEXT) | instid1(VALU_DEP_1)
	v_max3_f32 v8, v10, v2, v9
	v_max3_f32 v4, v8, v3, v6
	ds_bpermute_b32 v8, v18, v4
	s_waitcnt lgkmcnt(0)
	v_max_f32_e32 v8, v8, v8
	s_delay_alu instid0(VALU_DEP_1) | instskip(NEXT) | instid1(VALU_DEP_1)
	v_max_f32_e32 v4, v4, v8
	v_sub_f32_e32 v1, v1, v4
	s_delay_alu instid0(VALU_DEP_1) | instskip(NEXT) | instid1(VALU_DEP_1)
	v_mul_f32_e32 v10, 0x3fb8aa3b, v1
	v_fma_f32 v23, 0x3fb8aa3b, v1, -v10
	s_delay_alu instid0(VALU_DEP_1) | instskip(SKIP_2) | instid1(VALU_DEP_2)
	v_fmac_f32_e32 v23, 0x32a5705f, v1
	v_sub_f32_e32 v3, v3, v4
	v_sub_f32_e32 v7, v7, v4
	v_dual_sub_f32 v5, v5, v4 :: v_dual_mul_f32 v14, 0x3fb8aa3b, v3
	s_delay_alu instid0(VALU_DEP_2) | instskip(NEXT) | instid1(VALU_DEP_2)
	v_mul_f32_e32 v11, 0x3fb8aa3b, v7
	v_rndne_f32_e32 v32, v14
	s_delay_alu instid0(VALU_DEP_2) | instskip(SKIP_2) | instid1(VALU_DEP_3)
	v_rndne_f32_e32 v26, v11
	v_sub_f32_e32 v2, v2, v4
	v_fma_f32 v25, 0x3fb8aa3b, v7, -v11
	v_dual_sub_f32 v0, v0, v4 :: v_dual_sub_f32 v11, v11, v26
	s_delay_alu instid0(VALU_DEP_3) | instskip(NEXT) | instid1(VALU_DEP_3)
	v_mul_f32_e32 v12, 0x3fb8aa3b, v2
	v_fmac_f32_e32 v25, 0x32a5705f, v7
	s_delay_alu instid0(VALU_DEP_3) | instskip(SKIP_1) | instid1(VALU_DEP_4)
	v_cmp_ngt_f32_e32 vcc_lo, 0xc2ce8ed0, v0
	v_cvt_i32_f32_e32 v26, v26
	v_fma_f32 v27, 0x3fb8aa3b, v2, -v12
	v_dual_sub_f32 v8, v9, v4 :: v_dual_mul_f32 v9, 0x3fb8aa3b, v5
	v_rndne_f32_e32 v28, v12
	v_add_f32_e32 v11, v11, v25
	s_delay_alu instid0(VALU_DEP_4) | instskip(NEXT) | instid1(VALU_DEP_4)
	v_fmac_f32_e32 v27, 0x32a5705f, v2
	v_mul_f32_e32 v13, 0x3fb8aa3b, v8
	v_fma_f32 v21, 0x3fb8aa3b, v5, -v9
	v_rndne_f32_e32 v22, v9
	v_rndne_f32_e32 v24, v10
	v_sub_f32_e32 v12, v12, v28
	v_rndne_f32_e32 v30, v13
	v_dual_sub_f32 v4, v6, v4 :: v_dual_fmac_f32 v21, 0x32a5705f, v5
	v_sub_f32_e32 v9, v9, v22
	v_fma_f32 v29, 0x3fb8aa3b, v8, -v13
	s_delay_alu instid0(VALU_DEP_4) | instskip(SKIP_1) | instid1(VALU_DEP_4)
	v_dual_sub_f32 v13, v13, v30 :: v_dual_sub_f32 v10, v10, v24
	v_cvt_i32_f32_e32 v22, v22
	v_add_f32_e32 v9, v9, v21
	v_mul_f32_e32 v15, 0x3fb8aa3b, v4
	v_exp_f32_e32 v11, v11
	v_add_f32_e32 v10, v10, v23
	v_cvt_i32_f32_e32 v24, v24
	v_exp_f32_e32 v9, v9
	v_rndne_f32_e32 v34, v15
	v_mul_f32_e32 v6, 0x3fb8aa3b, v0
	v_fma_f32 v33, 0x3fb8aa3b, v4, -v15
	v_add_f32_e32 v12, v12, v27
	v_exp_f32_e32 v10, v10
	v_sub_f32_e32 v15, v15, v34
	v_fma_f32 v19, 0x3fb8aa3b, v0, -v6
	v_rndne_f32_e32 v20, v6
	v_ldexp_f32 v11, v11, v26
	v_ldexp_f32 v9, v9, v22
	v_exp_f32_e32 v12, v12
	v_fmac_f32_e32 v19, 0x32a5705f, v0
	v_sub_f32_e32 v6, v6, v20
	v_cvt_i32_f32_e32 v20, v20
	v_ldexp_f32 v10, v10, v24
	v_cvt_i32_f32_e32 v28, v28
	v_cvt_i32_f32_e32 v30, v30
	v_add_f32_e32 v6, v6, v19
	v_fma_f32 v31, 0x3fb8aa3b, v3, -v14
	v_sub_f32_e32 v14, v14, v32
	v_ldexp_f32 v12, v12, v28
	v_cvt_i32_f32_e32 v19, v32
	v_exp_f32_e32 v6, v6
	v_fmac_f32_e32 v31, 0x32a5705f, v3
	v_fmac_f32_e32 v29, 0x32a5705f, v8
	v_cvt_i32_f32_e32 v21, v34
	s_delay_alu instid0(VALU_DEP_2)
	v_dual_add_f32 v14, v14, v31 :: v_dual_add_f32 v13, v13, v29
	s_waitcnt_depctr 0xfff
	v_ldexp_f32 v6, v6, v20
	v_fmac_f32_e32 v33, 0x32a5705f, v4
	v_exp_f32_e32 v13, v13
	v_exp_f32_e32 v14, v14
	s_delay_alu instid0(VALU_DEP_2) | instskip(SKIP_4) | instid1(TRANS32_DEP_2)
	v_cndmask_b32_e32 v6, 0, v6, vcc_lo
	v_cmp_ngt_f32_e32 vcc_lo, 0xc2ce8ed0, v5
	v_cndmask_b32_e32 v9, 0, v9, vcc_lo
	v_cmp_ngt_f32_e32 vcc_lo, 0xc2ce8ed0, v1
	v_add_f32_e32 v15, v15, v33
	v_ldexp_f32 v13, v13, v30
	s_delay_alu instid0(TRANS32_DEP_1)
	v_ldexp_f32 v14, v14, v19
	v_cndmask_b32_e32 v10, 0, v10, vcc_lo
	v_cmp_nlt_f32_e32 vcc_lo, 0x42b17218, v0
	v_exp_f32_e32 v15, v15
	v_cndmask_b32_e32 v0, 0x7f800000, v6, vcc_lo
	v_cmp_nlt_f32_e32 vcc_lo, 0x42b17218, v5
	v_cndmask_b32_e32 v5, 0x7f800000, v9, vcc_lo
	v_cmp_ngt_f32_e32 vcc_lo, 0xc2ce8ed0, v7
	s_waitcnt_depctr 0xfff
	v_ldexp_f32 v15, v15, v21
	v_cndmask_b32_e32 v6, 0, v11, vcc_lo
	v_cmp_nlt_f32_e32 vcc_lo, 0x42b17218, v1
	v_cndmask_b32_e32 v1, 0x7f800000, v10, vcc_lo
	v_cmp_ngt_f32_e32 vcc_lo, 0xc2ce8ed0, v2
	v_dual_add_f32 v9, v0, v5 :: v_dual_cndmask_b32 v10, 0, v12
	v_cmp_nlt_f32_e32 vcc_lo, 0x42b17218, v7
	s_delay_alu instid0(VALU_DEP_2)
	v_dual_add_f32 v7, v9, v1 :: v_dual_cndmask_b32 v6, 0x7f800000, v6
	v_cmp_ngt_f32_e32 vcc_lo, 0xc2ce8ed0, v8
	v_cndmask_b32_e32 v9, 0, v13, vcc_lo
	v_cmp_nlt_f32_e32 vcc_lo, 0x42b17218, v2
	v_cndmask_b32_e32 v2, 0x7f800000, v10, vcc_lo
	v_cmp_ngt_f32_e32 vcc_lo, 0xc2ce8ed0, v3
	v_cndmask_b32_e32 v10, 0, v14, vcc_lo
	v_cmp_nlt_f32_e32 vcc_lo, 0x42b17218, v8
	v_dual_add_f32 v7, v7, v6 :: v_dual_cndmask_b32 v8, 0x7f800000, v9
	v_cmp_ngt_f32_e32 vcc_lo, 0xc2ce8ed0, v4
	v_cndmask_b32_e32 v9, 0, v15, vcc_lo
	v_cmp_nlt_f32_e32 vcc_lo, 0x42b17218, v3
	v_cndmask_b32_e32 v3, 0x7f800000, v10, vcc_lo
	v_cmp_nlt_f32_e32 vcc_lo, 0x42b17218, v4
	s_delay_alu instid0(VALU_DEP_4) | instskip(NEXT) | instid1(VALU_DEP_1)
	v_dual_add_f32 v7, v7, v2 :: v_dual_cndmask_b32 v4, 0x7f800000, v9
	v_add_f32_e32 v7, v7, v8
	s_delay_alu instid0(VALU_DEP_1) | instskip(NEXT) | instid1(VALU_DEP_1)
	v_add_f32_e32 v7, v7, v3
	v_add_f32_e32 v7, v7, v4
	ds_bpermute_b32 v9, v18, v7
	s_waitcnt lgkmcnt(0)
	v_add_f32_e32 v7, v7, v9
	s_delay_alu instid0(VALU_DEP_1) | instskip(SKIP_1) | instid1(VALU_DEP_2)
	v_div_scale_f32 v9, null, v7, v7, 1.0
	v_div_scale_f32 v12, vcc_lo, 1.0, v7, 1.0
	v_rcp_f32_e32 v10, v9
	s_waitcnt_depctr 0xfff
	v_fma_f32 v11, -v9, v10, 1.0
	s_delay_alu instid0(VALU_DEP_1) | instskip(NEXT) | instid1(VALU_DEP_1)
	v_fmac_f32_e32 v10, v11, v10
	v_mul_f32_e32 v11, v12, v10
	s_delay_alu instid0(VALU_DEP_1) | instskip(NEXT) | instid1(VALU_DEP_1)
	v_fma_f32 v13, -v9, v11, v12
	v_fmac_f32_e32 v11, v13, v10
	s_delay_alu instid0(VALU_DEP_1) | instskip(NEXT) | instid1(VALU_DEP_1)
	v_fma_f32 v9, -v9, v11, v12
	v_div_fmas_f32 v9, v9, v10, v11
	s_delay_alu instid0(VALU_DEP_1) | instskip(NEXT) | instid1(VALU_DEP_1)
	v_div_fixup_f32 v7, v9, v7, 1.0
	v_dual_mul_f32 v10, v7, v2 :: v_dual_lshlrev_b32 v19, 3, v17
	v_mul_f32_e32 v0, v7, v0
	v_mul_f32_e32 v5, v7, v5
	;; [unrolled: 1-line block ×5, first 2 shown]
	v_cmp_class_f32_e64 vcc_lo, v0, 0x1f8
	v_mul_f32_e32 v6, v7, v6
	v_mul_f32_e32 v7, v7, v4
	v_cndmask_b32_e32 v0, 0, v0, vcc_lo
	v_cmp_class_f32_e64 vcc_lo, v5, 0x1f8
	v_cndmask_b32_e32 v1, 0, v5, vcc_lo
	v_cmp_class_f32_e64 vcc_lo, v9, 0x1f8
	;; [unrolled: 2-line block ×7, first 2 shown]
	v_cndmask_b32_e32 v7, 0, v7, vcc_lo
	s_cbranch_scc1 .LBB96_19
; %bb.4:
	v_lshlrev_b32_e32 v12, 2, v19
	s_clause 0x1
	global_load_b128 v[8:11], v12, s[2:3]
	global_load_b128 v[12:15], v12, s[2:3] offset:16
	s_waitcnt vmcnt(1)
	v_dual_add_f32 v9, v9, v1 :: v_dual_add_f32 v8, v8, v0
	v_dual_add_f32 v11, v11, v3 :: v_dual_add_f32 v10, v10, v2
	s_waitcnt vmcnt(0)
	v_dual_add_f32 v13, v13, v5 :: v_dual_add_f32 v12, v12, v4
	v_dual_add_f32 v15, v15, v7 :: v_dual_add_f32 v14, v14, v6
	s_cbranch_execnz .LBB96_6
.LBB96_5:
	v_dual_mov_b32 v15, v7 :: v_dual_mov_b32 v14, v6
	v_dual_mov_b32 v13, v5 :: v_dual_mov_b32 v12, v4
	;; [unrolled: 1-line block ×4, first 2 shown]
.LBB96_6:
	s_load_b128 s[4:7], s[0:1], 0x30
	v_cmp_eq_u32_e64 s2, 0, v17
	s_waitcnt lgkmcnt(0)
	s_bitcmp1_b32 s7, 0
	s_mov_b32 s7, 0
	s_cselect_b32 vcc_lo, -1, 0
	s_cmp_gt_i32 s4, 0
	s_cselect_b32 s3, -1, 0
	s_cmp_lt_i32 s4, 1
	s_cbranch_scc1 .LBB96_20
; %bb.7:
	s_load_b128 s[8:11], s[0:1], 0x20
	v_mul_lo_u32 v21, v16, s4
	v_mov_b32_e32 v20, 0
	v_mov_b32_e32 v22, v16
	s_branch .LBB96_10
.LBB96_8:                               ;   in Loop: Header=BB96_10 Depth=1
	s_or_b32 exec_lo, exec_lo, s1
.LBB96_9:                               ;   in Loop: Header=BB96_10 Depth=1
	v_add_nc_u32_e32 v22, s14, v22
	s_cmp_eq_u32 s4, s7
	s_cbranch_scc1 .LBB96_21
.LBB96_10:                              ; =>This Inner Loop Header: Depth=1
	v_cmp_gt_f32_e64 s0, v9, v8
	s_mov_b32 s17, exec_lo
	s_delay_alu instid0(VALU_DEP_1) | instskip(SKIP_2) | instid1(VALU_DEP_3)
	v_cndmask_b32_e64 v23, v8, v9, s0
	v_cndmask_b32_e64 v24, 0, 1, s0
	;; [unrolled: 1-line block ×3, first 2 shown]
	v_cmp_gt_f32_e64 s1, v10, v23
	s_delay_alu instid0(VALU_DEP_1) | instskip(NEXT) | instid1(VALU_DEP_4)
	v_cndmask_b32_e64 v23, v23, v10, s1
	v_cndmask_b32_e64 v24, v24, 2, s1
	s_delay_alu instid0(VALU_DEP_4) | instskip(NEXT) | instid1(VALU_DEP_3)
	v_cndmask_b32_e64 v25, v25, v2, s1
	v_cmp_gt_f32_e64 s0, v11, v23
	s_delay_alu instid0(VALU_DEP_1) | instskip(NEXT) | instid1(VALU_DEP_4)
	v_cndmask_b32_e64 v23, v23, v11, s0
	v_cndmask_b32_e64 v24, v24, 3, s0
	s_delay_alu instid0(VALU_DEP_4) | instskip(NEXT) | instid1(VALU_DEP_3)
	v_cndmask_b32_e64 v25, v25, v3, s0
	;; [unrolled: 6-line block ×5, first 2 shown]
	v_cmp_gt_f32_e64 s0, v15, v23
	s_delay_alu instid0(VALU_DEP_1) | instskip(NEXT) | instid1(VALU_DEP_4)
	v_cndmask_b32_e64 v27, v23, v15, s0
	v_cndmask_b32_e64 v23, v24, 7, s0
	s_delay_alu instid0(VALU_DEP_4)
	v_cndmask_b32_e64 v24, v25, v7, s0
	ds_bpermute_b32 v28, v18, v27
	v_or_b32_e32 v23, v19, v23
	ds_bpermute_b32 v26, v18, v24
	ds_bpermute_b32 v25, v18, v23
	s_waitcnt lgkmcnt(0)
	v_cmp_lt_f32_e64 s16, v27, v28
	v_cmpx_nlt_f32_e32 v27, v28
	s_cbranch_execnz .LBB96_14
; %bb.11:                               ;   in Loop: Header=BB96_10 Depth=1
	s_or_b32 exec_lo, exec_lo, s17
	s_delay_alu instid0(VALU_DEP_2)
	s_and_saveexec_b32 s0, s16
	s_cbranch_execnz .LBB96_15
.LBB96_12:                              ;   in Loop: Header=BB96_10 Depth=1
	s_or_b32 exec_lo, exec_lo, s0
	s_and_saveexec_b32 s16, s2
	s_cbranch_execnz .LBB96_16
.LBB96_13:                              ;   in Loop: Header=BB96_10 Depth=1
	s_or_b32 exec_lo, exec_lo, s16
	s_add_i32 s7, s7, 1
	s_delay_alu instid0(SALU_CYCLE_1)
	s_cmp_ge_i32 s7, s4
	s_cbranch_scc1 .LBB96_9
	s_branch .LBB96_17
.LBB96_14:                              ;   in Loop: Header=BB96_10 Depth=1
	v_cmp_eq_f32_e64 s0, v27, v28
	v_cmp_lt_i32_e64 s1, v25, v23
	s_delay_alu instid0(VALU_DEP_1) | instskip(SKIP_2) | instid1(SALU_CYCLE_1)
	s_and_b32 s0, s0, s1
	s_and_not1_b32 s1, s16, exec_lo
	s_and_b32 s0, s0, exec_lo
	s_or_b32 s16, s1, s0
	s_or_b32 exec_lo, exec_lo, s17
	s_and_saveexec_b32 s0, s16
	s_cbranch_execz .LBB96_12
.LBB96_15:                              ;   in Loop: Header=BB96_10 Depth=1
	v_dual_mov_b32 v24, v26 :: v_dual_mov_b32 v23, v25
	s_or_b32 exec_lo, exec_lo, s0
	s_and_saveexec_b32 s16, s2
	s_cbranch_execz .LBB96_13
.LBB96_16:                              ;   in Loop: Header=BB96_10 Depth=1
	s_delay_alu instid0(VALU_DEP_1) | instskip(SKIP_3) | instid1(VALU_DEP_4)
	v_dual_add_f32 v32, v20, v24 :: v_dual_add_nc_u32 v25, s7, v21
	v_cmp_le_i32_e64 s0, s5, v23
	v_cmp_gt_i32_e64 s1, s6, v23
	v_subrev_nc_u32_e32 v27, s5, v23
	v_ashrrev_i32_e32 v26, 31, v25
	v_cndmask_b32_e32 v20, v20, v32, vcc_lo
	s_delay_alu instid0(VALU_DEP_4) | instskip(NEXT) | instid1(SALU_CYCLE_1)
	s_and_b32 s0, s0, s1
	s_and_b32 s0, s15, s0
	s_delay_alu instid0(VALU_DEP_2) | instskip(SKIP_1) | instid1(VALU_DEP_2)
	v_lshlrev_b64 v[25:26], 2, v[25:26]
	v_cndmask_b32_e64 v31, 16, v27, s0
	v_add_co_u32 v27, s0, s12, v25
	s_delay_alu instid0(VALU_DEP_1) | instskip(SKIP_1) | instid1(VALU_DEP_1)
	v_add_co_ci_u32_e64 v28, s0, s13, v26, s0
	v_add_co_u32 v29, s0, s8, v25
	v_add_co_ci_u32_e64 v30, s0, s9, v26, s0
	v_add_co_u32 v25, s0, s10, v25
	s_delay_alu instid0(VALU_DEP_1)
	v_add_co_ci_u32_e64 v26, s0, s11, v26, s0
	global_store_b32 v[27:28], v24, off
	global_store_b32 v[29:30], v31, off
	;; [unrolled: 1-line block ×3, first 2 shown]
	s_or_b32 exec_lo, exec_lo, s16
	s_add_i32 s7, s7, 1
	s_delay_alu instid0(SALU_CYCLE_1)
	s_cmp_ge_i32 s7, s4
	s_cbranch_scc1 .LBB96_9
.LBB96_17:                              ;   in Loop: Header=BB96_10 Depth=1
	v_ashrrev_i32_e32 v25, 31, v23
	s_mov_b32 s1, exec_lo
	s_delay_alu instid0(VALU_DEP_1) | instskip(NEXT) | instid1(VALU_DEP_1)
	v_lshrrev_b32_e32 v24, 29, v25
	v_add_nc_u32_e32 v26, v23, v24
	s_delay_alu instid0(VALU_DEP_1) | instskip(SKIP_1) | instid1(VALU_DEP_1)
	v_ashrrev_i32_e32 v24, 3, v26
	v_lshrrev_b32_e32 v26, 31, v26
	v_add_nc_u32_e32 v26, v24, v26
	s_delay_alu instid0(VALU_DEP_1) | instskip(NEXT) | instid1(VALU_DEP_1)
	v_and_b32_e32 v26, -2, v26
	v_sub_nc_u32_e32 v26, v24, v26
	s_delay_alu instid0(VALU_DEP_1)
	v_cmpx_eq_u32_e64 v17, v26
	s_cbranch_execz .LBB96_8
; %bb.18:                               ;   in Loop: Header=BB96_10 Depth=1
	v_lshrrev_b32_e32 v25, 28, v25
	v_lshlrev_b32_e32 v24, 3, v24
	s_delay_alu instid0(VALU_DEP_2) | instskip(NEXT) | instid1(VALU_DEP_2)
	v_add_nc_u32_e32 v25, v23, v25
	v_sub_nc_u32_e32 v23, v23, v24
	s_delay_alu instid0(VALU_DEP_2) | instskip(NEXT) | instid1(VALU_DEP_1)
	v_ashrrev_i32_e32 v24, 4, v25
	v_lshl_add_u32 v23, v24, 3, v23
	s_delay_alu instid0(VALU_DEP_1) | instskip(NEXT) | instid1(VALU_DEP_1)
	v_cmp_ne_u32_e64 s0, 7, v23
	v_cndmask_b32_e64 v15, 0xc61c4000, v15, s0
	v_cmp_ne_u32_e64 s0, 6, v23
	s_delay_alu instid0(VALU_DEP_1) | instskip(SKIP_1) | instid1(VALU_DEP_1)
	v_cndmask_b32_e64 v14, 0xc61c4000, v14, s0
	v_cmp_ne_u32_e64 s0, 5, v23
	v_cndmask_b32_e64 v13, 0xc61c4000, v13, s0
	v_cmp_ne_u32_e64 s0, 4, v23
	s_delay_alu instid0(VALU_DEP_1) | instskip(SKIP_1) | instid1(VALU_DEP_1)
	v_cndmask_b32_e64 v12, 0xc61c4000, v12, s0
	;; [unrolled: 5-line block ×3, first 2 shown]
	v_cmp_ne_u32_e64 s0, 1, v23
	v_cndmask_b32_e64 v9, 0xc61c4000, v9, s0
	v_cmp_ne_u32_e64 s0, 0, v23
	s_delay_alu instid0(VALU_DEP_1)
	v_cndmask_b32_e64 v8, 0xc61c4000, v8, s0
	s_branch .LBB96_8
.LBB96_19:
                                        ; implicit-def: $vgpr8_vgpr9_vgpr10_vgpr11_vgpr12_vgpr13_vgpr14_vgpr15
	s_and_not1_b32 vcc_lo, exec_lo, s8
	s_cbranch_vccz .LBB96_5
	s_branch .LBB96_6
.LBB96_20:
	v_mov_b32_e32 v20, 0
.LBB96_21:
	v_cmp_eq_u32_e64 s0, 0, v17
	s_delay_alu instid0(VALU_DEP_1) | instskip(NEXT) | instid1(SALU_CYCLE_1)
	s_and_b32 s0, s0, vcc_lo
	s_and_b32 exec_lo, exec_lo, s0
	s_cbranch_execz .LBB96_25
; %bb.22:
	s_and_not1_b32 vcc_lo, exec_lo, s3
	s_cbranch_vccnz .LBB96_25
; %bb.23:
	v_mul_lo_u32 v0, v16, s4
	v_cmp_lt_f32_e32 vcc_lo, 0, v20
	v_cndmask_b32_e32 v2, 1.0, v20, vcc_lo
	s_delay_alu instid0(VALU_DEP_3) | instskip(NEXT) | instid1(VALU_DEP_1)
	v_ashrrev_i32_e32 v1, 31, v0
	v_lshlrev_b64 v[0:1], 2, v[0:1]
	s_delay_alu instid0(VALU_DEP_1) | instskip(NEXT) | instid1(VALU_DEP_2)
	v_add_co_u32 v0, vcc_lo, s12, v0
	v_add_co_ci_u32_e32 v1, vcc_lo, s13, v1, vcc_lo
	.p2align	6
.LBB96_24:                              ; =>This Inner Loop Header: Depth=1
	global_load_b32 v3, v[0:1], off
	s_add_i32 s4, s4, -1
	s_delay_alu instid0(SALU_CYCLE_1) | instskip(SKIP_3) | instid1(VALU_DEP_2)
	s_cmp_lg_u32 s4, 0
	s_waitcnt vmcnt(0)
	v_div_scale_f32 v4, null, v2, v2, v3
	v_div_scale_f32 v7, vcc_lo, v3, v2, v3
	v_rcp_f32_e32 v5, v4
	s_waitcnt_depctr 0xfff
	v_fma_f32 v6, -v4, v5, 1.0
	s_delay_alu instid0(VALU_DEP_1) | instskip(NEXT) | instid1(VALU_DEP_1)
	v_fmac_f32_e32 v5, v6, v5
	v_mul_f32_e32 v6, v7, v5
	s_delay_alu instid0(VALU_DEP_1) | instskip(NEXT) | instid1(VALU_DEP_1)
	v_fma_f32 v8, -v4, v6, v7
	v_fmac_f32_e32 v6, v8, v5
	s_delay_alu instid0(VALU_DEP_1) | instskip(NEXT) | instid1(VALU_DEP_1)
	v_fma_f32 v4, -v4, v6, v7
	v_div_fmas_f32 v4, v4, v5, v6
	s_delay_alu instid0(VALU_DEP_1)
	v_div_fixup_f32 v3, v4, v2, v3
	global_store_b32 v[0:1], v3, off
	v_add_co_u32 v0, vcc_lo, v0, 4
	v_add_co_ci_u32_e32 v1, vcc_lo, 0, v1, vcc_lo
	s_cbranch_scc1 .LBB96_24
.LBB96_25:
	s_nop 0
	s_sendmsg sendmsg(MSG_DEALLOC_VGPRS)
	s_endpgm
	.section	.rodata,"a",@progbits
	.p2align	6, 0x0
	.amdhsa_kernel _ZN4vllm3moe10topkGatingILi8ELi16ELi4ELi16ELi32Ej6__halfLNS0_11ScoringFuncE0EEEvPKT5_PKbPfiPT4_PiiiibPKf
		.amdhsa_group_segment_fixed_size 0
		.amdhsa_private_segment_fixed_size 0
		.amdhsa_kernarg_size 72
		.amdhsa_user_sgpr_count 15
		.amdhsa_user_sgpr_dispatch_ptr 0
		.amdhsa_user_sgpr_queue_ptr 0
		.amdhsa_user_sgpr_kernarg_segment_ptr 1
		.amdhsa_user_sgpr_dispatch_id 0
		.amdhsa_user_sgpr_private_segment_size 0
		.amdhsa_wavefront_size32 1
		.amdhsa_uses_dynamic_stack 0
		.amdhsa_enable_private_segment 0
		.amdhsa_system_sgpr_workgroup_id_x 1
		.amdhsa_system_sgpr_workgroup_id_y 0
		.amdhsa_system_sgpr_workgroup_id_z 0
		.amdhsa_system_sgpr_workgroup_info 0
		.amdhsa_system_vgpr_workitem_id 1
		.amdhsa_next_free_vgpr 35
		.amdhsa_next_free_sgpr 18
		.amdhsa_reserve_vcc 1
		.amdhsa_float_round_mode_32 0
		.amdhsa_float_round_mode_16_64 0
		.amdhsa_float_denorm_mode_32 3
		.amdhsa_float_denorm_mode_16_64 3
		.amdhsa_dx10_clamp 1
		.amdhsa_ieee_mode 1
		.amdhsa_fp16_overflow 0
		.amdhsa_workgroup_processor_mode 1
		.amdhsa_memory_ordered 1
		.amdhsa_forward_progress 0
		.amdhsa_shared_vgpr_count 0
		.amdhsa_exception_fp_ieee_invalid_op 0
		.amdhsa_exception_fp_denorm_src 0
		.amdhsa_exception_fp_ieee_div_zero 0
		.amdhsa_exception_fp_ieee_overflow 0
		.amdhsa_exception_fp_ieee_underflow 0
		.amdhsa_exception_fp_ieee_inexact 0
		.amdhsa_exception_int_div_zero 0
	.end_amdhsa_kernel
	.section	.text._ZN4vllm3moe10topkGatingILi8ELi16ELi4ELi16ELi32Ej6__halfLNS0_11ScoringFuncE0EEEvPKT5_PKbPfiPT4_PiiiibPKf,"axG",@progbits,_ZN4vllm3moe10topkGatingILi8ELi16ELi4ELi16ELi32Ej6__halfLNS0_11ScoringFuncE0EEEvPKT5_PKbPfiPT4_PiiiibPKf,comdat
.Lfunc_end96:
	.size	_ZN4vllm3moe10topkGatingILi8ELi16ELi4ELi16ELi32Ej6__halfLNS0_11ScoringFuncE0EEEvPKT5_PKbPfiPT4_PiiiibPKf, .Lfunc_end96-_ZN4vllm3moe10topkGatingILi8ELi16ELi4ELi16ELi32Ej6__halfLNS0_11ScoringFuncE0EEEvPKT5_PKbPfiPT4_PiiiibPKf
                                        ; -- End function
	.section	.AMDGPU.csdata,"",@progbits
; Kernel info:
; codeLenInByte = 2824
; NumSgprs: 20
; NumVgprs: 35
; ScratchSize: 0
; MemoryBound: 0
; FloatMode: 240
; IeeeMode: 1
; LDSByteSize: 0 bytes/workgroup (compile time only)
; SGPRBlocks: 2
; VGPRBlocks: 4
; NumSGPRsForWavesPerEU: 20
; NumVGPRsForWavesPerEU: 35
; Occupancy: 16
; WaveLimiterHint : 0
; COMPUTE_PGM_RSRC2:SCRATCH_EN: 0
; COMPUTE_PGM_RSRC2:USER_SGPR: 15
; COMPUTE_PGM_RSRC2:TRAP_HANDLER: 0
; COMPUTE_PGM_RSRC2:TGID_X_EN: 1
; COMPUTE_PGM_RSRC2:TGID_Y_EN: 0
; COMPUTE_PGM_RSRC2:TGID_Z_EN: 0
; COMPUTE_PGM_RSRC2:TIDIG_COMP_CNT: 1
	.section	.text._ZN4vllm3moe10topkGatingILi8ELi32ELi4ELi16ELi64Ej6__halfLNS0_11ScoringFuncE0EEEvPKT5_PKbPfiPT4_PiiiibPKf,"axG",@progbits,_ZN4vllm3moe10topkGatingILi8ELi32ELi4ELi16ELi64Ej6__halfLNS0_11ScoringFuncE0EEEvPKT5_PKbPfiPT4_PiiiibPKf,comdat
	.protected	_ZN4vllm3moe10topkGatingILi8ELi32ELi4ELi16ELi64Ej6__halfLNS0_11ScoringFuncE0EEEvPKT5_PKbPfiPT4_PiiiibPKf ; -- Begin function _ZN4vllm3moe10topkGatingILi8ELi32ELi4ELi16ELi64Ej6__halfLNS0_11ScoringFuncE0EEEvPKT5_PKbPfiPT4_PiiiibPKf
	.globl	_ZN4vllm3moe10topkGatingILi8ELi32ELi4ELi16ELi64Ej6__halfLNS0_11ScoringFuncE0EEEvPKT5_PKbPfiPT4_PiiiibPKf
	.p2align	8
	.type	_ZN4vllm3moe10topkGatingILi8ELi32ELi4ELi16ELi64Ej6__halfLNS0_11ScoringFuncE0EEEvPKT5_PKbPfiPT4_PiiiibPKf,@function
_ZN4vllm3moe10topkGatingILi8ELi32ELi4ELi16ELi64Ej6__halfLNS0_11ScoringFuncE0EEEvPKT5_PKbPfiPT4_PiiiibPKf: ; @_ZN4vllm3moe10topkGatingILi8ELi32ELi4ELi16ELi64Ej6__halfLNS0_11ScoringFuncE0EEEvPKT5_PKbPfiPT4_PiiiibPKf
; %bb.0:
	s_load_b32 s14, s[0:1], 0x18
	v_bfe_u32 v1, v0, 10, 10
	v_and_b32_e32 v0, 0x3ff, v0
	s_lshl_b32 s2, s15, 6
	s_delay_alu instid0(VALU_DEP_2) | instskip(NEXT) | instid1(VALU_DEP_2)
	v_lshlrev_b32_e32 v1, 4, v1
	v_lshrrev_b32_e32 v2, 2, v0
	s_delay_alu instid0(VALU_DEP_1) | instskip(SKIP_2) | instid1(VALU_DEP_1)
	v_add3_u32 v16, s2, v1, v2
	s_mov_b32 s2, exec_lo
	s_waitcnt lgkmcnt(0)
	v_cmpx_gt_i32_e64 s14, v16
	s_cbranch_execz .LBB97_29
; %bb.1:
	s_clause 0x1
	s_load_b128 s[4:7], s[0:1], 0x0
	s_load_b64 s[12:13], s[0:1], 0x10
	s_mov_b32 s8, -1
	s_mov_b32 s15, -1
	s_waitcnt lgkmcnt(0)
	s_cmp_eq_u64 s[6:7], 0
	s_cbranch_scc1 .LBB97_3
; %bb.2:
	v_ashrrev_i32_e32 v2, 31, v16
	v_add_co_u32 v1, vcc_lo, s6, v16
	s_delay_alu instid0(VALU_DEP_2) | instskip(SKIP_3) | instid1(VALU_DEP_1)
	v_add_co_ci_u32_e32 v2, vcc_lo, s7, v2, vcc_lo
	global_load_u8 v1, v[1:2], off
	s_waitcnt vmcnt(0)
	v_and_b32_e32 v1, 1, v1
	v_cmp_eq_u32_e32 vcc_lo, 1, v1
	s_xor_b32 s2, vcc_lo, -1
	s_delay_alu instid0(SALU_CYCLE_1)
	s_or_not1_b32 s15, s2, exec_lo
.LBB97_3:
	v_lshlrev_b32_e32 v1, 5, v16
	v_and_b32_e32 v17, 3, v0
	v_mbcnt_lo_u32_b32 v4, -1, 0
	s_load_b64 s[2:3], s[0:1], 0x40
	s_delay_alu instid0(VALU_DEP_3) | instskip(NEXT) | instid1(VALU_DEP_2)
	v_ashrrev_i32_e32 v2, 31, v1
	v_and_b32_e32 v6, 28, v4
	v_xor_b32_e32 v8, 2, v4
	v_xor_b32_e32 v12, 1, v4
	s_delay_alu instid0(VALU_DEP_4) | instskip(SKIP_1) | instid1(VALU_DEP_2)
	v_lshlrev_b64 v[0:1], 1, v[1:2]
	v_lshlrev_b32_e32 v2, 4, v17
	v_add_co_u32 v0, vcc_lo, s4, v0
	s_delay_alu instid0(VALU_DEP_3) | instskip(NEXT) | instid1(VALU_DEP_2)
	v_add_co_ci_u32_e32 v1, vcc_lo, s5, v1, vcc_lo
	v_add_co_u32 v0, vcc_lo, v0, v2
	s_delay_alu instid0(VALU_DEP_2)
	v_add_co_ci_u32_e32 v1, vcc_lo, 0, v1, vcc_lo
	s_waitcnt lgkmcnt(0)
	s_cmp_eq_u64 s[2:3], 0
	global_load_b128 v[0:3], v[0:1], off
	s_waitcnt vmcnt(0)
	v_lshrrev_b32_e32 v5, 16, v0
	v_cvt_f32_f16_e32 v0, v0
	v_lshrrev_b32_e32 v7, 16, v1
	v_cvt_f32_f16_e32 v1, v1
	;; [unrolled: 2-line block ×3, first 2 shown]
	v_add_nc_u32_e32 v6, 4, v6
	v_cvt_f32_f16_e32 v7, v7
	v_cvt_f32_f16_e32 v2, v2
	v_lshrrev_b32_e32 v11, 16, v3
	v_max_f32_e32 v10, v0, v5
	v_cvt_f32_f16_e32 v9, v9
	v_cmp_lt_i32_e32 vcc_lo, v8, v6
	v_cvt_f32_f16_e32 v3, v3
	v_cvt_f32_f16_e32 v11, v11
	v_max3_f32 v10, v10, v1, v7
	v_cndmask_b32_e32 v8, v4, v8, vcc_lo
	v_cmp_lt_i32_e32 vcc_lo, v12, v6
	s_delay_alu instid0(VALU_DEP_3) | instskip(NEXT) | instid1(VALU_DEP_3)
	v_max3_f32 v10, v10, v2, v9
	v_lshlrev_b32_e32 v18, 2, v8
	v_cndmask_b32_e32 v4, v4, v12, vcc_lo
	s_delay_alu instid0(VALU_DEP_3) | instskip(SKIP_3) | instid1(VALU_DEP_1)
	v_max3_f32 v8, v10, v3, v11
	ds_bpermute_b32 v10, v18, v8
	s_waitcnt lgkmcnt(0)
	v_dual_max_f32 v6, v10, v10 :: v_dual_lshlrev_b32 v19, 2, v4
	v_max_f32_e32 v4, v8, v6
	ds_bpermute_b32 v6, v19, v4
	s_waitcnt lgkmcnt(0)
	v_max_f32_e32 v6, v6, v6
	s_delay_alu instid0(VALU_DEP_1) | instskip(NEXT) | instid1(VALU_DEP_1)
	v_max_f32_e32 v4, v4, v6
	v_sub_f32_e32 v5, v5, v4
	v_sub_f32_e32 v6, v7, v4
	;; [unrolled: 1-line block ×4, first 2 shown]
	s_delay_alu instid0(VALU_DEP_4) | instskip(SKIP_1) | instid1(VALU_DEP_3)
	v_dual_sub_f32 v2, v2, v4 :: v_dual_mul_f32 v9, 0x3fb8aa3b, v5
	v_sub_f32_e32 v3, v3, v4
	v_dual_mul_f32 v13, 0x3fb8aa3b, v7 :: v_dual_mul_f32 v10, 0x3fb8aa3b, v1
	s_delay_alu instid0(VALU_DEP_3) | instskip(SKIP_1) | instid1(VALU_DEP_3)
	v_fma_f32 v22, 0x3fb8aa3b, v5, -v9
	v_rndne_f32_e32 v23, v9
	v_fma_f32 v30, 0x3fb8aa3b, v7, -v13
	v_rndne_f32_e32 v31, v13
	v_sub_f32_e32 v0, v0, v4
	s_delay_alu instid0(VALU_DEP_4) | instskip(NEXT) | instid1(VALU_DEP_4)
	v_dual_fmac_f32 v22, 0x32a5705f, v5 :: v_dual_sub_f32 v9, v9, v23
	v_fmac_f32_e32 v30, 0x32a5705f, v7
	s_delay_alu instid0(VALU_DEP_4) | instskip(SKIP_1) | instid1(VALU_DEP_4)
	v_dual_sub_f32 v13, v13, v31 :: v_dual_sub_f32 v4, v11, v4
	v_fma_f32 v24, 0x3fb8aa3b, v1, -v10
	v_add_f32_e32 v9, v9, v22
	v_mul_f32_e32 v11, 0x3fb8aa3b, v6
	s_delay_alu instid0(VALU_DEP_4) | instskip(SKIP_2) | instid1(VALU_DEP_4)
	v_dual_add_f32 v13, v13, v30 :: v_dual_mul_f32 v14, 0x3fb8aa3b, v3
	v_mul_f32_e32 v15, 0x3fb8aa3b, v4
	v_rndne_f32_e32 v25, v10
	v_fma_f32 v26, 0x3fb8aa3b, v6, -v11
	v_rndne_f32_e32 v27, v11
	v_fmac_f32_e32 v24, 0x32a5705f, v1
	v_fma_f32 v34, 0x3fb8aa3b, v4, -v15
	v_rndne_f32_e32 v35, v15
	s_delay_alu instid0(VALU_DEP_4) | instskip(SKIP_1) | instid1(VALU_DEP_3)
	v_dual_fmac_f32 v26, 0x32a5705f, v6 :: v_dual_sub_f32 v11, v11, v27
	v_mul_f32_e32 v8, 0x3fb8aa3b, v0
	v_dual_fmac_f32 v34, 0x32a5705f, v4 :: v_dual_sub_f32 v15, v15, v35
	s_delay_alu instid0(VALU_DEP_3) | instskip(NEXT) | instid1(VALU_DEP_3)
	v_dual_sub_f32 v10, v10, v25 :: v_dual_add_f32 v11, v11, v26
	v_fma_f32 v20, 0x3fb8aa3b, v0, -v8
	v_rndne_f32_e32 v21, v8
	s_delay_alu instid0(VALU_DEP_3) | instskip(SKIP_1) | instid1(VALU_DEP_3)
	v_dual_add_f32 v15, v15, v34 :: v_dual_add_f32 v10, v10, v24
	v_exp_f32_e32 v9, v9
	v_fmac_f32_e32 v20, 0x32a5705f, v0
	s_delay_alu instid0(VALU_DEP_3)
	v_sub_f32_e32 v8, v8, v21
	v_cvt_i32_f32_e32 v21, v21
	v_cvt_i32_f32_e32 v23, v23
	v_exp_f32_e32 v10, v10
	v_cmp_ngt_f32_e32 vcc_lo, 0xc2ce8ed0, v0
	v_add_f32_e32 v8, v8, v20
	v_cvt_i32_f32_e32 v25, v25
	v_exp_f32_e32 v13, v13
	v_ldexp_f32 v9, v9, v23
	v_cvt_i32_f32_e32 v31, v31
	v_exp_f32_e32 v8, v8
	v_exp_f32_e32 v11, v11
	v_cvt_i32_f32_e32 v27, v27
	v_ldexp_f32 v10, v10, v25
	v_fma_f32 v32, 0x3fb8aa3b, v3, -v14
	v_rndne_f32_e32 v33, v14
	v_exp_f32_e32 v15, v15
	v_ldexp_f32 v13, v13, v31
	v_cvt_i32_f32_e32 v22, v35
	s_delay_alu instid0(TRANS32_DEP_3) | instskip(NEXT) | instid1(TRANS32_DEP_2)
	v_ldexp_f32 v8, v8, v21
	v_ldexp_f32 v11, v11, v27
	v_sub_f32_e32 v14, v14, v33
	v_cvt_i32_f32_e32 v20, v33
	s_delay_alu instid0(VALU_DEP_4) | instskip(SKIP_4) | instid1(VALU_DEP_3)
	v_cndmask_b32_e32 v8, 0, v8, vcc_lo
	v_cmp_ngt_f32_e32 vcc_lo, 0xc2ce8ed0, v5
	v_mul_f32_e32 v12, 0x3fb8aa3b, v2
	v_ldexp_f32 v15, v15, v22
	v_cndmask_b32_e32 v9, 0, v9, vcc_lo
	v_fma_f32 v28, 0x3fb8aa3b, v2, -v12
	v_rndne_f32_e32 v29, v12
	v_cmp_ngt_f32_e32 vcc_lo, 0xc2ce8ed0, v1
	s_delay_alu instid0(VALU_DEP_3) | instskip(NEXT) | instid1(VALU_DEP_3)
	v_fmac_f32_e32 v28, 0x32a5705f, v2
	v_sub_f32_e32 v12, v12, v29
	v_cndmask_b32_e32 v10, 0, v10, vcc_lo
	v_cmp_nlt_f32_e32 vcc_lo, 0x42b17218, v0
	v_cvt_i32_f32_e32 v29, v29
	s_delay_alu instid0(VALU_DEP_4) | instskip(SKIP_2) | instid1(VALU_DEP_3)
	v_add_f32_e32 v12, v12, v28
	v_cndmask_b32_e32 v0, 0x7f800000, v8, vcc_lo
	v_cmp_nlt_f32_e32 vcc_lo, 0x42b17218, v5
	v_exp_f32_e32 v12, v12
	v_cndmask_b32_e32 v5, 0x7f800000, v9, vcc_lo
	v_cmp_ngt_f32_e32 vcc_lo, 0xc2ce8ed0, v6
	s_delay_alu instid0(VALU_DEP_2)
	v_dual_fmac_f32 v32, 0x32a5705f, v3 :: v_dual_add_f32 v9, v0, v5
	v_cndmask_b32_e32 v8, 0, v11, vcc_lo
	v_cmp_nlt_f32_e32 vcc_lo, 0x42b17218, v1
	s_waitcnt_depctr 0xfff
	v_ldexp_f32 v12, v12, v29
	v_dual_add_f32 v14, v14, v32 :: v_dual_cndmask_b32 v1, 0x7f800000, v10
	v_cmp_ngt_f32_e32 vcc_lo, 0xc2ce8ed0, v2
	s_delay_alu instid0(VALU_DEP_2) | instskip(NEXT) | instid1(VALU_DEP_3)
	v_exp_f32_e32 v14, v14
	v_cndmask_b32_e32 v10, 0, v12, vcc_lo
	v_cmp_nlt_f32_e32 vcc_lo, 0x42b17218, v6
	v_cndmask_b32_e32 v6, 0x7f800000, v8, vcc_lo
	v_cmp_ngt_f32_e32 vcc_lo, 0xc2ce8ed0, v7
	v_add_f32_e32 v8, v9, v1
	s_waitcnt_depctr 0xfff
	v_ldexp_f32 v14, v14, v20
	v_lshlrev_b32_e32 v20, 3, v17
	v_cndmask_b32_e32 v9, 0, v13, vcc_lo
	v_cmp_nlt_f32_e32 vcc_lo, 0x42b17218, v2
	v_add_f32_e32 v8, v8, v6
	v_cndmask_b32_e32 v2, 0x7f800000, v10, vcc_lo
	v_cmp_ngt_f32_e32 vcc_lo, 0xc2ce8ed0, v3
	s_delay_alu instid0(VALU_DEP_2) | instskip(SKIP_4) | instid1(VALU_DEP_2)
	v_add_f32_e32 v8, v8, v2
	v_cndmask_b32_e32 v10, 0, v14, vcc_lo
	v_cmp_nlt_f32_e32 vcc_lo, 0x42b17218, v7
	v_cndmask_b32_e32 v7, 0x7f800000, v9, vcc_lo
	v_cmp_ngt_f32_e32 vcc_lo, 0xc2ce8ed0, v4
	v_add_f32_e32 v8, v8, v7
	v_cndmask_b32_e32 v9, 0, v15, vcc_lo
	v_cmp_nlt_f32_e32 vcc_lo, 0x42b17218, v3
	v_cndmask_b32_e32 v3, 0x7f800000, v10, vcc_lo
	v_cmp_nlt_f32_e32 vcc_lo, 0x42b17218, v4
	s_delay_alu instid0(VALU_DEP_2) | instskip(SKIP_1) | instid1(VALU_DEP_1)
	v_add_f32_e32 v8, v8, v3
	v_cndmask_b32_e32 v4, 0x7f800000, v9, vcc_lo
	v_add_f32_e32 v8, v8, v4
	ds_bpermute_b32 v9, v18, v8
	s_waitcnt lgkmcnt(0)
	v_add_f32_e32 v8, v8, v9
	ds_bpermute_b32 v9, v19, v8
	s_waitcnt lgkmcnt(0)
	v_add_f32_e32 v8, v8, v9
	s_delay_alu instid0(VALU_DEP_1) | instskip(SKIP_1) | instid1(VALU_DEP_2)
	v_div_scale_f32 v9, null, v8, v8, 1.0
	v_div_scale_f32 v12, vcc_lo, 1.0, v8, 1.0
	v_rcp_f32_e32 v10, v9
	s_waitcnt_depctr 0xfff
	v_fma_f32 v11, -v9, v10, 1.0
	s_delay_alu instid0(VALU_DEP_1) | instskip(NEXT) | instid1(VALU_DEP_1)
	v_fmac_f32_e32 v10, v11, v10
	v_mul_f32_e32 v11, v12, v10
	s_delay_alu instid0(VALU_DEP_1) | instskip(NEXT) | instid1(VALU_DEP_1)
	v_fma_f32 v13, -v9, v11, v12
	v_fmac_f32_e32 v11, v13, v10
	s_delay_alu instid0(VALU_DEP_1) | instskip(NEXT) | instid1(VALU_DEP_1)
	v_fma_f32 v9, -v9, v11, v12
	v_div_fmas_f32 v9, v9, v10, v11
	s_delay_alu instid0(VALU_DEP_1) | instskip(NEXT) | instid1(VALU_DEP_1)
	v_div_fixup_f32 v8, v9, v8, 1.0
	v_mul_f32_e32 v0, v8, v0
	v_mul_f32_e32 v5, v8, v5
	;; [unrolled: 1-line block ×5, first 2 shown]
	v_cmp_class_f32_e64 vcc_lo, v0, 0x1f8
	v_mul_f32_e32 v7, v8, v7
	v_mul_f32_e32 v11, v8, v3
	;; [unrolled: 1-line block ×3, first 2 shown]
	v_cndmask_b32_e32 v0, 0, v0, vcc_lo
	v_cmp_class_f32_e64 vcc_lo, v5, 0x1f8
	v_cndmask_b32_e32 v1, 0, v5, vcc_lo
	v_cmp_class_f32_e64 vcc_lo, v9, 0x1f8
	;; [unrolled: 2-line block ×7, first 2 shown]
	v_cndmask_b32_e32 v7, 0, v8, vcc_lo
	s_cbranch_scc1 .LBB97_23
; %bb.4:
	v_lshlrev_b32_e32 v12, 2, v20
	s_clause 0x1
	global_load_b128 v[8:11], v12, s[2:3]
	global_load_b128 v[12:15], v12, s[2:3] offset:16
	s_waitcnt vmcnt(1)
	v_dual_add_f32 v9, v9, v1 :: v_dual_add_f32 v8, v8, v0
	v_dual_add_f32 v11, v11, v3 :: v_dual_add_f32 v10, v10, v2
	s_waitcnt vmcnt(0)
	v_dual_add_f32 v13, v13, v5 :: v_dual_add_f32 v12, v12, v4
	v_dual_add_f32 v15, v15, v7 :: v_dual_add_f32 v14, v14, v6
	s_cbranch_execnz .LBB97_6
.LBB97_5:
	v_dual_mov_b32 v15, v7 :: v_dual_mov_b32 v14, v6
	v_dual_mov_b32 v13, v5 :: v_dual_mov_b32 v12, v4
	;; [unrolled: 1-line block ×4, first 2 shown]
.LBB97_6:
	s_load_b128 s[4:7], s[0:1], 0x30
	v_cmp_eq_u32_e64 s2, 0, v17
	s_waitcnt lgkmcnt(0)
	s_bitcmp1_b32 s7, 0
	s_mov_b32 s7, 0
	s_cselect_b32 vcc_lo, -1, 0
	s_cmp_gt_i32 s4, 0
	s_cselect_b32 s3, -1, 0
	s_cmp_lt_i32 s4, 1
	s_cbranch_scc1 .LBB97_24
; %bb.7:
	s_load_b128 s[8:11], s[0:1], 0x20
	v_mul_lo_u32 v22, v16, s4
	v_mov_b32_e32 v21, 0
	v_mov_b32_e32 v23, v16
	s_branch .LBB97_10
.LBB97_8:                               ;   in Loop: Header=BB97_10 Depth=1
	s_or_b32 exec_lo, exec_lo, s1
.LBB97_9:                               ;   in Loop: Header=BB97_10 Depth=1
	v_add_nc_u32_e32 v23, s14, v23
	s_cmp_eq_u32 s4, s7
	s_cbranch_scc1 .LBB97_25
.LBB97_10:                              ; =>This Inner Loop Header: Depth=1
	v_cmp_gt_f32_e64 s0, v9, v8
	s_mov_b32 s17, exec_lo
	s_delay_alu instid0(VALU_DEP_1) | instskip(SKIP_2) | instid1(VALU_DEP_3)
	v_cndmask_b32_e64 v24, v8, v9, s0
	v_cndmask_b32_e64 v25, 0, 1, s0
	;; [unrolled: 1-line block ×3, first 2 shown]
	v_cmp_gt_f32_e64 s1, v10, v24
	s_delay_alu instid0(VALU_DEP_1) | instskip(NEXT) | instid1(VALU_DEP_4)
	v_cndmask_b32_e64 v24, v24, v10, s1
	v_cndmask_b32_e64 v25, v25, 2, s1
	s_delay_alu instid0(VALU_DEP_4) | instskip(NEXT) | instid1(VALU_DEP_3)
	v_cndmask_b32_e64 v26, v26, v2, s1
	v_cmp_gt_f32_e64 s0, v11, v24
	s_delay_alu instid0(VALU_DEP_1) | instskip(NEXT) | instid1(VALU_DEP_4)
	v_cndmask_b32_e64 v24, v24, v11, s0
	v_cndmask_b32_e64 v25, v25, 3, s0
	s_delay_alu instid0(VALU_DEP_4) | instskip(NEXT) | instid1(VALU_DEP_3)
	v_cndmask_b32_e64 v26, v26, v3, s0
	;; [unrolled: 6-line block ×4, first 2 shown]
	v_cmp_gt_f32_e64 s1, v14, v24
	s_delay_alu instid0(VALU_DEP_1) | instskip(NEXT) | instid1(VALU_DEP_4)
	v_cndmask_b32_e64 v24, v24, v14, s1
	v_cndmask_b32_e64 v25, v25, 6, s1
	s_waitcnt lgkmcnt(0)
	v_cndmask_b32_e64 v27, v26, v6, s1
	s_delay_alu instid0(VALU_DEP_3) | instskip(NEXT) | instid1(VALU_DEP_1)
	v_cmp_gt_f32_e64 s0, v15, v24
	v_cndmask_b32_e64 v26, v24, v15, s0
	v_cndmask_b32_e64 v24, v25, 7, s0
	s_delay_alu instid0(VALU_DEP_4)
	v_cndmask_b32_e64 v25, v27, v7, s0
	ds_bpermute_b32 v27, v18, v26
	v_or_b32_e32 v24, v20, v24
	ds_bpermute_b32 v29, v18, v25
	ds_bpermute_b32 v28, v18, v24
	s_waitcnt lgkmcnt(0)
	v_cmp_lt_f32_e64 s16, v26, v27
	v_cmpx_nlt_f32_e32 v26, v27
; %bb.11:                               ;   in Loop: Header=BB97_10 Depth=1
	v_cmp_eq_f32_e64 s0, v26, v27
	v_cmp_lt_i32_e64 s1, v28, v24
	s_delay_alu instid0(VALU_DEP_1) | instskip(SKIP_2) | instid1(SALU_CYCLE_1)
	s_and_b32 s0, s0, s1
	s_and_not1_b32 s1, s16, exec_lo
	s_and_b32 s0, s0, exec_lo
	s_or_b32 s16, s1, s0
; %bb.12:                               ;   in Loop: Header=BB97_10 Depth=1
	s_or_b32 exec_lo, exec_lo, s17
	s_and_saveexec_b32 s0, s16
; %bb.13:                               ;   in Loop: Header=BB97_10 Depth=1
	v_dual_mov_b32 v25, v29 :: v_dual_mov_b32 v26, v27
	v_mov_b32_e32 v24, v28
; %bb.14:                               ;   in Loop: Header=BB97_10 Depth=1
	s_or_b32 exec_lo, exec_lo, s0
	ds_bpermute_b32 v29, v19, v26
	ds_bpermute_b32 v28, v19, v25
	;; [unrolled: 1-line block ×3, first 2 shown]
	s_mov_b32 s17, exec_lo
	s_waitcnt lgkmcnt(2)
	v_cmp_lt_f32_e64 s16, v26, v29
	v_cmpx_nlt_f32_e32 v26, v29
	s_cbranch_execnz .LBB97_18
; %bb.15:                               ;   in Loop: Header=BB97_10 Depth=1
	s_or_b32 exec_lo, exec_lo, s17
	s_delay_alu instid0(VALU_DEP_2)
	s_and_saveexec_b32 s0, s16
	s_cbranch_execnz .LBB97_19
.LBB97_16:                              ;   in Loop: Header=BB97_10 Depth=1
	s_or_b32 exec_lo, exec_lo, s0
	s_and_saveexec_b32 s16, s2
	s_cbranch_execnz .LBB97_20
.LBB97_17:                              ;   in Loop: Header=BB97_10 Depth=1
	s_or_b32 exec_lo, exec_lo, s16
	s_add_i32 s7, s7, 1
	s_delay_alu instid0(SALU_CYCLE_1)
	s_cmp_ge_i32 s7, s4
	s_cbranch_scc1 .LBB97_9
	s_branch .LBB97_21
.LBB97_18:                              ;   in Loop: Header=BB97_10 Depth=1
	v_cmp_eq_f32_e64 s0, v26, v29
	s_waitcnt lgkmcnt(0)
	v_cmp_lt_i32_e64 s1, v27, v24
	s_delay_alu instid0(VALU_DEP_1) | instskip(SKIP_2) | instid1(SALU_CYCLE_1)
	s_and_b32 s0, s0, s1
	s_and_not1_b32 s1, s16, exec_lo
	s_and_b32 s0, s0, exec_lo
	s_or_b32 s16, s1, s0
	s_or_b32 exec_lo, exec_lo, s17
	s_and_saveexec_b32 s0, s16
	s_cbranch_execz .LBB97_16
.LBB97_19:                              ;   in Loop: Header=BB97_10 Depth=1
	s_waitcnt lgkmcnt(0)
	v_dual_mov_b32 v25, v28 :: v_dual_mov_b32 v24, v27
	s_or_b32 exec_lo, exec_lo, s0
	s_and_saveexec_b32 s16, s2
	s_cbranch_execz .LBB97_17
.LBB97_20:                              ;   in Loop: Header=BB97_10 Depth=1
	s_delay_alu instid0(VALU_DEP_1)
	v_dual_add_f32 v33, v21, v25 :: v_dual_add_nc_u32 v26, s7, v22
	v_cmp_le_i32_e64 s0, s5, v24
	v_cmp_gt_i32_e64 s1, s6, v24
	s_waitcnt lgkmcnt(1)
	v_subrev_nc_u32_e32 v28, s5, v24
	s_waitcnt lgkmcnt(0)
	v_ashrrev_i32_e32 v27, 31, v26
	v_cndmask_b32_e32 v21, v21, v33, vcc_lo
	s_and_b32 s0, s0, s1
	s_delay_alu instid0(SALU_CYCLE_1) | instskip(NEXT) | instid1(VALU_DEP_2)
	s_and_b32 s0, s15, s0
	v_lshlrev_b64 v[26:27], 2, v[26:27]
	v_cndmask_b32_e64 v32, 32, v28, s0
	s_delay_alu instid0(VALU_DEP_2) | instskip(NEXT) | instid1(VALU_DEP_1)
	v_add_co_u32 v28, s0, s12, v26
	v_add_co_ci_u32_e64 v29, s0, s13, v27, s0
	v_add_co_u32 v30, s0, s8, v26
	s_delay_alu instid0(VALU_DEP_1) | instskip(SKIP_1) | instid1(VALU_DEP_1)
	v_add_co_ci_u32_e64 v31, s0, s9, v27, s0
	v_add_co_u32 v26, s0, s10, v26
	v_add_co_ci_u32_e64 v27, s0, s11, v27, s0
	global_store_b32 v[28:29], v25, off
	global_store_b32 v[30:31], v32, off
	;; [unrolled: 1-line block ×3, first 2 shown]
	s_or_b32 exec_lo, exec_lo, s16
	s_add_i32 s7, s7, 1
	s_delay_alu instid0(SALU_CYCLE_1)
	s_cmp_ge_i32 s7, s4
	s_cbranch_scc1 .LBB97_9
.LBB97_21:                              ;   in Loop: Header=BB97_10 Depth=1
	v_ashrrev_i32_e32 v26, 31, v24
	s_mov_b32 s1, exec_lo
	s_delay_alu instid0(VALU_DEP_1) | instskip(NEXT) | instid1(VALU_DEP_1)
	v_lshrrev_b32_e32 v25, 29, v26
	v_add_nc_u32_e32 v25, v24, v25
	s_delay_alu instid0(VALU_DEP_1) | instskip(SKIP_1) | instid1(VALU_DEP_1)
	v_ashrrev_i32_e32 v25, 3, v25
	s_waitcnt lgkmcnt(0)
	v_lshrrev_b32_e32 v27, 30, v25
	s_delay_alu instid0(VALU_DEP_1) | instskip(NEXT) | instid1(VALU_DEP_1)
	v_add_nc_u32_e32 v27, v25, v27
	v_and_b32_e32 v27, -4, v27
	s_delay_alu instid0(VALU_DEP_1) | instskip(NEXT) | instid1(VALU_DEP_1)
	v_sub_nc_u32_e32 v27, v25, v27
	v_cmpx_eq_u32_e64 v17, v27
	s_cbranch_execz .LBB97_8
; %bb.22:                               ;   in Loop: Header=BB97_10 Depth=1
	v_lshrrev_b32_e32 v26, 27, v26
	v_lshlrev_b32_e32 v25, 3, v25
	s_delay_alu instid0(VALU_DEP_2) | instskip(NEXT) | instid1(VALU_DEP_2)
	v_add_nc_u32_e32 v26, v24, v26
	v_sub_nc_u32_e32 v24, v24, v25
	s_delay_alu instid0(VALU_DEP_2) | instskip(NEXT) | instid1(VALU_DEP_1)
	v_ashrrev_i32_e32 v25, 5, v26
	v_lshl_add_u32 v24, v25, 3, v24
	s_delay_alu instid0(VALU_DEP_1) | instskip(NEXT) | instid1(VALU_DEP_1)
	v_cmp_ne_u32_e64 s0, 7, v24
	v_cndmask_b32_e64 v15, 0xc61c4000, v15, s0
	v_cmp_ne_u32_e64 s0, 6, v24
	s_delay_alu instid0(VALU_DEP_1) | instskip(SKIP_1) | instid1(VALU_DEP_1)
	v_cndmask_b32_e64 v14, 0xc61c4000, v14, s0
	v_cmp_ne_u32_e64 s0, 5, v24
	v_cndmask_b32_e64 v13, 0xc61c4000, v13, s0
	v_cmp_ne_u32_e64 s0, 4, v24
	s_delay_alu instid0(VALU_DEP_1) | instskip(SKIP_1) | instid1(VALU_DEP_1)
	v_cndmask_b32_e64 v12, 0xc61c4000, v12, s0
	;; [unrolled: 5-line block ×3, first 2 shown]
	v_cmp_ne_u32_e64 s0, 1, v24
	v_cndmask_b32_e64 v9, 0xc61c4000, v9, s0
	v_cmp_ne_u32_e64 s0, 0, v24
	s_delay_alu instid0(VALU_DEP_1)
	v_cndmask_b32_e64 v8, 0xc61c4000, v8, s0
	s_branch .LBB97_8
.LBB97_23:
                                        ; implicit-def: $vgpr8_vgpr9_vgpr10_vgpr11_vgpr12_vgpr13_vgpr14_vgpr15
	s_and_not1_b32 vcc_lo, exec_lo, s8
	s_cbranch_vccz .LBB97_5
	s_branch .LBB97_6
.LBB97_24:
	v_mov_b32_e32 v21, 0
.LBB97_25:
	v_cmp_eq_u32_e64 s0, 0, v17
	s_delay_alu instid0(VALU_DEP_1) | instskip(NEXT) | instid1(SALU_CYCLE_1)
	s_and_b32 s0, s0, vcc_lo
	s_and_b32 exec_lo, exec_lo, s0
	s_cbranch_execz .LBB97_29
; %bb.26:
	s_and_not1_b32 vcc_lo, exec_lo, s3
	s_cbranch_vccnz .LBB97_29
; %bb.27:
	v_mul_lo_u32 v0, v16, s4
	v_cmp_lt_f32_e32 vcc_lo, 0, v21
	v_cndmask_b32_e32 v2, 1.0, v21, vcc_lo
	s_delay_alu instid0(VALU_DEP_3) | instskip(NEXT) | instid1(VALU_DEP_1)
	v_ashrrev_i32_e32 v1, 31, v0
	v_lshlrev_b64 v[0:1], 2, v[0:1]
	s_delay_alu instid0(VALU_DEP_1) | instskip(NEXT) | instid1(VALU_DEP_2)
	v_add_co_u32 v0, vcc_lo, s12, v0
	v_add_co_ci_u32_e32 v1, vcc_lo, s13, v1, vcc_lo
	.p2align	6
.LBB97_28:                              ; =>This Inner Loop Header: Depth=1
	global_load_b32 v3, v[0:1], off
	s_add_i32 s4, s4, -1
	s_delay_alu instid0(SALU_CYCLE_1) | instskip(SKIP_3) | instid1(VALU_DEP_2)
	s_cmp_lg_u32 s4, 0
	s_waitcnt vmcnt(0)
	v_div_scale_f32 v4, null, v2, v2, v3
	v_div_scale_f32 v7, vcc_lo, v3, v2, v3
	v_rcp_f32_e32 v5, v4
	s_waitcnt_depctr 0xfff
	v_fma_f32 v6, -v4, v5, 1.0
	s_delay_alu instid0(VALU_DEP_1) | instskip(NEXT) | instid1(VALU_DEP_1)
	v_fmac_f32_e32 v5, v6, v5
	v_mul_f32_e32 v6, v7, v5
	s_delay_alu instid0(VALU_DEP_1) | instskip(NEXT) | instid1(VALU_DEP_1)
	v_fma_f32 v8, -v4, v6, v7
	v_fmac_f32_e32 v6, v8, v5
	s_delay_alu instid0(VALU_DEP_1) | instskip(NEXT) | instid1(VALU_DEP_1)
	v_fma_f32 v4, -v4, v6, v7
	v_div_fmas_f32 v4, v4, v5, v6
	s_delay_alu instid0(VALU_DEP_1)
	v_div_fixup_f32 v3, v4, v2, v3
	global_store_b32 v[0:1], v3, off
	v_add_co_u32 v0, vcc_lo, v0, 4
	v_add_co_ci_u32_e32 v1, vcc_lo, 0, v1, vcc_lo
	s_cbranch_scc1 .LBB97_28
.LBB97_29:
	s_nop 0
	s_sendmsg sendmsg(MSG_DEALLOC_VGPRS)
	s_endpgm
	.section	.rodata,"a",@progbits
	.p2align	6, 0x0
	.amdhsa_kernel _ZN4vllm3moe10topkGatingILi8ELi32ELi4ELi16ELi64Ej6__halfLNS0_11ScoringFuncE0EEEvPKT5_PKbPfiPT4_PiiiibPKf
		.amdhsa_group_segment_fixed_size 0
		.amdhsa_private_segment_fixed_size 0
		.amdhsa_kernarg_size 72
		.amdhsa_user_sgpr_count 15
		.amdhsa_user_sgpr_dispatch_ptr 0
		.amdhsa_user_sgpr_queue_ptr 0
		.amdhsa_user_sgpr_kernarg_segment_ptr 1
		.amdhsa_user_sgpr_dispatch_id 0
		.amdhsa_user_sgpr_private_segment_size 0
		.amdhsa_wavefront_size32 1
		.amdhsa_uses_dynamic_stack 0
		.amdhsa_enable_private_segment 0
		.amdhsa_system_sgpr_workgroup_id_x 1
		.amdhsa_system_sgpr_workgroup_id_y 0
		.amdhsa_system_sgpr_workgroup_id_z 0
		.amdhsa_system_sgpr_workgroup_info 0
		.amdhsa_system_vgpr_workitem_id 1
		.amdhsa_next_free_vgpr 36
		.amdhsa_next_free_sgpr 18
		.amdhsa_reserve_vcc 1
		.amdhsa_float_round_mode_32 0
		.amdhsa_float_round_mode_16_64 0
		.amdhsa_float_denorm_mode_32 3
		.amdhsa_float_denorm_mode_16_64 3
		.amdhsa_dx10_clamp 1
		.amdhsa_ieee_mode 1
		.amdhsa_fp16_overflow 0
		.amdhsa_workgroup_processor_mode 1
		.amdhsa_memory_ordered 1
		.amdhsa_forward_progress 0
		.amdhsa_shared_vgpr_count 0
		.amdhsa_exception_fp_ieee_invalid_op 0
		.amdhsa_exception_fp_denorm_src 0
		.amdhsa_exception_fp_ieee_div_zero 0
		.amdhsa_exception_fp_ieee_overflow 0
		.amdhsa_exception_fp_ieee_underflow 0
		.amdhsa_exception_fp_ieee_inexact 0
		.amdhsa_exception_int_div_zero 0
	.end_amdhsa_kernel
	.section	.text._ZN4vllm3moe10topkGatingILi8ELi32ELi4ELi16ELi64Ej6__halfLNS0_11ScoringFuncE0EEEvPKT5_PKbPfiPT4_PiiiibPKf,"axG",@progbits,_ZN4vllm3moe10topkGatingILi8ELi32ELi4ELi16ELi64Ej6__halfLNS0_11ScoringFuncE0EEEvPKT5_PKbPfiPT4_PiiiibPKf,comdat
.Lfunc_end97:
	.size	_ZN4vllm3moe10topkGatingILi8ELi32ELi4ELi16ELi64Ej6__halfLNS0_11ScoringFuncE0EEEvPKT5_PKbPfiPT4_PiiiibPKf, .Lfunc_end97-_ZN4vllm3moe10topkGatingILi8ELi32ELi4ELi16ELi64Ej6__halfLNS0_11ScoringFuncE0EEEvPKT5_PKbPfiPT4_PiiiibPKf
                                        ; -- End function
	.section	.AMDGPU.csdata,"",@progbits
; Kernel info:
; codeLenInByte = 2996
; NumSgprs: 20
; NumVgprs: 36
; ScratchSize: 0
; MemoryBound: 0
; FloatMode: 240
; IeeeMode: 1
; LDSByteSize: 0 bytes/workgroup (compile time only)
; SGPRBlocks: 2
; VGPRBlocks: 4
; NumSGPRsForWavesPerEU: 20
; NumVGPRsForWavesPerEU: 36
; Occupancy: 16
; WaveLimiterHint : 0
; COMPUTE_PGM_RSRC2:SCRATCH_EN: 0
; COMPUTE_PGM_RSRC2:USER_SGPR: 15
; COMPUTE_PGM_RSRC2:TRAP_HANDLER: 0
; COMPUTE_PGM_RSRC2:TGID_X_EN: 1
; COMPUTE_PGM_RSRC2:TGID_Y_EN: 0
; COMPUTE_PGM_RSRC2:TGID_Z_EN: 0
; COMPUTE_PGM_RSRC2:TIDIG_COMP_CNT: 1
	.section	.text._ZN4vllm3moe10topkGatingILi8ELi32ELi4ELi16ELi32Ej6__halfLNS0_11ScoringFuncE0EEEvPKT5_PKbPfiPT4_PiiiibPKf,"axG",@progbits,_ZN4vllm3moe10topkGatingILi8ELi32ELi4ELi16ELi32Ej6__halfLNS0_11ScoringFuncE0EEEvPKT5_PKbPfiPT4_PiiiibPKf,comdat
	.protected	_ZN4vllm3moe10topkGatingILi8ELi32ELi4ELi16ELi32Ej6__halfLNS0_11ScoringFuncE0EEEvPKT5_PKbPfiPT4_PiiiibPKf ; -- Begin function _ZN4vllm3moe10topkGatingILi8ELi32ELi4ELi16ELi32Ej6__halfLNS0_11ScoringFuncE0EEEvPKT5_PKbPfiPT4_PiiiibPKf
	.globl	_ZN4vllm3moe10topkGatingILi8ELi32ELi4ELi16ELi32Ej6__halfLNS0_11ScoringFuncE0EEEvPKT5_PKbPfiPT4_PiiiibPKf
	.p2align	8
	.type	_ZN4vllm3moe10topkGatingILi8ELi32ELi4ELi16ELi32Ej6__halfLNS0_11ScoringFuncE0EEEvPKT5_PKbPfiPT4_PiiiibPKf,@function
_ZN4vllm3moe10topkGatingILi8ELi32ELi4ELi16ELi32Ej6__halfLNS0_11ScoringFuncE0EEEvPKT5_PKbPfiPT4_PiiiibPKf: ; @_ZN4vllm3moe10topkGatingILi8ELi32ELi4ELi16ELi32Ej6__halfLNS0_11ScoringFuncE0EEEvPKT5_PKbPfiPT4_PiiiibPKf
; %bb.0:
	s_load_b32 s14, s[0:1], 0x18
	v_bfe_u32 v1, v0, 10, 10
	v_and_b32_e32 v0, 0x3ff, v0
	s_lshl_b32 s2, s15, 5
	s_delay_alu instid0(VALU_DEP_2) | instskip(NEXT) | instid1(VALU_DEP_2)
	v_lshlrev_b32_e32 v1, 3, v1
	v_lshrrev_b32_e32 v2, 2, v0
	s_delay_alu instid0(VALU_DEP_1) | instskip(SKIP_2) | instid1(VALU_DEP_1)
	v_add3_u32 v16, s2, v1, v2
	s_mov_b32 s2, exec_lo
	s_waitcnt lgkmcnt(0)
	v_cmpx_gt_i32_e64 s14, v16
	s_cbranch_execz .LBB98_29
; %bb.1:
	s_clause 0x1
	s_load_b128 s[4:7], s[0:1], 0x0
	s_load_b64 s[12:13], s[0:1], 0x10
	s_mov_b32 s8, -1
	s_mov_b32 s15, -1
	s_waitcnt lgkmcnt(0)
	s_cmp_eq_u64 s[6:7], 0
	s_cbranch_scc1 .LBB98_3
; %bb.2:
	v_ashrrev_i32_e32 v2, 31, v16
	v_add_co_u32 v1, vcc_lo, s6, v16
	s_delay_alu instid0(VALU_DEP_2) | instskip(SKIP_3) | instid1(VALU_DEP_1)
	v_add_co_ci_u32_e32 v2, vcc_lo, s7, v2, vcc_lo
	global_load_u8 v1, v[1:2], off
	s_waitcnt vmcnt(0)
	v_and_b32_e32 v1, 1, v1
	v_cmp_eq_u32_e32 vcc_lo, 1, v1
	s_xor_b32 s2, vcc_lo, -1
	s_delay_alu instid0(SALU_CYCLE_1)
	s_or_not1_b32 s15, s2, exec_lo
.LBB98_3:
	v_lshlrev_b32_e32 v1, 5, v16
	v_and_b32_e32 v17, 3, v0
	v_mbcnt_lo_u32_b32 v4, -1, 0
	s_load_b64 s[2:3], s[0:1], 0x40
	s_delay_alu instid0(VALU_DEP_3) | instskip(NEXT) | instid1(VALU_DEP_2)
	v_ashrrev_i32_e32 v2, 31, v1
	v_and_b32_e32 v6, 28, v4
	v_xor_b32_e32 v8, 2, v4
	v_xor_b32_e32 v12, 1, v4
	s_delay_alu instid0(VALU_DEP_4) | instskip(SKIP_1) | instid1(VALU_DEP_2)
	v_lshlrev_b64 v[0:1], 1, v[1:2]
	v_lshlrev_b32_e32 v2, 4, v17
	v_add_co_u32 v0, vcc_lo, s4, v0
	s_delay_alu instid0(VALU_DEP_3) | instskip(NEXT) | instid1(VALU_DEP_2)
	v_add_co_ci_u32_e32 v1, vcc_lo, s5, v1, vcc_lo
	v_add_co_u32 v0, vcc_lo, v0, v2
	s_delay_alu instid0(VALU_DEP_2)
	v_add_co_ci_u32_e32 v1, vcc_lo, 0, v1, vcc_lo
	s_waitcnt lgkmcnt(0)
	s_cmp_eq_u64 s[2:3], 0
	global_load_b128 v[0:3], v[0:1], off
	s_waitcnt vmcnt(0)
	v_lshrrev_b32_e32 v5, 16, v0
	v_cvt_f32_f16_e32 v0, v0
	v_lshrrev_b32_e32 v7, 16, v1
	v_cvt_f32_f16_e32 v1, v1
	;; [unrolled: 2-line block ×3, first 2 shown]
	v_add_nc_u32_e32 v6, 4, v6
	v_cvt_f32_f16_e32 v7, v7
	v_cvt_f32_f16_e32 v2, v2
	v_lshrrev_b32_e32 v11, 16, v3
	v_max_f32_e32 v10, v0, v5
	v_cvt_f32_f16_e32 v9, v9
	v_cmp_lt_i32_e32 vcc_lo, v8, v6
	v_cvt_f32_f16_e32 v3, v3
	v_cvt_f32_f16_e32 v11, v11
	v_max3_f32 v10, v10, v1, v7
	v_cndmask_b32_e32 v8, v4, v8, vcc_lo
	v_cmp_lt_i32_e32 vcc_lo, v12, v6
	s_delay_alu instid0(VALU_DEP_3) | instskip(NEXT) | instid1(VALU_DEP_3)
	v_max3_f32 v10, v10, v2, v9
	v_lshlrev_b32_e32 v18, 2, v8
	v_cndmask_b32_e32 v4, v4, v12, vcc_lo
	s_delay_alu instid0(VALU_DEP_3) | instskip(SKIP_3) | instid1(VALU_DEP_1)
	v_max3_f32 v8, v10, v3, v11
	ds_bpermute_b32 v10, v18, v8
	s_waitcnt lgkmcnt(0)
	v_dual_max_f32 v6, v10, v10 :: v_dual_lshlrev_b32 v19, 2, v4
	v_max_f32_e32 v4, v8, v6
	ds_bpermute_b32 v6, v19, v4
	s_waitcnt lgkmcnt(0)
	v_max_f32_e32 v6, v6, v6
	s_delay_alu instid0(VALU_DEP_1) | instskip(NEXT) | instid1(VALU_DEP_1)
	v_max_f32_e32 v4, v4, v6
	v_sub_f32_e32 v5, v5, v4
	v_sub_f32_e32 v6, v7, v4
	;; [unrolled: 1-line block ×4, first 2 shown]
	s_delay_alu instid0(VALU_DEP_4) | instskip(SKIP_1) | instid1(VALU_DEP_3)
	v_dual_sub_f32 v2, v2, v4 :: v_dual_mul_f32 v9, 0x3fb8aa3b, v5
	v_sub_f32_e32 v3, v3, v4
	v_dual_mul_f32 v13, 0x3fb8aa3b, v7 :: v_dual_mul_f32 v10, 0x3fb8aa3b, v1
	s_delay_alu instid0(VALU_DEP_3) | instskip(SKIP_1) | instid1(VALU_DEP_3)
	v_fma_f32 v22, 0x3fb8aa3b, v5, -v9
	v_rndne_f32_e32 v23, v9
	v_fma_f32 v30, 0x3fb8aa3b, v7, -v13
	v_rndne_f32_e32 v31, v13
	v_sub_f32_e32 v0, v0, v4
	s_delay_alu instid0(VALU_DEP_4) | instskip(NEXT) | instid1(VALU_DEP_4)
	v_dual_fmac_f32 v22, 0x32a5705f, v5 :: v_dual_sub_f32 v9, v9, v23
	v_fmac_f32_e32 v30, 0x32a5705f, v7
	s_delay_alu instid0(VALU_DEP_4) | instskip(SKIP_1) | instid1(VALU_DEP_4)
	v_dual_sub_f32 v13, v13, v31 :: v_dual_sub_f32 v4, v11, v4
	v_fma_f32 v24, 0x3fb8aa3b, v1, -v10
	v_add_f32_e32 v9, v9, v22
	v_mul_f32_e32 v11, 0x3fb8aa3b, v6
	s_delay_alu instid0(VALU_DEP_4) | instskip(SKIP_2) | instid1(VALU_DEP_4)
	v_dual_add_f32 v13, v13, v30 :: v_dual_mul_f32 v14, 0x3fb8aa3b, v3
	v_mul_f32_e32 v15, 0x3fb8aa3b, v4
	v_rndne_f32_e32 v25, v10
	v_fma_f32 v26, 0x3fb8aa3b, v6, -v11
	v_rndne_f32_e32 v27, v11
	v_fmac_f32_e32 v24, 0x32a5705f, v1
	v_fma_f32 v34, 0x3fb8aa3b, v4, -v15
	v_rndne_f32_e32 v35, v15
	s_delay_alu instid0(VALU_DEP_4) | instskip(SKIP_1) | instid1(VALU_DEP_3)
	v_dual_fmac_f32 v26, 0x32a5705f, v6 :: v_dual_sub_f32 v11, v11, v27
	v_mul_f32_e32 v8, 0x3fb8aa3b, v0
	v_dual_fmac_f32 v34, 0x32a5705f, v4 :: v_dual_sub_f32 v15, v15, v35
	s_delay_alu instid0(VALU_DEP_3) | instskip(NEXT) | instid1(VALU_DEP_3)
	v_dual_sub_f32 v10, v10, v25 :: v_dual_add_f32 v11, v11, v26
	v_fma_f32 v20, 0x3fb8aa3b, v0, -v8
	v_rndne_f32_e32 v21, v8
	s_delay_alu instid0(VALU_DEP_3) | instskip(SKIP_1) | instid1(VALU_DEP_3)
	v_dual_add_f32 v15, v15, v34 :: v_dual_add_f32 v10, v10, v24
	v_exp_f32_e32 v9, v9
	v_fmac_f32_e32 v20, 0x32a5705f, v0
	s_delay_alu instid0(VALU_DEP_3)
	v_sub_f32_e32 v8, v8, v21
	v_cvt_i32_f32_e32 v21, v21
	v_cvt_i32_f32_e32 v23, v23
	v_exp_f32_e32 v10, v10
	v_cmp_ngt_f32_e32 vcc_lo, 0xc2ce8ed0, v0
	v_add_f32_e32 v8, v8, v20
	v_cvt_i32_f32_e32 v25, v25
	v_exp_f32_e32 v13, v13
	v_ldexp_f32 v9, v9, v23
	v_cvt_i32_f32_e32 v31, v31
	v_exp_f32_e32 v8, v8
	v_exp_f32_e32 v11, v11
	v_cvt_i32_f32_e32 v27, v27
	v_ldexp_f32 v10, v10, v25
	v_fma_f32 v32, 0x3fb8aa3b, v3, -v14
	v_rndne_f32_e32 v33, v14
	v_exp_f32_e32 v15, v15
	v_ldexp_f32 v13, v13, v31
	v_cvt_i32_f32_e32 v22, v35
	s_delay_alu instid0(TRANS32_DEP_3) | instskip(NEXT) | instid1(TRANS32_DEP_2)
	v_ldexp_f32 v8, v8, v21
	v_ldexp_f32 v11, v11, v27
	v_sub_f32_e32 v14, v14, v33
	v_cvt_i32_f32_e32 v20, v33
	s_delay_alu instid0(VALU_DEP_4) | instskip(SKIP_4) | instid1(VALU_DEP_3)
	v_cndmask_b32_e32 v8, 0, v8, vcc_lo
	v_cmp_ngt_f32_e32 vcc_lo, 0xc2ce8ed0, v5
	v_mul_f32_e32 v12, 0x3fb8aa3b, v2
	v_ldexp_f32 v15, v15, v22
	v_cndmask_b32_e32 v9, 0, v9, vcc_lo
	v_fma_f32 v28, 0x3fb8aa3b, v2, -v12
	v_rndne_f32_e32 v29, v12
	v_cmp_ngt_f32_e32 vcc_lo, 0xc2ce8ed0, v1
	s_delay_alu instid0(VALU_DEP_3) | instskip(NEXT) | instid1(VALU_DEP_3)
	v_fmac_f32_e32 v28, 0x32a5705f, v2
	v_sub_f32_e32 v12, v12, v29
	v_cndmask_b32_e32 v10, 0, v10, vcc_lo
	v_cmp_nlt_f32_e32 vcc_lo, 0x42b17218, v0
	v_cvt_i32_f32_e32 v29, v29
	s_delay_alu instid0(VALU_DEP_4) | instskip(SKIP_2) | instid1(VALU_DEP_3)
	v_add_f32_e32 v12, v12, v28
	v_cndmask_b32_e32 v0, 0x7f800000, v8, vcc_lo
	v_cmp_nlt_f32_e32 vcc_lo, 0x42b17218, v5
	v_exp_f32_e32 v12, v12
	v_cndmask_b32_e32 v5, 0x7f800000, v9, vcc_lo
	v_cmp_ngt_f32_e32 vcc_lo, 0xc2ce8ed0, v6
	s_delay_alu instid0(VALU_DEP_2)
	v_dual_fmac_f32 v32, 0x32a5705f, v3 :: v_dual_add_f32 v9, v0, v5
	v_cndmask_b32_e32 v8, 0, v11, vcc_lo
	v_cmp_nlt_f32_e32 vcc_lo, 0x42b17218, v1
	s_waitcnt_depctr 0xfff
	v_ldexp_f32 v12, v12, v29
	v_dual_add_f32 v14, v14, v32 :: v_dual_cndmask_b32 v1, 0x7f800000, v10
	v_cmp_ngt_f32_e32 vcc_lo, 0xc2ce8ed0, v2
	s_delay_alu instid0(VALU_DEP_2) | instskip(NEXT) | instid1(VALU_DEP_3)
	v_exp_f32_e32 v14, v14
	v_cndmask_b32_e32 v10, 0, v12, vcc_lo
	v_cmp_nlt_f32_e32 vcc_lo, 0x42b17218, v6
	v_cndmask_b32_e32 v6, 0x7f800000, v8, vcc_lo
	v_cmp_ngt_f32_e32 vcc_lo, 0xc2ce8ed0, v7
	v_add_f32_e32 v8, v9, v1
	s_waitcnt_depctr 0xfff
	v_ldexp_f32 v14, v14, v20
	v_lshlrev_b32_e32 v20, 3, v17
	v_cndmask_b32_e32 v9, 0, v13, vcc_lo
	v_cmp_nlt_f32_e32 vcc_lo, 0x42b17218, v2
	v_add_f32_e32 v8, v8, v6
	v_cndmask_b32_e32 v2, 0x7f800000, v10, vcc_lo
	v_cmp_ngt_f32_e32 vcc_lo, 0xc2ce8ed0, v3
	s_delay_alu instid0(VALU_DEP_2) | instskip(SKIP_4) | instid1(VALU_DEP_2)
	v_add_f32_e32 v8, v8, v2
	v_cndmask_b32_e32 v10, 0, v14, vcc_lo
	v_cmp_nlt_f32_e32 vcc_lo, 0x42b17218, v7
	v_cndmask_b32_e32 v7, 0x7f800000, v9, vcc_lo
	v_cmp_ngt_f32_e32 vcc_lo, 0xc2ce8ed0, v4
	v_add_f32_e32 v8, v8, v7
	v_cndmask_b32_e32 v9, 0, v15, vcc_lo
	v_cmp_nlt_f32_e32 vcc_lo, 0x42b17218, v3
	v_cndmask_b32_e32 v3, 0x7f800000, v10, vcc_lo
	v_cmp_nlt_f32_e32 vcc_lo, 0x42b17218, v4
	s_delay_alu instid0(VALU_DEP_2) | instskip(SKIP_1) | instid1(VALU_DEP_1)
	v_add_f32_e32 v8, v8, v3
	v_cndmask_b32_e32 v4, 0x7f800000, v9, vcc_lo
	v_add_f32_e32 v8, v8, v4
	ds_bpermute_b32 v9, v18, v8
	s_waitcnt lgkmcnt(0)
	v_add_f32_e32 v8, v8, v9
	ds_bpermute_b32 v9, v19, v8
	s_waitcnt lgkmcnt(0)
	v_add_f32_e32 v8, v8, v9
	s_delay_alu instid0(VALU_DEP_1) | instskip(SKIP_1) | instid1(VALU_DEP_2)
	v_div_scale_f32 v9, null, v8, v8, 1.0
	v_div_scale_f32 v12, vcc_lo, 1.0, v8, 1.0
	v_rcp_f32_e32 v10, v9
	s_waitcnt_depctr 0xfff
	v_fma_f32 v11, -v9, v10, 1.0
	s_delay_alu instid0(VALU_DEP_1) | instskip(NEXT) | instid1(VALU_DEP_1)
	v_fmac_f32_e32 v10, v11, v10
	v_mul_f32_e32 v11, v12, v10
	s_delay_alu instid0(VALU_DEP_1) | instskip(NEXT) | instid1(VALU_DEP_1)
	v_fma_f32 v13, -v9, v11, v12
	v_fmac_f32_e32 v11, v13, v10
	s_delay_alu instid0(VALU_DEP_1) | instskip(NEXT) | instid1(VALU_DEP_1)
	v_fma_f32 v9, -v9, v11, v12
	v_div_fmas_f32 v9, v9, v10, v11
	s_delay_alu instid0(VALU_DEP_1) | instskip(NEXT) | instid1(VALU_DEP_1)
	v_div_fixup_f32 v8, v9, v8, 1.0
	v_mul_f32_e32 v0, v8, v0
	v_mul_f32_e32 v5, v8, v5
	;; [unrolled: 1-line block ×5, first 2 shown]
	v_cmp_class_f32_e64 vcc_lo, v0, 0x1f8
	v_mul_f32_e32 v7, v8, v7
	v_mul_f32_e32 v11, v8, v3
	;; [unrolled: 1-line block ×3, first 2 shown]
	v_cndmask_b32_e32 v0, 0, v0, vcc_lo
	v_cmp_class_f32_e64 vcc_lo, v5, 0x1f8
	v_cndmask_b32_e32 v1, 0, v5, vcc_lo
	v_cmp_class_f32_e64 vcc_lo, v9, 0x1f8
	;; [unrolled: 2-line block ×7, first 2 shown]
	v_cndmask_b32_e32 v7, 0, v8, vcc_lo
	s_cbranch_scc1 .LBB98_23
; %bb.4:
	v_lshlrev_b32_e32 v12, 2, v20
	s_clause 0x1
	global_load_b128 v[8:11], v12, s[2:3]
	global_load_b128 v[12:15], v12, s[2:3] offset:16
	s_waitcnt vmcnt(1)
	v_dual_add_f32 v9, v9, v1 :: v_dual_add_f32 v8, v8, v0
	v_dual_add_f32 v11, v11, v3 :: v_dual_add_f32 v10, v10, v2
	s_waitcnt vmcnt(0)
	v_dual_add_f32 v13, v13, v5 :: v_dual_add_f32 v12, v12, v4
	v_dual_add_f32 v15, v15, v7 :: v_dual_add_f32 v14, v14, v6
	s_cbranch_execnz .LBB98_6
.LBB98_5:
	v_dual_mov_b32 v15, v7 :: v_dual_mov_b32 v14, v6
	v_dual_mov_b32 v13, v5 :: v_dual_mov_b32 v12, v4
	;; [unrolled: 1-line block ×4, first 2 shown]
.LBB98_6:
	s_load_b128 s[4:7], s[0:1], 0x30
	v_cmp_eq_u32_e64 s2, 0, v17
	s_waitcnt lgkmcnt(0)
	s_bitcmp1_b32 s7, 0
	s_mov_b32 s7, 0
	s_cselect_b32 vcc_lo, -1, 0
	s_cmp_gt_i32 s4, 0
	s_cselect_b32 s3, -1, 0
	s_cmp_lt_i32 s4, 1
	s_cbranch_scc1 .LBB98_24
; %bb.7:
	s_load_b128 s[8:11], s[0:1], 0x20
	v_mul_lo_u32 v22, v16, s4
	v_mov_b32_e32 v21, 0
	v_mov_b32_e32 v23, v16
	s_branch .LBB98_10
.LBB98_8:                               ;   in Loop: Header=BB98_10 Depth=1
	s_or_b32 exec_lo, exec_lo, s1
.LBB98_9:                               ;   in Loop: Header=BB98_10 Depth=1
	v_add_nc_u32_e32 v23, s14, v23
	s_cmp_eq_u32 s4, s7
	s_cbranch_scc1 .LBB98_25
.LBB98_10:                              ; =>This Inner Loop Header: Depth=1
	v_cmp_gt_f32_e64 s0, v9, v8
	s_mov_b32 s17, exec_lo
	s_delay_alu instid0(VALU_DEP_1) | instskip(SKIP_2) | instid1(VALU_DEP_3)
	v_cndmask_b32_e64 v24, v8, v9, s0
	v_cndmask_b32_e64 v25, 0, 1, s0
	;; [unrolled: 1-line block ×3, first 2 shown]
	v_cmp_gt_f32_e64 s1, v10, v24
	s_delay_alu instid0(VALU_DEP_1) | instskip(NEXT) | instid1(VALU_DEP_4)
	v_cndmask_b32_e64 v24, v24, v10, s1
	v_cndmask_b32_e64 v25, v25, 2, s1
	s_delay_alu instid0(VALU_DEP_4) | instskip(NEXT) | instid1(VALU_DEP_3)
	v_cndmask_b32_e64 v26, v26, v2, s1
	v_cmp_gt_f32_e64 s0, v11, v24
	s_delay_alu instid0(VALU_DEP_1) | instskip(NEXT) | instid1(VALU_DEP_4)
	v_cndmask_b32_e64 v24, v24, v11, s0
	v_cndmask_b32_e64 v25, v25, 3, s0
	s_delay_alu instid0(VALU_DEP_4) | instskip(NEXT) | instid1(VALU_DEP_3)
	v_cndmask_b32_e64 v26, v26, v3, s0
	;; [unrolled: 6-line block ×4, first 2 shown]
	v_cmp_gt_f32_e64 s1, v14, v24
	s_delay_alu instid0(VALU_DEP_1) | instskip(NEXT) | instid1(VALU_DEP_4)
	v_cndmask_b32_e64 v24, v24, v14, s1
	v_cndmask_b32_e64 v25, v25, 6, s1
	s_waitcnt lgkmcnt(0)
	v_cndmask_b32_e64 v27, v26, v6, s1
	s_delay_alu instid0(VALU_DEP_3) | instskip(NEXT) | instid1(VALU_DEP_1)
	v_cmp_gt_f32_e64 s0, v15, v24
	v_cndmask_b32_e64 v26, v24, v15, s0
	v_cndmask_b32_e64 v24, v25, 7, s0
	s_delay_alu instid0(VALU_DEP_4)
	v_cndmask_b32_e64 v25, v27, v7, s0
	ds_bpermute_b32 v27, v18, v26
	v_or_b32_e32 v24, v20, v24
	ds_bpermute_b32 v29, v18, v25
	ds_bpermute_b32 v28, v18, v24
	s_waitcnt lgkmcnt(0)
	v_cmp_lt_f32_e64 s16, v26, v27
	v_cmpx_nlt_f32_e32 v26, v27
; %bb.11:                               ;   in Loop: Header=BB98_10 Depth=1
	v_cmp_eq_f32_e64 s0, v26, v27
	v_cmp_lt_i32_e64 s1, v28, v24
	s_delay_alu instid0(VALU_DEP_1) | instskip(SKIP_2) | instid1(SALU_CYCLE_1)
	s_and_b32 s0, s0, s1
	s_and_not1_b32 s1, s16, exec_lo
	s_and_b32 s0, s0, exec_lo
	s_or_b32 s16, s1, s0
; %bb.12:                               ;   in Loop: Header=BB98_10 Depth=1
	s_or_b32 exec_lo, exec_lo, s17
	s_and_saveexec_b32 s0, s16
; %bb.13:                               ;   in Loop: Header=BB98_10 Depth=1
	v_dual_mov_b32 v25, v29 :: v_dual_mov_b32 v26, v27
	v_mov_b32_e32 v24, v28
; %bb.14:                               ;   in Loop: Header=BB98_10 Depth=1
	s_or_b32 exec_lo, exec_lo, s0
	ds_bpermute_b32 v29, v19, v26
	ds_bpermute_b32 v28, v19, v25
	;; [unrolled: 1-line block ×3, first 2 shown]
	s_mov_b32 s17, exec_lo
	s_waitcnt lgkmcnt(2)
	v_cmp_lt_f32_e64 s16, v26, v29
	v_cmpx_nlt_f32_e32 v26, v29
	s_cbranch_execnz .LBB98_18
; %bb.15:                               ;   in Loop: Header=BB98_10 Depth=1
	s_or_b32 exec_lo, exec_lo, s17
	s_delay_alu instid0(VALU_DEP_2)
	s_and_saveexec_b32 s0, s16
	s_cbranch_execnz .LBB98_19
.LBB98_16:                              ;   in Loop: Header=BB98_10 Depth=1
	s_or_b32 exec_lo, exec_lo, s0
	s_and_saveexec_b32 s16, s2
	s_cbranch_execnz .LBB98_20
.LBB98_17:                              ;   in Loop: Header=BB98_10 Depth=1
	s_or_b32 exec_lo, exec_lo, s16
	s_add_i32 s7, s7, 1
	s_delay_alu instid0(SALU_CYCLE_1)
	s_cmp_ge_i32 s7, s4
	s_cbranch_scc1 .LBB98_9
	s_branch .LBB98_21
.LBB98_18:                              ;   in Loop: Header=BB98_10 Depth=1
	v_cmp_eq_f32_e64 s0, v26, v29
	s_waitcnt lgkmcnt(0)
	v_cmp_lt_i32_e64 s1, v27, v24
	s_delay_alu instid0(VALU_DEP_1) | instskip(SKIP_2) | instid1(SALU_CYCLE_1)
	s_and_b32 s0, s0, s1
	s_and_not1_b32 s1, s16, exec_lo
	s_and_b32 s0, s0, exec_lo
	s_or_b32 s16, s1, s0
	s_or_b32 exec_lo, exec_lo, s17
	s_and_saveexec_b32 s0, s16
	s_cbranch_execz .LBB98_16
.LBB98_19:                              ;   in Loop: Header=BB98_10 Depth=1
	s_waitcnt lgkmcnt(0)
	v_dual_mov_b32 v25, v28 :: v_dual_mov_b32 v24, v27
	s_or_b32 exec_lo, exec_lo, s0
	s_and_saveexec_b32 s16, s2
	s_cbranch_execz .LBB98_17
.LBB98_20:                              ;   in Loop: Header=BB98_10 Depth=1
	s_delay_alu instid0(VALU_DEP_1)
	v_dual_add_f32 v33, v21, v25 :: v_dual_add_nc_u32 v26, s7, v22
	v_cmp_le_i32_e64 s0, s5, v24
	v_cmp_gt_i32_e64 s1, s6, v24
	s_waitcnt lgkmcnt(1)
	v_subrev_nc_u32_e32 v28, s5, v24
	s_waitcnt lgkmcnt(0)
	v_ashrrev_i32_e32 v27, 31, v26
	v_cndmask_b32_e32 v21, v21, v33, vcc_lo
	s_and_b32 s0, s0, s1
	s_delay_alu instid0(SALU_CYCLE_1) | instskip(NEXT) | instid1(VALU_DEP_2)
	s_and_b32 s0, s15, s0
	v_lshlrev_b64 v[26:27], 2, v[26:27]
	v_cndmask_b32_e64 v32, 32, v28, s0
	s_delay_alu instid0(VALU_DEP_2) | instskip(NEXT) | instid1(VALU_DEP_1)
	v_add_co_u32 v28, s0, s12, v26
	v_add_co_ci_u32_e64 v29, s0, s13, v27, s0
	v_add_co_u32 v30, s0, s8, v26
	s_delay_alu instid0(VALU_DEP_1) | instskip(SKIP_1) | instid1(VALU_DEP_1)
	v_add_co_ci_u32_e64 v31, s0, s9, v27, s0
	v_add_co_u32 v26, s0, s10, v26
	v_add_co_ci_u32_e64 v27, s0, s11, v27, s0
	global_store_b32 v[28:29], v25, off
	global_store_b32 v[30:31], v32, off
	;; [unrolled: 1-line block ×3, first 2 shown]
	s_or_b32 exec_lo, exec_lo, s16
	s_add_i32 s7, s7, 1
	s_delay_alu instid0(SALU_CYCLE_1)
	s_cmp_ge_i32 s7, s4
	s_cbranch_scc1 .LBB98_9
.LBB98_21:                              ;   in Loop: Header=BB98_10 Depth=1
	v_ashrrev_i32_e32 v26, 31, v24
	s_mov_b32 s1, exec_lo
	s_delay_alu instid0(VALU_DEP_1) | instskip(NEXT) | instid1(VALU_DEP_1)
	v_lshrrev_b32_e32 v25, 29, v26
	v_add_nc_u32_e32 v25, v24, v25
	s_delay_alu instid0(VALU_DEP_1) | instskip(SKIP_1) | instid1(VALU_DEP_1)
	v_ashrrev_i32_e32 v25, 3, v25
	s_waitcnt lgkmcnt(0)
	v_lshrrev_b32_e32 v27, 30, v25
	s_delay_alu instid0(VALU_DEP_1) | instskip(NEXT) | instid1(VALU_DEP_1)
	v_add_nc_u32_e32 v27, v25, v27
	v_and_b32_e32 v27, -4, v27
	s_delay_alu instid0(VALU_DEP_1) | instskip(NEXT) | instid1(VALU_DEP_1)
	v_sub_nc_u32_e32 v27, v25, v27
	v_cmpx_eq_u32_e64 v17, v27
	s_cbranch_execz .LBB98_8
; %bb.22:                               ;   in Loop: Header=BB98_10 Depth=1
	v_lshrrev_b32_e32 v26, 27, v26
	v_lshlrev_b32_e32 v25, 3, v25
	s_delay_alu instid0(VALU_DEP_2) | instskip(NEXT) | instid1(VALU_DEP_2)
	v_add_nc_u32_e32 v26, v24, v26
	v_sub_nc_u32_e32 v24, v24, v25
	s_delay_alu instid0(VALU_DEP_2) | instskip(NEXT) | instid1(VALU_DEP_1)
	v_ashrrev_i32_e32 v25, 5, v26
	v_lshl_add_u32 v24, v25, 3, v24
	s_delay_alu instid0(VALU_DEP_1) | instskip(NEXT) | instid1(VALU_DEP_1)
	v_cmp_ne_u32_e64 s0, 7, v24
	v_cndmask_b32_e64 v15, 0xc61c4000, v15, s0
	v_cmp_ne_u32_e64 s0, 6, v24
	s_delay_alu instid0(VALU_DEP_1) | instskip(SKIP_1) | instid1(VALU_DEP_1)
	v_cndmask_b32_e64 v14, 0xc61c4000, v14, s0
	v_cmp_ne_u32_e64 s0, 5, v24
	v_cndmask_b32_e64 v13, 0xc61c4000, v13, s0
	v_cmp_ne_u32_e64 s0, 4, v24
	s_delay_alu instid0(VALU_DEP_1) | instskip(SKIP_1) | instid1(VALU_DEP_1)
	v_cndmask_b32_e64 v12, 0xc61c4000, v12, s0
	v_cmp_ne_u32_e64 s0, 3, v24
	v_cndmask_b32_e64 v11, 0xc61c4000, v11, s0
	v_cmp_ne_u32_e64 s0, 2, v24
	s_delay_alu instid0(VALU_DEP_1) | instskip(SKIP_1) | instid1(VALU_DEP_1)
	v_cndmask_b32_e64 v10, 0xc61c4000, v10, s0
	v_cmp_ne_u32_e64 s0, 1, v24
	v_cndmask_b32_e64 v9, 0xc61c4000, v9, s0
	v_cmp_ne_u32_e64 s0, 0, v24
	s_delay_alu instid0(VALU_DEP_1)
	v_cndmask_b32_e64 v8, 0xc61c4000, v8, s0
	s_branch .LBB98_8
.LBB98_23:
                                        ; implicit-def: $vgpr8_vgpr9_vgpr10_vgpr11_vgpr12_vgpr13_vgpr14_vgpr15
	s_and_not1_b32 vcc_lo, exec_lo, s8
	s_cbranch_vccz .LBB98_5
	s_branch .LBB98_6
.LBB98_24:
	v_mov_b32_e32 v21, 0
.LBB98_25:
	v_cmp_eq_u32_e64 s0, 0, v17
	s_delay_alu instid0(VALU_DEP_1) | instskip(NEXT) | instid1(SALU_CYCLE_1)
	s_and_b32 s0, s0, vcc_lo
	s_and_b32 exec_lo, exec_lo, s0
	s_cbranch_execz .LBB98_29
; %bb.26:
	s_and_not1_b32 vcc_lo, exec_lo, s3
	s_cbranch_vccnz .LBB98_29
; %bb.27:
	v_mul_lo_u32 v0, v16, s4
	v_cmp_lt_f32_e32 vcc_lo, 0, v21
	v_cndmask_b32_e32 v2, 1.0, v21, vcc_lo
	s_delay_alu instid0(VALU_DEP_3) | instskip(NEXT) | instid1(VALU_DEP_1)
	v_ashrrev_i32_e32 v1, 31, v0
	v_lshlrev_b64 v[0:1], 2, v[0:1]
	s_delay_alu instid0(VALU_DEP_1) | instskip(NEXT) | instid1(VALU_DEP_2)
	v_add_co_u32 v0, vcc_lo, s12, v0
	v_add_co_ci_u32_e32 v1, vcc_lo, s13, v1, vcc_lo
	.p2align	6
.LBB98_28:                              ; =>This Inner Loop Header: Depth=1
	global_load_b32 v3, v[0:1], off
	s_add_i32 s4, s4, -1
	s_delay_alu instid0(SALU_CYCLE_1) | instskip(SKIP_3) | instid1(VALU_DEP_2)
	s_cmp_lg_u32 s4, 0
	s_waitcnt vmcnt(0)
	v_div_scale_f32 v4, null, v2, v2, v3
	v_div_scale_f32 v7, vcc_lo, v3, v2, v3
	v_rcp_f32_e32 v5, v4
	s_waitcnt_depctr 0xfff
	v_fma_f32 v6, -v4, v5, 1.0
	s_delay_alu instid0(VALU_DEP_1) | instskip(NEXT) | instid1(VALU_DEP_1)
	v_fmac_f32_e32 v5, v6, v5
	v_mul_f32_e32 v6, v7, v5
	s_delay_alu instid0(VALU_DEP_1) | instskip(NEXT) | instid1(VALU_DEP_1)
	v_fma_f32 v8, -v4, v6, v7
	v_fmac_f32_e32 v6, v8, v5
	s_delay_alu instid0(VALU_DEP_1) | instskip(NEXT) | instid1(VALU_DEP_1)
	v_fma_f32 v4, -v4, v6, v7
	v_div_fmas_f32 v4, v4, v5, v6
	s_delay_alu instid0(VALU_DEP_1)
	v_div_fixup_f32 v3, v4, v2, v3
	global_store_b32 v[0:1], v3, off
	v_add_co_u32 v0, vcc_lo, v0, 4
	v_add_co_ci_u32_e32 v1, vcc_lo, 0, v1, vcc_lo
	s_cbranch_scc1 .LBB98_28
.LBB98_29:
	s_nop 0
	s_sendmsg sendmsg(MSG_DEALLOC_VGPRS)
	s_endpgm
	.section	.rodata,"a",@progbits
	.p2align	6, 0x0
	.amdhsa_kernel _ZN4vllm3moe10topkGatingILi8ELi32ELi4ELi16ELi32Ej6__halfLNS0_11ScoringFuncE0EEEvPKT5_PKbPfiPT4_PiiiibPKf
		.amdhsa_group_segment_fixed_size 0
		.amdhsa_private_segment_fixed_size 0
		.amdhsa_kernarg_size 72
		.amdhsa_user_sgpr_count 15
		.amdhsa_user_sgpr_dispatch_ptr 0
		.amdhsa_user_sgpr_queue_ptr 0
		.amdhsa_user_sgpr_kernarg_segment_ptr 1
		.amdhsa_user_sgpr_dispatch_id 0
		.amdhsa_user_sgpr_private_segment_size 0
		.amdhsa_wavefront_size32 1
		.amdhsa_uses_dynamic_stack 0
		.amdhsa_enable_private_segment 0
		.amdhsa_system_sgpr_workgroup_id_x 1
		.amdhsa_system_sgpr_workgroup_id_y 0
		.amdhsa_system_sgpr_workgroup_id_z 0
		.amdhsa_system_sgpr_workgroup_info 0
		.amdhsa_system_vgpr_workitem_id 1
		.amdhsa_next_free_vgpr 36
		.amdhsa_next_free_sgpr 18
		.amdhsa_reserve_vcc 1
		.amdhsa_float_round_mode_32 0
		.amdhsa_float_round_mode_16_64 0
		.amdhsa_float_denorm_mode_32 3
		.amdhsa_float_denorm_mode_16_64 3
		.amdhsa_dx10_clamp 1
		.amdhsa_ieee_mode 1
		.amdhsa_fp16_overflow 0
		.amdhsa_workgroup_processor_mode 1
		.amdhsa_memory_ordered 1
		.amdhsa_forward_progress 0
		.amdhsa_shared_vgpr_count 0
		.amdhsa_exception_fp_ieee_invalid_op 0
		.amdhsa_exception_fp_denorm_src 0
		.amdhsa_exception_fp_ieee_div_zero 0
		.amdhsa_exception_fp_ieee_overflow 0
		.amdhsa_exception_fp_ieee_underflow 0
		.amdhsa_exception_fp_ieee_inexact 0
		.amdhsa_exception_int_div_zero 0
	.end_amdhsa_kernel
	.section	.text._ZN4vllm3moe10topkGatingILi8ELi32ELi4ELi16ELi32Ej6__halfLNS0_11ScoringFuncE0EEEvPKT5_PKbPfiPT4_PiiiibPKf,"axG",@progbits,_ZN4vllm3moe10topkGatingILi8ELi32ELi4ELi16ELi32Ej6__halfLNS0_11ScoringFuncE0EEEvPKT5_PKbPfiPT4_PiiiibPKf,comdat
.Lfunc_end98:
	.size	_ZN4vllm3moe10topkGatingILi8ELi32ELi4ELi16ELi32Ej6__halfLNS0_11ScoringFuncE0EEEvPKT5_PKbPfiPT4_PiiiibPKf, .Lfunc_end98-_ZN4vllm3moe10topkGatingILi8ELi32ELi4ELi16ELi32Ej6__halfLNS0_11ScoringFuncE0EEEvPKT5_PKbPfiPT4_PiiiibPKf
                                        ; -- End function
	.section	.AMDGPU.csdata,"",@progbits
; Kernel info:
; codeLenInByte = 2996
; NumSgprs: 20
; NumVgprs: 36
; ScratchSize: 0
; MemoryBound: 0
; FloatMode: 240
; IeeeMode: 1
; LDSByteSize: 0 bytes/workgroup (compile time only)
; SGPRBlocks: 2
; VGPRBlocks: 4
; NumSGPRsForWavesPerEU: 20
; NumVGPRsForWavesPerEU: 36
; Occupancy: 16
; WaveLimiterHint : 0
; COMPUTE_PGM_RSRC2:SCRATCH_EN: 0
; COMPUTE_PGM_RSRC2:USER_SGPR: 15
; COMPUTE_PGM_RSRC2:TRAP_HANDLER: 0
; COMPUTE_PGM_RSRC2:TGID_X_EN: 1
; COMPUTE_PGM_RSRC2:TGID_Y_EN: 0
; COMPUTE_PGM_RSRC2:TGID_Z_EN: 0
; COMPUTE_PGM_RSRC2:TIDIG_COMP_CNT: 1
	.section	.text._ZN4vllm3moe10topkGatingILi8ELi64ELi4ELi16ELi64Ej6__halfLNS0_11ScoringFuncE0EEEvPKT5_PKbPfiPT4_PiiiibPKf,"axG",@progbits,_ZN4vllm3moe10topkGatingILi8ELi64ELi4ELi16ELi64Ej6__halfLNS0_11ScoringFuncE0EEEvPKT5_PKbPfiPT4_PiiiibPKf,comdat
	.protected	_ZN4vllm3moe10topkGatingILi8ELi64ELi4ELi16ELi64Ej6__halfLNS0_11ScoringFuncE0EEEvPKT5_PKbPfiPT4_PiiiibPKf ; -- Begin function _ZN4vllm3moe10topkGatingILi8ELi64ELi4ELi16ELi64Ej6__halfLNS0_11ScoringFuncE0EEEvPKT5_PKbPfiPT4_PiiiibPKf
	.globl	_ZN4vllm3moe10topkGatingILi8ELi64ELi4ELi16ELi64Ej6__halfLNS0_11ScoringFuncE0EEEvPKT5_PKbPfiPT4_PiiiibPKf
	.p2align	8
	.type	_ZN4vllm3moe10topkGatingILi8ELi64ELi4ELi16ELi64Ej6__halfLNS0_11ScoringFuncE0EEEvPKT5_PKbPfiPT4_PiiiibPKf,@function
_ZN4vllm3moe10topkGatingILi8ELi64ELi4ELi16ELi64Ej6__halfLNS0_11ScoringFuncE0EEEvPKT5_PKbPfiPT4_PiiiibPKf: ; @_ZN4vllm3moe10topkGatingILi8ELi64ELi4ELi16ELi64Ej6__halfLNS0_11ScoringFuncE0EEEvPKT5_PKbPfiPT4_PiiiibPKf
; %bb.0:
	s_load_b32 s14, s[0:1], 0x18
	v_bfe_u32 v1, v0, 10, 10
	v_and_b32_e32 v0, 0x3ff, v0
	s_lshl_b32 s2, s15, 5
	s_delay_alu instid0(VALU_DEP_2) | instskip(NEXT) | instid1(VALU_DEP_2)
	v_lshlrev_b32_e32 v1, 3, v1
	v_lshrrev_b32_e32 v2, 3, v0
	s_delay_alu instid0(VALU_DEP_1) | instskip(SKIP_2) | instid1(VALU_DEP_1)
	v_add3_u32 v16, s2, v1, v2
	s_mov_b32 s2, exec_lo
	s_waitcnt lgkmcnt(0)
	v_cmpx_gt_i32_e64 s14, v16
	s_cbranch_execz .LBB99_33
; %bb.1:
	s_clause 0x1
	s_load_b128 s[4:7], s[0:1], 0x0
	s_load_b64 s[12:13], s[0:1], 0x10
	s_mov_b32 s8, -1
	s_mov_b32 s15, -1
	s_waitcnt lgkmcnt(0)
	s_cmp_eq_u64 s[6:7], 0
	s_cbranch_scc1 .LBB99_3
; %bb.2:
	v_ashrrev_i32_e32 v2, 31, v16
	v_add_co_u32 v1, vcc_lo, s6, v16
	s_delay_alu instid0(VALU_DEP_2) | instskip(SKIP_3) | instid1(VALU_DEP_1)
	v_add_co_ci_u32_e32 v2, vcc_lo, s7, v2, vcc_lo
	global_load_u8 v1, v[1:2], off
	s_waitcnt vmcnt(0)
	v_and_b32_e32 v1, 1, v1
	v_cmp_eq_u32_e32 vcc_lo, 1, v1
	s_xor_b32 s2, vcc_lo, -1
	s_delay_alu instid0(SALU_CYCLE_1)
	s_or_not1_b32 s15, s2, exec_lo
.LBB99_3:
	v_lshlrev_b32_e32 v1, 6, v16
	v_and_b32_e32 v17, 7, v0
	v_mbcnt_lo_u32_b32 v4, -1, 0
	s_load_b64 s[2:3], s[0:1], 0x40
	s_delay_alu instid0(VALU_DEP_3) | instskip(NEXT) | instid1(VALU_DEP_2)
	v_ashrrev_i32_e32 v2, 31, v1
	v_and_b32_e32 v6, 24, v4
	v_xor_b32_e32 v8, 4, v4
	v_xor_b32_e32 v12, 2, v4
	s_delay_alu instid0(VALU_DEP_4) | instskip(SKIP_1) | instid1(VALU_DEP_2)
	v_lshlrev_b64 v[0:1], 1, v[1:2]
	v_lshlrev_b32_e32 v2, 4, v17
	v_add_co_u32 v0, vcc_lo, s4, v0
	s_delay_alu instid0(VALU_DEP_3) | instskip(NEXT) | instid1(VALU_DEP_2)
	v_add_co_ci_u32_e32 v1, vcc_lo, s5, v1, vcc_lo
	v_add_co_u32 v0, vcc_lo, v0, v2
	s_delay_alu instid0(VALU_DEP_2)
	v_add_co_ci_u32_e32 v1, vcc_lo, 0, v1, vcc_lo
	s_waitcnt lgkmcnt(0)
	s_cmp_eq_u64 s[2:3], 0
	global_load_b128 v[0:3], v[0:1], off
	s_waitcnt vmcnt(0)
	v_lshrrev_b32_e32 v5, 16, v0
	v_cvt_f32_f16_e32 v0, v0
	v_lshrrev_b32_e32 v7, 16, v1
	v_cvt_f32_f16_e32 v1, v1
	v_lshrrev_b32_e32 v9, 16, v2
	v_cvt_f32_f16_e32 v5, v5
	v_add_nc_u32_e32 v6, 8, v6
	v_cvt_f32_f16_e32 v7, v7
	v_cvt_f32_f16_e32 v2, v2
	v_lshrrev_b32_e32 v11, 16, v3
	v_max_f32_e32 v10, v0, v5
	v_cvt_f32_f16_e32 v9, v9
	v_cmp_lt_i32_e32 vcc_lo, v8, v6
	v_cvt_f32_f16_e32 v3, v3
	v_cvt_f32_f16_e32 v11, v11
	v_max3_f32 v10, v10, v1, v7
	v_cndmask_b32_e32 v8, v4, v8, vcc_lo
	v_cmp_lt_i32_e32 vcc_lo, v12, v6
	s_delay_alu instid0(VALU_DEP_3) | instskip(NEXT) | instid1(VALU_DEP_3)
	v_max3_f32 v10, v10, v2, v9
	v_lshlrev_b32_e32 v18, 2, v8
	v_cndmask_b32_e32 v12, v4, v12, vcc_lo
	s_delay_alu instid0(VALU_DEP_3) | instskip(SKIP_4) | instid1(VALU_DEP_2)
	v_max3_f32 v8, v10, v3, v11
	ds_bpermute_b32 v10, v18, v8
	s_waitcnt lgkmcnt(0)
	v_dual_max_f32 v10, v10, v10 :: v_dual_lshlrev_b32 v19, 2, v12
	v_xor_b32_e32 v12, 1, v4
	v_max_f32_e32 v8, v8, v10
	s_delay_alu instid0(VALU_DEP_2) | instskip(SKIP_2) | instid1(VALU_DEP_1)
	v_cmp_lt_i32_e32 vcc_lo, v12, v6
	ds_bpermute_b32 v10, v19, v8
	v_cndmask_b32_e32 v4, v4, v12, vcc_lo
	v_lshlrev_b32_e32 v20, 2, v4
	s_waitcnt lgkmcnt(0)
	v_max_f32_e32 v6, v10, v10
	s_delay_alu instid0(VALU_DEP_1) | instskip(SKIP_3) | instid1(VALU_DEP_1)
	v_max_f32_e32 v4, v8, v6
	ds_bpermute_b32 v6, v20, v4
	s_waitcnt lgkmcnt(0)
	v_max_f32_e32 v6, v6, v6
	v_max_f32_e32 v4, v4, v6
	s_delay_alu instid0(VALU_DEP_1) | instskip(SKIP_2) | instid1(VALU_DEP_3)
	v_sub_f32_e32 v5, v5, v4
	v_sub_f32_e32 v6, v7, v4
	v_sub_f32_e32 v7, v9, v4
	v_mul_f32_e32 v9, 0x3fb8aa3b, v5
	s_delay_alu instid0(VALU_DEP_2) | instskip(NEXT) | instid1(VALU_DEP_2)
	v_mul_f32_e32 v13, 0x3fb8aa3b, v7
	v_rndne_f32_e32 v24, v9
	v_fma_f32 v23, 0x3fb8aa3b, v5, -v9
	s_delay_alu instid0(VALU_DEP_3) | instskip(SKIP_1) | instid1(VALU_DEP_4)
	v_rndne_f32_e32 v32, v13
	v_fma_f32 v31, 0x3fb8aa3b, v7, -v13
	v_sub_f32_e32 v9, v9, v24
	v_sub_f32_e32 v3, v3, v4
	;; [unrolled: 1-line block ×3, first 2 shown]
	s_delay_alu instid0(VALU_DEP_4) | instskip(SKIP_1) | instid1(VALU_DEP_4)
	v_fmac_f32_e32 v31, 0x32a5705f, v7
	v_fmac_f32_e32 v23, 0x32a5705f, v5
	v_dual_sub_f32 v13, v13, v32 :: v_dual_mul_f32 v14, 0x3fb8aa3b, v3
	v_cvt_i32_f32_e32 v24, v24
	v_cvt_i32_f32_e32 v32, v32
	s_delay_alu instid0(VALU_DEP_4) | instskip(NEXT) | instid1(VALU_DEP_4)
	v_add_f32_e32 v9, v9, v23
	v_add_f32_e32 v13, v13, v31
	v_fma_f32 v33, 0x3fb8aa3b, v3, -v14
	v_sub_f32_e32 v2, v2, v4
	v_rndne_f32_e32 v34, v14
	v_exp_f32_e32 v9, v9
	v_exp_f32_e32 v13, v13
	v_fmac_f32_e32 v33, 0x32a5705f, v3
	v_mul_f32_e32 v12, 0x3fb8aa3b, v2
	s_delay_alu instid0(VALU_DEP_1) | instskip(SKIP_3) | instid1(VALU_DEP_4)
	v_fma_f32 v29, 0x3fb8aa3b, v2, -v12
	v_sub_f32_e32 v0, v0, v4
	v_dual_sub_f32 v4, v11, v4 :: v_dual_mul_f32 v11, 0x3fb8aa3b, v6
	v_mul_f32_e32 v10, 0x3fb8aa3b, v1
	v_fmac_f32_e32 v29, 0x32a5705f, v2
	s_delay_alu instid0(VALU_DEP_4) | instskip(NEXT) | instid1(VALU_DEP_4)
	v_cmp_ngt_f32_e32 vcc_lo, 0xc2ce8ed0, v0
	v_mul_f32_e32 v15, 0x3fb8aa3b, v4
	v_fma_f32 v27, 0x3fb8aa3b, v6, -v11
	v_rndne_f32_e32 v28, v11
	v_rndne_f32_e32 v26, v10
	v_fma_f32 v25, 0x3fb8aa3b, v1, -v10
	v_fma_f32 v35, 0x3fb8aa3b, v4, -v15
	v_fmac_f32_e32 v27, 0x32a5705f, v6
	v_sub_f32_e32 v11, v11, v28
	v_mul_f32_e32 v8, 0x3fb8aa3b, v0
	v_rndne_f32_e32 v36, v15
	v_dual_sub_f32 v10, v10, v26 :: v_dual_fmac_f32 v35, 0x32a5705f, v4
	s_delay_alu instid0(VALU_DEP_4) | instskip(NEXT) | instid1(VALU_DEP_4)
	v_add_f32_e32 v11, v11, v27
	v_rndne_f32_e32 v22, v8
	s_delay_alu instid0(VALU_DEP_4) | instskip(SKIP_2) | instid1(VALU_DEP_3)
	v_sub_f32_e32 v15, v15, v36
	v_fma_f32 v21, 0x3fb8aa3b, v0, -v8
	v_dual_sub_f32 v14, v14, v34 :: v_dual_fmac_f32 v25, 0x32a5705f, v1
	v_dual_sub_f32 v8, v8, v22 :: v_dual_add_f32 v15, v15, v35
	s_delay_alu instid0(VALU_DEP_3)
	v_fmac_f32_e32 v21, 0x32a5705f, v0
	v_cvt_i32_f32_e32 v23, v36
	v_cvt_i32_f32_e32 v22, v22
	;; [unrolled: 1-line block ×3, first 2 shown]
	v_exp_f32_e32 v15, v15
	v_add_f32_e32 v8, v8, v21
	v_ldexp_f32 v9, v9, v24
	v_rndne_f32_e32 v30, v12
	v_exp_f32_e32 v11, v11
	v_cvt_i32_f32_e32 v28, v28
	v_exp_f32_e32 v8, v8
	v_ldexp_f32 v13, v13, v32
	v_sub_f32_e32 v12, v12, v30
	v_cvt_i32_f32_e32 v30, v30
	v_ldexp_f32 v15, v15, v23
	v_add_f32_e32 v10, v10, v25
	v_add_f32_e32 v14, v14, v33
	;; [unrolled: 1-line block ×3, first 2 shown]
	v_ldexp_f32 v11, v11, v28
	v_cvt_i32_f32_e32 v21, v34
	v_exp_f32_e32 v10, v10
	v_ldexp_f32 v8, v8, v22
	v_exp_f32_e32 v12, v12
	v_exp_f32_e32 v14, v14
	s_delay_alu instid0(VALU_DEP_1) | instskip(SKIP_1) | instid1(TRANS32_DEP_3)
	v_cndmask_b32_e32 v8, 0, v8, vcc_lo
	v_cmp_ngt_f32_e32 vcc_lo, 0xc2ce8ed0, v5
	v_ldexp_f32 v10, v10, v26
	v_cndmask_b32_e32 v9, 0, v9, vcc_lo
	v_cmp_ngt_f32_e32 vcc_lo, 0xc2ce8ed0, v1
	s_delay_alu instid0(TRANS32_DEP_2) | instskip(NEXT) | instid1(TRANS32_DEP_1)
	v_ldexp_f32 v12, v12, v30
	v_ldexp_f32 v14, v14, v21
	v_dual_cndmask_b32 v10, 0, v10 :: v_dual_lshlrev_b32 v21, 3, v17
	v_cmp_nlt_f32_e32 vcc_lo, 0x42b17218, v0
	v_cndmask_b32_e32 v0, 0x7f800000, v8, vcc_lo
	v_cmp_nlt_f32_e32 vcc_lo, 0x42b17218, v5
	v_cndmask_b32_e32 v5, 0x7f800000, v9, vcc_lo
	v_cmp_ngt_f32_e32 vcc_lo, 0xc2ce8ed0, v6
	s_delay_alu instid0(VALU_DEP_2)
	v_dual_add_f32 v9, v0, v5 :: v_dual_cndmask_b32 v8, 0, v11
	v_cmp_nlt_f32_e32 vcc_lo, 0x42b17218, v1
	v_cndmask_b32_e32 v1, 0x7f800000, v10, vcc_lo
	v_cmp_ngt_f32_e32 vcc_lo, 0xc2ce8ed0, v2
	v_cndmask_b32_e32 v10, 0, v12, vcc_lo
	v_cmp_nlt_f32_e32 vcc_lo, 0x42b17218, v6
	v_cndmask_b32_e32 v6, 0x7f800000, v8, vcc_lo
	v_cmp_ngt_f32_e32 vcc_lo, 0xc2ce8ed0, v7
	v_add_f32_e32 v8, v9, v1
	v_cndmask_b32_e32 v9, 0, v13, vcc_lo
	v_cmp_nlt_f32_e32 vcc_lo, 0x42b17218, v2
	s_delay_alu instid0(VALU_DEP_3) | instskip(SKIP_2) | instid1(VALU_DEP_2)
	v_add_f32_e32 v8, v8, v6
	v_cndmask_b32_e32 v2, 0x7f800000, v10, vcc_lo
	v_cmp_ngt_f32_e32 vcc_lo, 0xc2ce8ed0, v3
	v_add_f32_e32 v8, v8, v2
	v_cndmask_b32_e32 v10, 0, v14, vcc_lo
	v_cmp_nlt_f32_e32 vcc_lo, 0x42b17218, v7
	v_cndmask_b32_e32 v7, 0x7f800000, v9, vcc_lo
	v_cmp_ngt_f32_e32 vcc_lo, 0xc2ce8ed0, v4
	s_delay_alu instid0(VALU_DEP_2) | instskip(SKIP_4) | instid1(VALU_DEP_2)
	v_add_f32_e32 v8, v8, v7
	v_cndmask_b32_e32 v9, 0, v15, vcc_lo
	v_cmp_nlt_f32_e32 vcc_lo, 0x42b17218, v3
	v_cndmask_b32_e32 v3, 0x7f800000, v10, vcc_lo
	v_cmp_nlt_f32_e32 vcc_lo, 0x42b17218, v4
	v_add_f32_e32 v8, v8, v3
	v_cndmask_b32_e32 v4, 0x7f800000, v9, vcc_lo
	s_delay_alu instid0(VALU_DEP_1)
	v_add_f32_e32 v8, v8, v4
	ds_bpermute_b32 v9, v18, v8
	s_waitcnt lgkmcnt(0)
	v_add_f32_e32 v8, v8, v9
	ds_bpermute_b32 v9, v19, v8
	s_waitcnt lgkmcnt(0)
	;; [unrolled: 3-line block ×3, first 2 shown]
	v_add_f32_e32 v8, v8, v9
	s_delay_alu instid0(VALU_DEP_1) | instskip(SKIP_1) | instid1(VALU_DEP_2)
	v_div_scale_f32 v9, null, v8, v8, 1.0
	v_div_scale_f32 v12, vcc_lo, 1.0, v8, 1.0
	v_rcp_f32_e32 v10, v9
	s_waitcnt_depctr 0xfff
	v_fma_f32 v11, -v9, v10, 1.0
	s_delay_alu instid0(VALU_DEP_1) | instskip(NEXT) | instid1(VALU_DEP_1)
	v_fmac_f32_e32 v10, v11, v10
	v_mul_f32_e32 v11, v12, v10
	s_delay_alu instid0(VALU_DEP_1) | instskip(NEXT) | instid1(VALU_DEP_1)
	v_fma_f32 v13, -v9, v11, v12
	v_fmac_f32_e32 v11, v13, v10
	s_delay_alu instid0(VALU_DEP_1) | instskip(NEXT) | instid1(VALU_DEP_1)
	v_fma_f32 v9, -v9, v11, v12
	v_div_fmas_f32 v9, v9, v10, v11
	s_delay_alu instid0(VALU_DEP_1) | instskip(NEXT) | instid1(VALU_DEP_1)
	v_div_fixup_f32 v8, v9, v8, 1.0
	v_mul_f32_e32 v0, v8, v0
	v_mul_f32_e32 v5, v8, v5
	;; [unrolled: 1-line block ×5, first 2 shown]
	v_cmp_class_f32_e64 vcc_lo, v0, 0x1f8
	v_mul_f32_e32 v7, v8, v7
	v_mul_f32_e32 v11, v8, v3
	;; [unrolled: 1-line block ×3, first 2 shown]
	v_cndmask_b32_e32 v0, 0, v0, vcc_lo
	v_cmp_class_f32_e64 vcc_lo, v5, 0x1f8
	v_cndmask_b32_e32 v1, 0, v5, vcc_lo
	v_cmp_class_f32_e64 vcc_lo, v9, 0x1f8
	;; [unrolled: 2-line block ×7, first 2 shown]
	v_cndmask_b32_e32 v7, 0, v8, vcc_lo
	s_cbranch_scc1 .LBB99_27
; %bb.4:
	v_lshlrev_b32_e32 v12, 2, v21
	s_clause 0x1
	global_load_b128 v[8:11], v12, s[2:3]
	global_load_b128 v[12:15], v12, s[2:3] offset:16
	s_waitcnt vmcnt(1)
	v_dual_add_f32 v11, v11, v3 :: v_dual_add_f32 v8, v8, v0
	v_dual_add_f32 v9, v9, v1 :: v_dual_add_f32 v10, v10, v2
	s_waitcnt vmcnt(0)
	v_dual_add_f32 v13, v13, v5 :: v_dual_add_f32 v12, v12, v4
	v_dual_add_f32 v15, v15, v7 :: v_dual_add_f32 v14, v14, v6
	s_cbranch_execnz .LBB99_6
.LBB99_5:
	v_dual_mov_b32 v15, v7 :: v_dual_mov_b32 v14, v6
	v_dual_mov_b32 v13, v5 :: v_dual_mov_b32 v12, v4
	;; [unrolled: 1-line block ×4, first 2 shown]
.LBB99_6:
	s_load_b128 s[4:7], s[0:1], 0x30
	v_cmp_eq_u32_e64 s2, 0, v17
	s_waitcnt lgkmcnt(0)
	s_bitcmp1_b32 s7, 0
	s_mov_b32 s7, 0
	s_cselect_b32 vcc_lo, -1, 0
	s_cmp_gt_i32 s4, 0
	s_cselect_b32 s3, -1, 0
	s_cmp_lt_i32 s4, 1
	s_cbranch_scc1 .LBB99_28
; %bb.7:
	s_load_b128 s[8:11], s[0:1], 0x20
	v_mul_lo_u32 v23, v16, s4
	v_mov_b32_e32 v22, 0
	v_mov_b32_e32 v24, v16
	s_branch .LBB99_10
.LBB99_8:                               ;   in Loop: Header=BB99_10 Depth=1
	s_or_b32 exec_lo, exec_lo, s1
.LBB99_9:                               ;   in Loop: Header=BB99_10 Depth=1
	v_add_nc_u32_e32 v24, s14, v24
	s_cmp_eq_u32 s4, s7
	s_cbranch_scc1 .LBB99_29
.LBB99_10:                              ; =>This Inner Loop Header: Depth=1
	v_cmp_gt_f32_e64 s0, v9, v8
	s_mov_b32 s17, exec_lo
	s_delay_alu instid0(VALU_DEP_1) | instskip(SKIP_2) | instid1(VALU_DEP_3)
	v_cndmask_b32_e64 v25, v8, v9, s0
	v_cndmask_b32_e64 v26, 0, 1, s0
	;; [unrolled: 1-line block ×3, first 2 shown]
	v_cmp_gt_f32_e64 s1, v10, v25
	s_delay_alu instid0(VALU_DEP_1) | instskip(NEXT) | instid1(VALU_DEP_4)
	v_cndmask_b32_e64 v25, v25, v10, s1
	v_cndmask_b32_e64 v26, v26, 2, s1
	s_delay_alu instid0(VALU_DEP_4) | instskip(NEXT) | instid1(VALU_DEP_3)
	v_cndmask_b32_e64 v27, v27, v2, s1
	v_cmp_gt_f32_e64 s0, v11, v25
	s_delay_alu instid0(VALU_DEP_1) | instskip(NEXT) | instid1(VALU_DEP_4)
	v_cndmask_b32_e64 v25, v25, v11, s0
	v_cndmask_b32_e64 v26, v26, 3, s0
	s_delay_alu instid0(VALU_DEP_4) | instskip(NEXT) | instid1(VALU_DEP_3)
	v_cndmask_b32_e64 v27, v27, v3, s0
	;; [unrolled: 6-line block ×4, first 2 shown]
	v_cmp_gt_f32_e64 s1, v14, v25
	s_delay_alu instid0(VALU_DEP_1) | instskip(NEXT) | instid1(VALU_DEP_4)
	v_cndmask_b32_e64 v25, v25, v14, s1
	v_cndmask_b32_e64 v26, v26, 6, s1
	s_waitcnt lgkmcnt(0)
	v_cndmask_b32_e64 v28, v27, v6, s1
	s_delay_alu instid0(VALU_DEP_3) | instskip(NEXT) | instid1(VALU_DEP_1)
	v_cmp_gt_f32_e64 s0, v15, v25
	v_cndmask_b32_e64 v27, v25, v15, s0
	v_cndmask_b32_e64 v25, v26, 7, s0
	s_delay_alu instid0(VALU_DEP_4)
	v_cndmask_b32_e64 v26, v28, v7, s0
	ds_bpermute_b32 v28, v18, v27
	v_or_b32_e32 v25, v21, v25
	ds_bpermute_b32 v30, v18, v26
	ds_bpermute_b32 v29, v18, v25
	s_waitcnt lgkmcnt(0)
	v_cmp_lt_f32_e64 s16, v27, v28
	v_cmpx_nlt_f32_e32 v27, v28
; %bb.11:                               ;   in Loop: Header=BB99_10 Depth=1
	v_cmp_eq_f32_e64 s0, v27, v28
	v_cmp_lt_i32_e64 s1, v29, v25
	s_delay_alu instid0(VALU_DEP_1) | instskip(SKIP_2) | instid1(SALU_CYCLE_1)
	s_and_b32 s0, s0, s1
	s_and_not1_b32 s1, s16, exec_lo
	s_and_b32 s0, s0, exec_lo
	s_or_b32 s16, s1, s0
; %bb.12:                               ;   in Loop: Header=BB99_10 Depth=1
	s_or_b32 exec_lo, exec_lo, s17
	s_and_saveexec_b32 s0, s16
; %bb.13:                               ;   in Loop: Header=BB99_10 Depth=1
	v_dual_mov_b32 v26, v30 :: v_dual_mov_b32 v27, v28
	v_mov_b32_e32 v25, v29
; %bb.14:                               ;   in Loop: Header=BB99_10 Depth=1
	s_or_b32 exec_lo, exec_lo, s0
	ds_bpermute_b32 v29, v19, v27
	ds_bpermute_b32 v30, v19, v26
	;; [unrolled: 1-line block ×3, first 2 shown]
	s_mov_b32 s17, exec_lo
	s_waitcnt lgkmcnt(2)
	v_cmp_lt_f32_e64 s16, v27, v29
	v_cmpx_nlt_f32_e32 v27, v29
	s_cbranch_execz .LBB99_16
; %bb.15:                               ;   in Loop: Header=BB99_10 Depth=1
	v_cmp_eq_f32_e64 s0, v27, v29
	s_waitcnt lgkmcnt(0)
	v_cmp_lt_i32_e64 s1, v28, v25
	s_delay_alu instid0(VALU_DEP_1) | instskip(SKIP_2) | instid1(SALU_CYCLE_1)
	s_and_b32 s0, s0, s1
	s_and_not1_b32 s1, s16, exec_lo
	s_and_b32 s0, s0, exec_lo
	s_or_b32 s16, s1, s0
.LBB99_16:                              ;   in Loop: Header=BB99_10 Depth=1
	s_or_b32 exec_lo, exec_lo, s17
	s_delay_alu instid0(VALU_DEP_2)
	s_and_saveexec_b32 s0, s16
	s_cbranch_execz .LBB99_18
; %bb.17:                               ;   in Loop: Header=BB99_10 Depth=1
	s_waitcnt lgkmcnt(1)
	v_dual_mov_b32 v26, v30 :: v_dual_mov_b32 v27, v29
	s_waitcnt lgkmcnt(0)
	v_mov_b32_e32 v25, v28
.LBB99_18:                              ;   in Loop: Header=BB99_10 Depth=1
	s_or_b32 exec_lo, exec_lo, s0
	s_waitcnt lgkmcnt(1)
	ds_bpermute_b32 v30, v20, v27
	ds_bpermute_b32 v29, v20, v26
	s_waitcnt lgkmcnt(2)
	ds_bpermute_b32 v28, v20, v25
	s_mov_b32 s17, exec_lo
	s_waitcnt lgkmcnt(2)
	v_cmp_lt_f32_e64 s16, v27, v30
	v_cmpx_nlt_f32_e32 v27, v30
	s_cbranch_execnz .LBB99_22
; %bb.19:                               ;   in Loop: Header=BB99_10 Depth=1
	s_or_b32 exec_lo, exec_lo, s17
	s_delay_alu instid0(VALU_DEP_2)
	s_and_saveexec_b32 s0, s16
	s_cbranch_execnz .LBB99_23
.LBB99_20:                              ;   in Loop: Header=BB99_10 Depth=1
	s_or_b32 exec_lo, exec_lo, s0
	s_and_saveexec_b32 s16, s2
	s_cbranch_execnz .LBB99_24
.LBB99_21:                              ;   in Loop: Header=BB99_10 Depth=1
	s_or_b32 exec_lo, exec_lo, s16
	s_add_i32 s7, s7, 1
	s_delay_alu instid0(SALU_CYCLE_1)
	s_cmp_ge_i32 s7, s4
	s_cbranch_scc1 .LBB99_9
	s_branch .LBB99_25
.LBB99_22:                              ;   in Loop: Header=BB99_10 Depth=1
	v_cmp_eq_f32_e64 s0, v27, v30
	s_waitcnt lgkmcnt(0)
	v_cmp_lt_i32_e64 s1, v28, v25
	s_delay_alu instid0(VALU_DEP_1) | instskip(SKIP_2) | instid1(SALU_CYCLE_1)
	s_and_b32 s0, s0, s1
	s_and_not1_b32 s1, s16, exec_lo
	s_and_b32 s0, s0, exec_lo
	s_or_b32 s16, s1, s0
	s_or_b32 exec_lo, exec_lo, s17
	s_and_saveexec_b32 s0, s16
	s_cbranch_execz .LBB99_20
.LBB99_23:                              ;   in Loop: Header=BB99_10 Depth=1
	s_waitcnt lgkmcnt(0)
	v_dual_mov_b32 v26, v29 :: v_dual_mov_b32 v25, v28
	s_or_b32 exec_lo, exec_lo, s0
	s_and_saveexec_b32 s16, s2
	s_cbranch_execz .LBB99_21
.LBB99_24:                              ;   in Loop: Header=BB99_10 Depth=1
	s_delay_alu instid0(VALU_DEP_1)
	v_dual_add_f32 v34, v22, v26 :: v_dual_add_nc_u32 v27, s7, v23
	v_cmp_le_i32_e64 s0, s5, v25
	v_cmp_gt_i32_e64 s1, s6, v25
	s_waitcnt lgkmcnt(1)
	v_subrev_nc_u32_e32 v29, s5, v25
	s_waitcnt lgkmcnt(0)
	v_ashrrev_i32_e32 v28, 31, v27
	v_cndmask_b32_e32 v22, v22, v34, vcc_lo
	s_and_b32 s0, s0, s1
	s_delay_alu instid0(SALU_CYCLE_1) | instskip(NEXT) | instid1(VALU_DEP_2)
	s_and_b32 s0, s15, s0
	v_lshlrev_b64 v[27:28], 2, v[27:28]
	v_cndmask_b32_e64 v33, 64, v29, s0
	s_delay_alu instid0(VALU_DEP_2) | instskip(NEXT) | instid1(VALU_DEP_1)
	v_add_co_u32 v29, s0, s12, v27
	v_add_co_ci_u32_e64 v30, s0, s13, v28, s0
	v_add_co_u32 v31, s0, s8, v27
	s_delay_alu instid0(VALU_DEP_1) | instskip(SKIP_1) | instid1(VALU_DEP_1)
	v_add_co_ci_u32_e64 v32, s0, s9, v28, s0
	v_add_co_u32 v27, s0, s10, v27
	v_add_co_ci_u32_e64 v28, s0, s11, v28, s0
	global_store_b32 v[29:30], v26, off
	global_store_b32 v[31:32], v33, off
	;; [unrolled: 1-line block ×3, first 2 shown]
	s_or_b32 exec_lo, exec_lo, s16
	s_add_i32 s7, s7, 1
	s_delay_alu instid0(SALU_CYCLE_1)
	s_cmp_ge_i32 s7, s4
	s_cbranch_scc1 .LBB99_9
.LBB99_25:                              ;   in Loop: Header=BB99_10 Depth=1
	v_ashrrev_i32_e32 v27, 31, v25
	s_mov_b32 s1, exec_lo
	s_delay_alu instid0(VALU_DEP_1) | instskip(NEXT) | instid1(VALU_DEP_1)
	v_lshrrev_b32_e32 v26, 29, v27
	v_add_nc_u32_e32 v26, v25, v26
	s_delay_alu instid0(VALU_DEP_1) | instskip(SKIP_1) | instid1(VALU_DEP_1)
	v_ashrrev_i32_e32 v26, 3, v26
	s_waitcnt lgkmcnt(0)
	v_lshrrev_b32_e32 v28, 29, v26
	s_delay_alu instid0(VALU_DEP_1) | instskip(NEXT) | instid1(VALU_DEP_1)
	v_add_nc_u32_e32 v28, v26, v28
	v_and_b32_e32 v28, -8, v28
	s_delay_alu instid0(VALU_DEP_1) | instskip(NEXT) | instid1(VALU_DEP_1)
	v_sub_nc_u32_e32 v28, v26, v28
	v_cmpx_eq_u32_e64 v17, v28
	s_cbranch_execz .LBB99_8
; %bb.26:                               ;   in Loop: Header=BB99_10 Depth=1
	v_lshrrev_b32_e32 v27, 26, v27
	v_lshlrev_b32_e32 v26, 3, v26
	s_delay_alu instid0(VALU_DEP_2) | instskip(NEXT) | instid1(VALU_DEP_2)
	v_add_nc_u32_e32 v27, v25, v27
	v_sub_nc_u32_e32 v25, v25, v26
	s_delay_alu instid0(VALU_DEP_2) | instskip(NEXT) | instid1(VALU_DEP_1)
	v_ashrrev_i32_e32 v26, 6, v27
	v_lshl_add_u32 v25, v26, 3, v25
	s_delay_alu instid0(VALU_DEP_1) | instskip(NEXT) | instid1(VALU_DEP_1)
	v_cmp_ne_u32_e64 s0, 7, v25
	v_cndmask_b32_e64 v15, 0xc61c4000, v15, s0
	v_cmp_ne_u32_e64 s0, 6, v25
	s_delay_alu instid0(VALU_DEP_1) | instskip(SKIP_1) | instid1(VALU_DEP_1)
	v_cndmask_b32_e64 v14, 0xc61c4000, v14, s0
	v_cmp_ne_u32_e64 s0, 5, v25
	v_cndmask_b32_e64 v13, 0xc61c4000, v13, s0
	v_cmp_ne_u32_e64 s0, 4, v25
	s_delay_alu instid0(VALU_DEP_1) | instskip(SKIP_1) | instid1(VALU_DEP_1)
	v_cndmask_b32_e64 v12, 0xc61c4000, v12, s0
	;; [unrolled: 5-line block ×3, first 2 shown]
	v_cmp_ne_u32_e64 s0, 1, v25
	v_cndmask_b32_e64 v9, 0xc61c4000, v9, s0
	v_cmp_ne_u32_e64 s0, 0, v25
	s_delay_alu instid0(VALU_DEP_1)
	v_cndmask_b32_e64 v8, 0xc61c4000, v8, s0
	s_branch .LBB99_8
.LBB99_27:
                                        ; implicit-def: $vgpr8_vgpr9_vgpr10_vgpr11_vgpr12_vgpr13_vgpr14_vgpr15
	s_and_not1_b32 vcc_lo, exec_lo, s8
	s_cbranch_vccz .LBB99_5
	s_branch .LBB99_6
.LBB99_28:
	v_mov_b32_e32 v22, 0
.LBB99_29:
	v_cmp_eq_u32_e64 s0, 0, v17
	s_delay_alu instid0(VALU_DEP_1) | instskip(NEXT) | instid1(SALU_CYCLE_1)
	s_and_b32 s0, s0, vcc_lo
	s_and_b32 exec_lo, exec_lo, s0
	s_cbranch_execz .LBB99_33
; %bb.30:
	s_and_not1_b32 vcc_lo, exec_lo, s3
	s_cbranch_vccnz .LBB99_33
; %bb.31:
	v_mul_lo_u32 v0, v16, s4
	v_cmp_lt_f32_e32 vcc_lo, 0, v22
	v_cndmask_b32_e32 v2, 1.0, v22, vcc_lo
	s_delay_alu instid0(VALU_DEP_3) | instskip(NEXT) | instid1(VALU_DEP_1)
	v_ashrrev_i32_e32 v1, 31, v0
	v_lshlrev_b64 v[0:1], 2, v[0:1]
	s_delay_alu instid0(VALU_DEP_1) | instskip(NEXT) | instid1(VALU_DEP_2)
	v_add_co_u32 v0, vcc_lo, s12, v0
	v_add_co_ci_u32_e32 v1, vcc_lo, s13, v1, vcc_lo
	.p2align	6
.LBB99_32:                              ; =>This Inner Loop Header: Depth=1
	global_load_b32 v3, v[0:1], off
	s_add_i32 s4, s4, -1
	s_delay_alu instid0(SALU_CYCLE_1) | instskip(SKIP_3) | instid1(VALU_DEP_2)
	s_cmp_lg_u32 s4, 0
	s_waitcnt vmcnt(0)
	v_div_scale_f32 v4, null, v2, v2, v3
	v_div_scale_f32 v7, vcc_lo, v3, v2, v3
	v_rcp_f32_e32 v5, v4
	s_waitcnt_depctr 0xfff
	v_fma_f32 v6, -v4, v5, 1.0
	s_delay_alu instid0(VALU_DEP_1) | instskip(NEXT) | instid1(VALU_DEP_1)
	v_fmac_f32_e32 v5, v6, v5
	v_mul_f32_e32 v6, v7, v5
	s_delay_alu instid0(VALU_DEP_1) | instskip(NEXT) | instid1(VALU_DEP_1)
	v_fma_f32 v8, -v4, v6, v7
	v_fmac_f32_e32 v6, v8, v5
	s_delay_alu instid0(VALU_DEP_1) | instskip(NEXT) | instid1(VALU_DEP_1)
	v_fma_f32 v4, -v4, v6, v7
	v_div_fmas_f32 v4, v4, v5, v6
	s_delay_alu instid0(VALU_DEP_1)
	v_div_fixup_f32 v3, v4, v2, v3
	global_store_b32 v[0:1], v3, off
	v_add_co_u32 v0, vcc_lo, v0, 4
	v_add_co_ci_u32_e32 v1, vcc_lo, 0, v1, vcc_lo
	s_cbranch_scc1 .LBB99_32
.LBB99_33:
	s_nop 0
	s_sendmsg sendmsg(MSG_DEALLOC_VGPRS)
	s_endpgm
	.section	.rodata,"a",@progbits
	.p2align	6, 0x0
	.amdhsa_kernel _ZN4vllm3moe10topkGatingILi8ELi64ELi4ELi16ELi64Ej6__halfLNS0_11ScoringFuncE0EEEvPKT5_PKbPfiPT4_PiiiibPKf
		.amdhsa_group_segment_fixed_size 0
		.amdhsa_private_segment_fixed_size 0
		.amdhsa_kernarg_size 72
		.amdhsa_user_sgpr_count 15
		.amdhsa_user_sgpr_dispatch_ptr 0
		.amdhsa_user_sgpr_queue_ptr 0
		.amdhsa_user_sgpr_kernarg_segment_ptr 1
		.amdhsa_user_sgpr_dispatch_id 0
		.amdhsa_user_sgpr_private_segment_size 0
		.amdhsa_wavefront_size32 1
		.amdhsa_uses_dynamic_stack 0
		.amdhsa_enable_private_segment 0
		.amdhsa_system_sgpr_workgroup_id_x 1
		.amdhsa_system_sgpr_workgroup_id_y 0
		.amdhsa_system_sgpr_workgroup_id_z 0
		.amdhsa_system_sgpr_workgroup_info 0
		.amdhsa_system_vgpr_workitem_id 1
		.amdhsa_next_free_vgpr 37
		.amdhsa_next_free_sgpr 18
		.amdhsa_reserve_vcc 1
		.amdhsa_float_round_mode_32 0
		.amdhsa_float_round_mode_16_64 0
		.amdhsa_float_denorm_mode_32 3
		.amdhsa_float_denorm_mode_16_64 3
		.amdhsa_dx10_clamp 1
		.amdhsa_ieee_mode 1
		.amdhsa_fp16_overflow 0
		.amdhsa_workgroup_processor_mode 1
		.amdhsa_memory_ordered 1
		.amdhsa_forward_progress 0
		.amdhsa_shared_vgpr_count 0
		.amdhsa_exception_fp_ieee_invalid_op 0
		.amdhsa_exception_fp_denorm_src 0
		.amdhsa_exception_fp_ieee_div_zero 0
		.amdhsa_exception_fp_ieee_overflow 0
		.amdhsa_exception_fp_ieee_underflow 0
		.amdhsa_exception_fp_ieee_inexact 0
		.amdhsa_exception_int_div_zero 0
	.end_amdhsa_kernel
	.section	.text._ZN4vllm3moe10topkGatingILi8ELi64ELi4ELi16ELi64Ej6__halfLNS0_11ScoringFuncE0EEEvPKT5_PKbPfiPT4_PiiiibPKf,"axG",@progbits,_ZN4vllm3moe10topkGatingILi8ELi64ELi4ELi16ELi64Ej6__halfLNS0_11ScoringFuncE0EEEvPKT5_PKbPfiPT4_PiiiibPKf,comdat
.Lfunc_end99:
	.size	_ZN4vllm3moe10topkGatingILi8ELi64ELi4ELi16ELi64Ej6__halfLNS0_11ScoringFuncE0EEEvPKT5_PKbPfiPT4_PiiiibPKf, .Lfunc_end99-_ZN4vllm3moe10topkGatingILi8ELi64ELi4ELi16ELi64Ej6__halfLNS0_11ScoringFuncE0EEEvPKT5_PKbPfiPT4_PiiiibPKf
                                        ; -- End function
	.section	.AMDGPU.csdata,"",@progbits
; Kernel info:
; codeLenInByte = 3180
; NumSgprs: 20
; NumVgprs: 37
; ScratchSize: 0
; MemoryBound: 0
; FloatMode: 240
; IeeeMode: 1
; LDSByteSize: 0 bytes/workgroup (compile time only)
; SGPRBlocks: 2
; VGPRBlocks: 4
; NumSGPRsForWavesPerEU: 20
; NumVGPRsForWavesPerEU: 37
; Occupancy: 16
; WaveLimiterHint : 0
; COMPUTE_PGM_RSRC2:SCRATCH_EN: 0
; COMPUTE_PGM_RSRC2:USER_SGPR: 15
; COMPUTE_PGM_RSRC2:TRAP_HANDLER: 0
; COMPUTE_PGM_RSRC2:TGID_X_EN: 1
; COMPUTE_PGM_RSRC2:TGID_Y_EN: 0
; COMPUTE_PGM_RSRC2:TGID_Z_EN: 0
; COMPUTE_PGM_RSRC2:TIDIG_COMP_CNT: 1
	.section	.text._ZN4vllm3moe10topkGatingILi8ELi64ELi4ELi16ELi32Ej6__halfLNS0_11ScoringFuncE0EEEvPKT5_PKbPfiPT4_PiiiibPKf,"axG",@progbits,_ZN4vllm3moe10topkGatingILi8ELi64ELi4ELi16ELi32Ej6__halfLNS0_11ScoringFuncE0EEEvPKT5_PKbPfiPT4_PiiiibPKf,comdat
	.protected	_ZN4vllm3moe10topkGatingILi8ELi64ELi4ELi16ELi32Ej6__halfLNS0_11ScoringFuncE0EEEvPKT5_PKbPfiPT4_PiiiibPKf ; -- Begin function _ZN4vllm3moe10topkGatingILi8ELi64ELi4ELi16ELi32Ej6__halfLNS0_11ScoringFuncE0EEEvPKT5_PKbPfiPT4_PiiiibPKf
	.globl	_ZN4vllm3moe10topkGatingILi8ELi64ELi4ELi16ELi32Ej6__halfLNS0_11ScoringFuncE0EEEvPKT5_PKbPfiPT4_PiiiibPKf
	.p2align	8
	.type	_ZN4vllm3moe10topkGatingILi8ELi64ELi4ELi16ELi32Ej6__halfLNS0_11ScoringFuncE0EEEvPKT5_PKbPfiPT4_PiiiibPKf,@function
_ZN4vllm3moe10topkGatingILi8ELi64ELi4ELi16ELi32Ej6__halfLNS0_11ScoringFuncE0EEEvPKT5_PKbPfiPT4_PiiiibPKf: ; @_ZN4vllm3moe10topkGatingILi8ELi64ELi4ELi16ELi32Ej6__halfLNS0_11ScoringFuncE0EEEvPKT5_PKbPfiPT4_PiiiibPKf
; %bb.0:
	s_load_b32 s14, s[0:1], 0x18
	v_bfe_u32 v1, v0, 10, 10
	v_and_b32_e32 v0, 0x3ff, v0
	s_lshl_b32 s2, s15, 4
	s_delay_alu instid0(VALU_DEP_2) | instskip(NEXT) | instid1(VALU_DEP_2)
	v_lshlrev_b32_e32 v1, 2, v1
	v_lshrrev_b32_e32 v2, 3, v0
	s_delay_alu instid0(VALU_DEP_1) | instskip(SKIP_2) | instid1(VALU_DEP_1)
	v_add3_u32 v16, s2, v1, v2
	s_mov_b32 s2, exec_lo
	s_waitcnt lgkmcnt(0)
	v_cmpx_gt_i32_e64 s14, v16
	s_cbranch_execz .LBB100_33
; %bb.1:
	s_clause 0x1
	s_load_b128 s[4:7], s[0:1], 0x0
	s_load_b64 s[12:13], s[0:1], 0x10
	s_mov_b32 s8, -1
	s_mov_b32 s15, -1
	s_waitcnt lgkmcnt(0)
	s_cmp_eq_u64 s[6:7], 0
	s_cbranch_scc1 .LBB100_3
; %bb.2:
	v_ashrrev_i32_e32 v2, 31, v16
	v_add_co_u32 v1, vcc_lo, s6, v16
	s_delay_alu instid0(VALU_DEP_2) | instskip(SKIP_3) | instid1(VALU_DEP_1)
	v_add_co_ci_u32_e32 v2, vcc_lo, s7, v2, vcc_lo
	global_load_u8 v1, v[1:2], off
	s_waitcnt vmcnt(0)
	v_and_b32_e32 v1, 1, v1
	v_cmp_eq_u32_e32 vcc_lo, 1, v1
	s_xor_b32 s2, vcc_lo, -1
	s_delay_alu instid0(SALU_CYCLE_1)
	s_or_not1_b32 s15, s2, exec_lo
.LBB100_3:
	v_lshlrev_b32_e32 v1, 6, v16
	v_and_b32_e32 v17, 7, v0
	v_mbcnt_lo_u32_b32 v4, -1, 0
	s_load_b64 s[2:3], s[0:1], 0x40
	s_delay_alu instid0(VALU_DEP_3) | instskip(NEXT) | instid1(VALU_DEP_2)
	v_ashrrev_i32_e32 v2, 31, v1
	v_and_b32_e32 v6, 24, v4
	v_xor_b32_e32 v8, 4, v4
	v_xor_b32_e32 v12, 2, v4
	s_delay_alu instid0(VALU_DEP_4) | instskip(SKIP_1) | instid1(VALU_DEP_2)
	v_lshlrev_b64 v[0:1], 1, v[1:2]
	v_lshlrev_b32_e32 v2, 4, v17
	v_add_co_u32 v0, vcc_lo, s4, v0
	s_delay_alu instid0(VALU_DEP_3) | instskip(NEXT) | instid1(VALU_DEP_2)
	v_add_co_ci_u32_e32 v1, vcc_lo, s5, v1, vcc_lo
	v_add_co_u32 v0, vcc_lo, v0, v2
	s_delay_alu instid0(VALU_DEP_2)
	v_add_co_ci_u32_e32 v1, vcc_lo, 0, v1, vcc_lo
	s_waitcnt lgkmcnt(0)
	s_cmp_eq_u64 s[2:3], 0
	global_load_b128 v[0:3], v[0:1], off
	s_waitcnt vmcnt(0)
	v_lshrrev_b32_e32 v5, 16, v0
	v_cvt_f32_f16_e32 v0, v0
	v_lshrrev_b32_e32 v7, 16, v1
	v_cvt_f32_f16_e32 v1, v1
	;; [unrolled: 2-line block ×3, first 2 shown]
	v_add_nc_u32_e32 v6, 8, v6
	v_cvt_f32_f16_e32 v7, v7
	v_cvt_f32_f16_e32 v2, v2
	v_lshrrev_b32_e32 v11, 16, v3
	v_max_f32_e32 v10, v0, v5
	v_cvt_f32_f16_e32 v9, v9
	v_cmp_lt_i32_e32 vcc_lo, v8, v6
	v_cvt_f32_f16_e32 v3, v3
	v_cvt_f32_f16_e32 v11, v11
	v_max3_f32 v10, v10, v1, v7
	v_cndmask_b32_e32 v8, v4, v8, vcc_lo
	v_cmp_lt_i32_e32 vcc_lo, v12, v6
	s_delay_alu instid0(VALU_DEP_3) | instskip(NEXT) | instid1(VALU_DEP_3)
	v_max3_f32 v10, v10, v2, v9
	v_lshlrev_b32_e32 v18, 2, v8
	v_cndmask_b32_e32 v12, v4, v12, vcc_lo
	s_delay_alu instid0(VALU_DEP_3) | instskip(SKIP_4) | instid1(VALU_DEP_2)
	v_max3_f32 v8, v10, v3, v11
	ds_bpermute_b32 v10, v18, v8
	s_waitcnt lgkmcnt(0)
	v_dual_max_f32 v10, v10, v10 :: v_dual_lshlrev_b32 v19, 2, v12
	v_xor_b32_e32 v12, 1, v4
	v_max_f32_e32 v8, v8, v10
	s_delay_alu instid0(VALU_DEP_2) | instskip(SKIP_2) | instid1(VALU_DEP_1)
	v_cmp_lt_i32_e32 vcc_lo, v12, v6
	ds_bpermute_b32 v10, v19, v8
	v_cndmask_b32_e32 v4, v4, v12, vcc_lo
	v_lshlrev_b32_e32 v20, 2, v4
	s_waitcnt lgkmcnt(0)
	v_max_f32_e32 v6, v10, v10
	s_delay_alu instid0(VALU_DEP_1) | instskip(SKIP_3) | instid1(VALU_DEP_1)
	v_max_f32_e32 v4, v8, v6
	ds_bpermute_b32 v6, v20, v4
	s_waitcnt lgkmcnt(0)
	v_max_f32_e32 v6, v6, v6
	v_max_f32_e32 v4, v4, v6
	s_delay_alu instid0(VALU_DEP_1) | instskip(SKIP_2) | instid1(VALU_DEP_3)
	v_sub_f32_e32 v5, v5, v4
	v_sub_f32_e32 v6, v7, v4
	v_sub_f32_e32 v7, v9, v4
	v_mul_f32_e32 v9, 0x3fb8aa3b, v5
	s_delay_alu instid0(VALU_DEP_2) | instskip(NEXT) | instid1(VALU_DEP_2)
	v_mul_f32_e32 v13, 0x3fb8aa3b, v7
	v_rndne_f32_e32 v24, v9
	v_fma_f32 v23, 0x3fb8aa3b, v5, -v9
	s_delay_alu instid0(VALU_DEP_3) | instskip(SKIP_1) | instid1(VALU_DEP_4)
	v_rndne_f32_e32 v32, v13
	v_fma_f32 v31, 0x3fb8aa3b, v7, -v13
	v_sub_f32_e32 v9, v9, v24
	v_sub_f32_e32 v3, v3, v4
	;; [unrolled: 1-line block ×3, first 2 shown]
	s_delay_alu instid0(VALU_DEP_4) | instskip(SKIP_1) | instid1(VALU_DEP_4)
	v_fmac_f32_e32 v31, 0x32a5705f, v7
	v_fmac_f32_e32 v23, 0x32a5705f, v5
	v_dual_sub_f32 v13, v13, v32 :: v_dual_mul_f32 v14, 0x3fb8aa3b, v3
	v_cvt_i32_f32_e32 v24, v24
	v_cvt_i32_f32_e32 v32, v32
	s_delay_alu instid0(VALU_DEP_4) | instskip(NEXT) | instid1(VALU_DEP_4)
	v_add_f32_e32 v9, v9, v23
	v_add_f32_e32 v13, v13, v31
	v_fma_f32 v33, 0x3fb8aa3b, v3, -v14
	v_sub_f32_e32 v2, v2, v4
	v_rndne_f32_e32 v34, v14
	v_exp_f32_e32 v9, v9
	v_exp_f32_e32 v13, v13
	v_fmac_f32_e32 v33, 0x32a5705f, v3
	v_mul_f32_e32 v12, 0x3fb8aa3b, v2
	s_delay_alu instid0(VALU_DEP_1) | instskip(SKIP_3) | instid1(VALU_DEP_4)
	v_fma_f32 v29, 0x3fb8aa3b, v2, -v12
	v_sub_f32_e32 v0, v0, v4
	v_dual_sub_f32 v4, v11, v4 :: v_dual_mul_f32 v11, 0x3fb8aa3b, v6
	v_mul_f32_e32 v10, 0x3fb8aa3b, v1
	v_fmac_f32_e32 v29, 0x32a5705f, v2
	s_delay_alu instid0(VALU_DEP_4) | instskip(NEXT) | instid1(VALU_DEP_4)
	v_cmp_ngt_f32_e32 vcc_lo, 0xc2ce8ed0, v0
	v_mul_f32_e32 v15, 0x3fb8aa3b, v4
	v_fma_f32 v27, 0x3fb8aa3b, v6, -v11
	v_rndne_f32_e32 v28, v11
	v_rndne_f32_e32 v26, v10
	v_fma_f32 v25, 0x3fb8aa3b, v1, -v10
	v_fma_f32 v35, 0x3fb8aa3b, v4, -v15
	v_fmac_f32_e32 v27, 0x32a5705f, v6
	v_sub_f32_e32 v11, v11, v28
	v_mul_f32_e32 v8, 0x3fb8aa3b, v0
	v_rndne_f32_e32 v36, v15
	v_dual_sub_f32 v10, v10, v26 :: v_dual_fmac_f32 v35, 0x32a5705f, v4
	s_delay_alu instid0(VALU_DEP_4) | instskip(NEXT) | instid1(VALU_DEP_4)
	v_add_f32_e32 v11, v11, v27
	v_rndne_f32_e32 v22, v8
	s_delay_alu instid0(VALU_DEP_4) | instskip(SKIP_2) | instid1(VALU_DEP_3)
	v_sub_f32_e32 v15, v15, v36
	v_fma_f32 v21, 0x3fb8aa3b, v0, -v8
	v_dual_sub_f32 v14, v14, v34 :: v_dual_fmac_f32 v25, 0x32a5705f, v1
	v_dual_sub_f32 v8, v8, v22 :: v_dual_add_f32 v15, v15, v35
	s_delay_alu instid0(VALU_DEP_3)
	v_fmac_f32_e32 v21, 0x32a5705f, v0
	v_cvt_i32_f32_e32 v23, v36
	v_cvt_i32_f32_e32 v22, v22
	;; [unrolled: 1-line block ×3, first 2 shown]
	v_exp_f32_e32 v15, v15
	v_add_f32_e32 v8, v8, v21
	v_ldexp_f32 v9, v9, v24
	v_rndne_f32_e32 v30, v12
	v_exp_f32_e32 v11, v11
	v_cvt_i32_f32_e32 v28, v28
	v_exp_f32_e32 v8, v8
	v_ldexp_f32 v13, v13, v32
	v_sub_f32_e32 v12, v12, v30
	v_cvt_i32_f32_e32 v30, v30
	v_ldexp_f32 v15, v15, v23
	v_add_f32_e32 v10, v10, v25
	v_add_f32_e32 v14, v14, v33
	;; [unrolled: 1-line block ×3, first 2 shown]
	v_ldexp_f32 v11, v11, v28
	v_cvt_i32_f32_e32 v21, v34
	v_exp_f32_e32 v10, v10
	v_ldexp_f32 v8, v8, v22
	v_exp_f32_e32 v12, v12
	v_exp_f32_e32 v14, v14
	s_delay_alu instid0(VALU_DEP_1) | instskip(SKIP_1) | instid1(TRANS32_DEP_3)
	v_cndmask_b32_e32 v8, 0, v8, vcc_lo
	v_cmp_ngt_f32_e32 vcc_lo, 0xc2ce8ed0, v5
	v_ldexp_f32 v10, v10, v26
	v_cndmask_b32_e32 v9, 0, v9, vcc_lo
	v_cmp_ngt_f32_e32 vcc_lo, 0xc2ce8ed0, v1
	s_delay_alu instid0(TRANS32_DEP_2) | instskip(NEXT) | instid1(TRANS32_DEP_1)
	v_ldexp_f32 v12, v12, v30
	v_ldexp_f32 v14, v14, v21
	v_dual_cndmask_b32 v10, 0, v10 :: v_dual_lshlrev_b32 v21, 3, v17
	v_cmp_nlt_f32_e32 vcc_lo, 0x42b17218, v0
	v_cndmask_b32_e32 v0, 0x7f800000, v8, vcc_lo
	v_cmp_nlt_f32_e32 vcc_lo, 0x42b17218, v5
	v_cndmask_b32_e32 v5, 0x7f800000, v9, vcc_lo
	v_cmp_ngt_f32_e32 vcc_lo, 0xc2ce8ed0, v6
	s_delay_alu instid0(VALU_DEP_2)
	v_dual_add_f32 v9, v0, v5 :: v_dual_cndmask_b32 v8, 0, v11
	v_cmp_nlt_f32_e32 vcc_lo, 0x42b17218, v1
	v_cndmask_b32_e32 v1, 0x7f800000, v10, vcc_lo
	v_cmp_ngt_f32_e32 vcc_lo, 0xc2ce8ed0, v2
	v_cndmask_b32_e32 v10, 0, v12, vcc_lo
	v_cmp_nlt_f32_e32 vcc_lo, 0x42b17218, v6
	v_cndmask_b32_e32 v6, 0x7f800000, v8, vcc_lo
	v_cmp_ngt_f32_e32 vcc_lo, 0xc2ce8ed0, v7
	v_add_f32_e32 v8, v9, v1
	v_cndmask_b32_e32 v9, 0, v13, vcc_lo
	v_cmp_nlt_f32_e32 vcc_lo, 0x42b17218, v2
	s_delay_alu instid0(VALU_DEP_3) | instskip(SKIP_2) | instid1(VALU_DEP_2)
	v_add_f32_e32 v8, v8, v6
	v_cndmask_b32_e32 v2, 0x7f800000, v10, vcc_lo
	v_cmp_ngt_f32_e32 vcc_lo, 0xc2ce8ed0, v3
	v_add_f32_e32 v8, v8, v2
	v_cndmask_b32_e32 v10, 0, v14, vcc_lo
	v_cmp_nlt_f32_e32 vcc_lo, 0x42b17218, v7
	v_cndmask_b32_e32 v7, 0x7f800000, v9, vcc_lo
	v_cmp_ngt_f32_e32 vcc_lo, 0xc2ce8ed0, v4
	s_delay_alu instid0(VALU_DEP_2) | instskip(SKIP_4) | instid1(VALU_DEP_2)
	v_add_f32_e32 v8, v8, v7
	v_cndmask_b32_e32 v9, 0, v15, vcc_lo
	v_cmp_nlt_f32_e32 vcc_lo, 0x42b17218, v3
	v_cndmask_b32_e32 v3, 0x7f800000, v10, vcc_lo
	v_cmp_nlt_f32_e32 vcc_lo, 0x42b17218, v4
	v_add_f32_e32 v8, v8, v3
	v_cndmask_b32_e32 v4, 0x7f800000, v9, vcc_lo
	s_delay_alu instid0(VALU_DEP_1)
	v_add_f32_e32 v8, v8, v4
	ds_bpermute_b32 v9, v18, v8
	s_waitcnt lgkmcnt(0)
	v_add_f32_e32 v8, v8, v9
	ds_bpermute_b32 v9, v19, v8
	s_waitcnt lgkmcnt(0)
	;; [unrolled: 3-line block ×3, first 2 shown]
	v_add_f32_e32 v8, v8, v9
	s_delay_alu instid0(VALU_DEP_1) | instskip(SKIP_1) | instid1(VALU_DEP_2)
	v_div_scale_f32 v9, null, v8, v8, 1.0
	v_div_scale_f32 v12, vcc_lo, 1.0, v8, 1.0
	v_rcp_f32_e32 v10, v9
	s_waitcnt_depctr 0xfff
	v_fma_f32 v11, -v9, v10, 1.0
	s_delay_alu instid0(VALU_DEP_1) | instskip(NEXT) | instid1(VALU_DEP_1)
	v_fmac_f32_e32 v10, v11, v10
	v_mul_f32_e32 v11, v12, v10
	s_delay_alu instid0(VALU_DEP_1) | instskip(NEXT) | instid1(VALU_DEP_1)
	v_fma_f32 v13, -v9, v11, v12
	v_fmac_f32_e32 v11, v13, v10
	s_delay_alu instid0(VALU_DEP_1) | instskip(NEXT) | instid1(VALU_DEP_1)
	v_fma_f32 v9, -v9, v11, v12
	v_div_fmas_f32 v9, v9, v10, v11
	s_delay_alu instid0(VALU_DEP_1) | instskip(NEXT) | instid1(VALU_DEP_1)
	v_div_fixup_f32 v8, v9, v8, 1.0
	v_mul_f32_e32 v0, v8, v0
	v_mul_f32_e32 v5, v8, v5
	;; [unrolled: 1-line block ×5, first 2 shown]
	v_cmp_class_f32_e64 vcc_lo, v0, 0x1f8
	v_mul_f32_e32 v7, v8, v7
	v_mul_f32_e32 v11, v8, v3
	;; [unrolled: 1-line block ×3, first 2 shown]
	v_cndmask_b32_e32 v0, 0, v0, vcc_lo
	v_cmp_class_f32_e64 vcc_lo, v5, 0x1f8
	v_cndmask_b32_e32 v1, 0, v5, vcc_lo
	v_cmp_class_f32_e64 vcc_lo, v9, 0x1f8
	;; [unrolled: 2-line block ×7, first 2 shown]
	v_cndmask_b32_e32 v7, 0, v8, vcc_lo
	s_cbranch_scc1 .LBB100_27
; %bb.4:
	v_lshlrev_b32_e32 v12, 2, v21
	s_clause 0x1
	global_load_b128 v[8:11], v12, s[2:3]
	global_load_b128 v[12:15], v12, s[2:3] offset:16
	s_waitcnt vmcnt(1)
	v_dual_add_f32 v11, v11, v3 :: v_dual_add_f32 v8, v8, v0
	v_dual_add_f32 v9, v9, v1 :: v_dual_add_f32 v10, v10, v2
	s_waitcnt vmcnt(0)
	v_dual_add_f32 v13, v13, v5 :: v_dual_add_f32 v12, v12, v4
	v_dual_add_f32 v15, v15, v7 :: v_dual_add_f32 v14, v14, v6
	s_cbranch_execnz .LBB100_6
.LBB100_5:
	v_dual_mov_b32 v15, v7 :: v_dual_mov_b32 v14, v6
	v_dual_mov_b32 v13, v5 :: v_dual_mov_b32 v12, v4
	;; [unrolled: 1-line block ×4, first 2 shown]
.LBB100_6:
	s_load_b128 s[4:7], s[0:1], 0x30
	v_cmp_eq_u32_e64 s2, 0, v17
	s_waitcnt lgkmcnt(0)
	s_bitcmp1_b32 s7, 0
	s_mov_b32 s7, 0
	s_cselect_b32 vcc_lo, -1, 0
	s_cmp_gt_i32 s4, 0
	s_cselect_b32 s3, -1, 0
	s_cmp_lt_i32 s4, 1
	s_cbranch_scc1 .LBB100_28
; %bb.7:
	s_load_b128 s[8:11], s[0:1], 0x20
	v_mul_lo_u32 v23, v16, s4
	v_mov_b32_e32 v22, 0
	v_mov_b32_e32 v24, v16
	s_branch .LBB100_10
.LBB100_8:                              ;   in Loop: Header=BB100_10 Depth=1
	s_or_b32 exec_lo, exec_lo, s1
.LBB100_9:                              ;   in Loop: Header=BB100_10 Depth=1
	v_add_nc_u32_e32 v24, s14, v24
	s_cmp_eq_u32 s4, s7
	s_cbranch_scc1 .LBB100_29
.LBB100_10:                             ; =>This Inner Loop Header: Depth=1
	v_cmp_gt_f32_e64 s0, v9, v8
	s_mov_b32 s17, exec_lo
	s_delay_alu instid0(VALU_DEP_1) | instskip(SKIP_2) | instid1(VALU_DEP_3)
	v_cndmask_b32_e64 v25, v8, v9, s0
	v_cndmask_b32_e64 v26, 0, 1, s0
	v_cndmask_b32_e64 v27, v0, v1, s0
	v_cmp_gt_f32_e64 s1, v10, v25
	s_delay_alu instid0(VALU_DEP_1) | instskip(NEXT) | instid1(VALU_DEP_4)
	v_cndmask_b32_e64 v25, v25, v10, s1
	v_cndmask_b32_e64 v26, v26, 2, s1
	s_delay_alu instid0(VALU_DEP_4) | instskip(NEXT) | instid1(VALU_DEP_3)
	v_cndmask_b32_e64 v27, v27, v2, s1
	v_cmp_gt_f32_e64 s0, v11, v25
	s_delay_alu instid0(VALU_DEP_1) | instskip(NEXT) | instid1(VALU_DEP_4)
	v_cndmask_b32_e64 v25, v25, v11, s0
	v_cndmask_b32_e64 v26, v26, 3, s0
	s_delay_alu instid0(VALU_DEP_4) | instskip(NEXT) | instid1(VALU_DEP_3)
	v_cndmask_b32_e64 v27, v27, v3, s0
	;; [unrolled: 6-line block ×4, first 2 shown]
	v_cmp_gt_f32_e64 s1, v14, v25
	s_delay_alu instid0(VALU_DEP_1) | instskip(NEXT) | instid1(VALU_DEP_4)
	v_cndmask_b32_e64 v25, v25, v14, s1
	v_cndmask_b32_e64 v26, v26, 6, s1
	s_waitcnt lgkmcnt(0)
	v_cndmask_b32_e64 v28, v27, v6, s1
	s_delay_alu instid0(VALU_DEP_3) | instskip(NEXT) | instid1(VALU_DEP_1)
	v_cmp_gt_f32_e64 s0, v15, v25
	v_cndmask_b32_e64 v27, v25, v15, s0
	v_cndmask_b32_e64 v25, v26, 7, s0
	s_delay_alu instid0(VALU_DEP_4)
	v_cndmask_b32_e64 v26, v28, v7, s0
	ds_bpermute_b32 v28, v18, v27
	v_or_b32_e32 v25, v21, v25
	ds_bpermute_b32 v30, v18, v26
	ds_bpermute_b32 v29, v18, v25
	s_waitcnt lgkmcnt(0)
	v_cmp_lt_f32_e64 s16, v27, v28
	v_cmpx_nlt_f32_e32 v27, v28
; %bb.11:                               ;   in Loop: Header=BB100_10 Depth=1
	v_cmp_eq_f32_e64 s0, v27, v28
	v_cmp_lt_i32_e64 s1, v29, v25
	s_delay_alu instid0(VALU_DEP_1) | instskip(SKIP_2) | instid1(SALU_CYCLE_1)
	s_and_b32 s0, s0, s1
	s_and_not1_b32 s1, s16, exec_lo
	s_and_b32 s0, s0, exec_lo
	s_or_b32 s16, s1, s0
; %bb.12:                               ;   in Loop: Header=BB100_10 Depth=1
	s_or_b32 exec_lo, exec_lo, s17
	s_and_saveexec_b32 s0, s16
; %bb.13:                               ;   in Loop: Header=BB100_10 Depth=1
	v_dual_mov_b32 v26, v30 :: v_dual_mov_b32 v27, v28
	v_mov_b32_e32 v25, v29
; %bb.14:                               ;   in Loop: Header=BB100_10 Depth=1
	s_or_b32 exec_lo, exec_lo, s0
	ds_bpermute_b32 v29, v19, v27
	ds_bpermute_b32 v30, v19, v26
	;; [unrolled: 1-line block ×3, first 2 shown]
	s_mov_b32 s17, exec_lo
	s_waitcnt lgkmcnt(2)
	v_cmp_lt_f32_e64 s16, v27, v29
	v_cmpx_nlt_f32_e32 v27, v29
	s_cbranch_execz .LBB100_16
; %bb.15:                               ;   in Loop: Header=BB100_10 Depth=1
	v_cmp_eq_f32_e64 s0, v27, v29
	s_waitcnt lgkmcnt(0)
	v_cmp_lt_i32_e64 s1, v28, v25
	s_delay_alu instid0(VALU_DEP_1) | instskip(SKIP_2) | instid1(SALU_CYCLE_1)
	s_and_b32 s0, s0, s1
	s_and_not1_b32 s1, s16, exec_lo
	s_and_b32 s0, s0, exec_lo
	s_or_b32 s16, s1, s0
.LBB100_16:                             ;   in Loop: Header=BB100_10 Depth=1
	s_or_b32 exec_lo, exec_lo, s17
	s_delay_alu instid0(VALU_DEP_2)
	s_and_saveexec_b32 s0, s16
	s_cbranch_execz .LBB100_18
; %bb.17:                               ;   in Loop: Header=BB100_10 Depth=1
	s_waitcnt lgkmcnt(1)
	v_dual_mov_b32 v26, v30 :: v_dual_mov_b32 v27, v29
	s_waitcnt lgkmcnt(0)
	v_mov_b32_e32 v25, v28
.LBB100_18:                             ;   in Loop: Header=BB100_10 Depth=1
	s_or_b32 exec_lo, exec_lo, s0
	s_waitcnt lgkmcnt(1)
	ds_bpermute_b32 v30, v20, v27
	ds_bpermute_b32 v29, v20, v26
	s_waitcnt lgkmcnt(2)
	ds_bpermute_b32 v28, v20, v25
	s_mov_b32 s17, exec_lo
	s_waitcnt lgkmcnt(2)
	v_cmp_lt_f32_e64 s16, v27, v30
	v_cmpx_nlt_f32_e32 v27, v30
	s_cbranch_execnz .LBB100_22
; %bb.19:                               ;   in Loop: Header=BB100_10 Depth=1
	s_or_b32 exec_lo, exec_lo, s17
	s_delay_alu instid0(VALU_DEP_2)
	s_and_saveexec_b32 s0, s16
	s_cbranch_execnz .LBB100_23
.LBB100_20:                             ;   in Loop: Header=BB100_10 Depth=1
	s_or_b32 exec_lo, exec_lo, s0
	s_and_saveexec_b32 s16, s2
	s_cbranch_execnz .LBB100_24
.LBB100_21:                             ;   in Loop: Header=BB100_10 Depth=1
	s_or_b32 exec_lo, exec_lo, s16
	s_add_i32 s7, s7, 1
	s_delay_alu instid0(SALU_CYCLE_1)
	s_cmp_ge_i32 s7, s4
	s_cbranch_scc1 .LBB100_9
	s_branch .LBB100_25
.LBB100_22:                             ;   in Loop: Header=BB100_10 Depth=1
	v_cmp_eq_f32_e64 s0, v27, v30
	s_waitcnt lgkmcnt(0)
	v_cmp_lt_i32_e64 s1, v28, v25
	s_delay_alu instid0(VALU_DEP_1) | instskip(SKIP_2) | instid1(SALU_CYCLE_1)
	s_and_b32 s0, s0, s1
	s_and_not1_b32 s1, s16, exec_lo
	s_and_b32 s0, s0, exec_lo
	s_or_b32 s16, s1, s0
	s_or_b32 exec_lo, exec_lo, s17
	s_and_saveexec_b32 s0, s16
	s_cbranch_execz .LBB100_20
.LBB100_23:                             ;   in Loop: Header=BB100_10 Depth=1
	s_waitcnt lgkmcnt(0)
	v_dual_mov_b32 v26, v29 :: v_dual_mov_b32 v25, v28
	s_or_b32 exec_lo, exec_lo, s0
	s_and_saveexec_b32 s16, s2
	s_cbranch_execz .LBB100_21
.LBB100_24:                             ;   in Loop: Header=BB100_10 Depth=1
	s_delay_alu instid0(VALU_DEP_1)
	v_dual_add_f32 v34, v22, v26 :: v_dual_add_nc_u32 v27, s7, v23
	v_cmp_le_i32_e64 s0, s5, v25
	v_cmp_gt_i32_e64 s1, s6, v25
	s_waitcnt lgkmcnt(1)
	v_subrev_nc_u32_e32 v29, s5, v25
	s_waitcnt lgkmcnt(0)
	v_ashrrev_i32_e32 v28, 31, v27
	v_cndmask_b32_e32 v22, v22, v34, vcc_lo
	s_and_b32 s0, s0, s1
	s_delay_alu instid0(SALU_CYCLE_1) | instskip(NEXT) | instid1(VALU_DEP_2)
	s_and_b32 s0, s15, s0
	v_lshlrev_b64 v[27:28], 2, v[27:28]
	v_cndmask_b32_e64 v33, 64, v29, s0
	s_delay_alu instid0(VALU_DEP_2) | instskip(NEXT) | instid1(VALU_DEP_1)
	v_add_co_u32 v29, s0, s12, v27
	v_add_co_ci_u32_e64 v30, s0, s13, v28, s0
	v_add_co_u32 v31, s0, s8, v27
	s_delay_alu instid0(VALU_DEP_1) | instskip(SKIP_1) | instid1(VALU_DEP_1)
	v_add_co_ci_u32_e64 v32, s0, s9, v28, s0
	v_add_co_u32 v27, s0, s10, v27
	v_add_co_ci_u32_e64 v28, s0, s11, v28, s0
	global_store_b32 v[29:30], v26, off
	global_store_b32 v[31:32], v33, off
	;; [unrolled: 1-line block ×3, first 2 shown]
	s_or_b32 exec_lo, exec_lo, s16
	s_add_i32 s7, s7, 1
	s_delay_alu instid0(SALU_CYCLE_1)
	s_cmp_ge_i32 s7, s4
	s_cbranch_scc1 .LBB100_9
.LBB100_25:                             ;   in Loop: Header=BB100_10 Depth=1
	v_ashrrev_i32_e32 v27, 31, v25
	s_mov_b32 s1, exec_lo
	s_delay_alu instid0(VALU_DEP_1) | instskip(NEXT) | instid1(VALU_DEP_1)
	v_lshrrev_b32_e32 v26, 29, v27
	v_add_nc_u32_e32 v26, v25, v26
	s_delay_alu instid0(VALU_DEP_1) | instskip(SKIP_1) | instid1(VALU_DEP_1)
	v_ashrrev_i32_e32 v26, 3, v26
	s_waitcnt lgkmcnt(0)
	v_lshrrev_b32_e32 v28, 29, v26
	s_delay_alu instid0(VALU_DEP_1) | instskip(NEXT) | instid1(VALU_DEP_1)
	v_add_nc_u32_e32 v28, v26, v28
	v_and_b32_e32 v28, -8, v28
	s_delay_alu instid0(VALU_DEP_1) | instskip(NEXT) | instid1(VALU_DEP_1)
	v_sub_nc_u32_e32 v28, v26, v28
	v_cmpx_eq_u32_e64 v17, v28
	s_cbranch_execz .LBB100_8
; %bb.26:                               ;   in Loop: Header=BB100_10 Depth=1
	v_lshrrev_b32_e32 v27, 26, v27
	v_lshlrev_b32_e32 v26, 3, v26
	s_delay_alu instid0(VALU_DEP_2) | instskip(NEXT) | instid1(VALU_DEP_2)
	v_add_nc_u32_e32 v27, v25, v27
	v_sub_nc_u32_e32 v25, v25, v26
	s_delay_alu instid0(VALU_DEP_2) | instskip(NEXT) | instid1(VALU_DEP_1)
	v_ashrrev_i32_e32 v26, 6, v27
	v_lshl_add_u32 v25, v26, 3, v25
	s_delay_alu instid0(VALU_DEP_1) | instskip(NEXT) | instid1(VALU_DEP_1)
	v_cmp_ne_u32_e64 s0, 7, v25
	v_cndmask_b32_e64 v15, 0xc61c4000, v15, s0
	v_cmp_ne_u32_e64 s0, 6, v25
	s_delay_alu instid0(VALU_DEP_1) | instskip(SKIP_1) | instid1(VALU_DEP_1)
	v_cndmask_b32_e64 v14, 0xc61c4000, v14, s0
	v_cmp_ne_u32_e64 s0, 5, v25
	v_cndmask_b32_e64 v13, 0xc61c4000, v13, s0
	v_cmp_ne_u32_e64 s0, 4, v25
	s_delay_alu instid0(VALU_DEP_1) | instskip(SKIP_1) | instid1(VALU_DEP_1)
	v_cndmask_b32_e64 v12, 0xc61c4000, v12, s0
	;; [unrolled: 5-line block ×3, first 2 shown]
	v_cmp_ne_u32_e64 s0, 1, v25
	v_cndmask_b32_e64 v9, 0xc61c4000, v9, s0
	v_cmp_ne_u32_e64 s0, 0, v25
	s_delay_alu instid0(VALU_DEP_1)
	v_cndmask_b32_e64 v8, 0xc61c4000, v8, s0
	s_branch .LBB100_8
.LBB100_27:
                                        ; implicit-def: $vgpr8_vgpr9_vgpr10_vgpr11_vgpr12_vgpr13_vgpr14_vgpr15
	s_and_not1_b32 vcc_lo, exec_lo, s8
	s_cbranch_vccz .LBB100_5
	s_branch .LBB100_6
.LBB100_28:
	v_mov_b32_e32 v22, 0
.LBB100_29:
	v_cmp_eq_u32_e64 s0, 0, v17
	s_delay_alu instid0(VALU_DEP_1) | instskip(NEXT) | instid1(SALU_CYCLE_1)
	s_and_b32 s0, s0, vcc_lo
	s_and_b32 exec_lo, exec_lo, s0
	s_cbranch_execz .LBB100_33
; %bb.30:
	s_and_not1_b32 vcc_lo, exec_lo, s3
	s_cbranch_vccnz .LBB100_33
; %bb.31:
	v_mul_lo_u32 v0, v16, s4
	v_cmp_lt_f32_e32 vcc_lo, 0, v22
	v_cndmask_b32_e32 v2, 1.0, v22, vcc_lo
	s_delay_alu instid0(VALU_DEP_3) | instskip(NEXT) | instid1(VALU_DEP_1)
	v_ashrrev_i32_e32 v1, 31, v0
	v_lshlrev_b64 v[0:1], 2, v[0:1]
	s_delay_alu instid0(VALU_DEP_1) | instskip(NEXT) | instid1(VALU_DEP_2)
	v_add_co_u32 v0, vcc_lo, s12, v0
	v_add_co_ci_u32_e32 v1, vcc_lo, s13, v1, vcc_lo
	.p2align	6
.LBB100_32:                             ; =>This Inner Loop Header: Depth=1
	global_load_b32 v3, v[0:1], off
	s_add_i32 s4, s4, -1
	s_delay_alu instid0(SALU_CYCLE_1) | instskip(SKIP_3) | instid1(VALU_DEP_2)
	s_cmp_lg_u32 s4, 0
	s_waitcnt vmcnt(0)
	v_div_scale_f32 v4, null, v2, v2, v3
	v_div_scale_f32 v7, vcc_lo, v3, v2, v3
	v_rcp_f32_e32 v5, v4
	s_waitcnt_depctr 0xfff
	v_fma_f32 v6, -v4, v5, 1.0
	s_delay_alu instid0(VALU_DEP_1) | instskip(NEXT) | instid1(VALU_DEP_1)
	v_fmac_f32_e32 v5, v6, v5
	v_mul_f32_e32 v6, v7, v5
	s_delay_alu instid0(VALU_DEP_1) | instskip(NEXT) | instid1(VALU_DEP_1)
	v_fma_f32 v8, -v4, v6, v7
	v_fmac_f32_e32 v6, v8, v5
	s_delay_alu instid0(VALU_DEP_1) | instskip(NEXT) | instid1(VALU_DEP_1)
	v_fma_f32 v4, -v4, v6, v7
	v_div_fmas_f32 v4, v4, v5, v6
	s_delay_alu instid0(VALU_DEP_1)
	v_div_fixup_f32 v3, v4, v2, v3
	global_store_b32 v[0:1], v3, off
	v_add_co_u32 v0, vcc_lo, v0, 4
	v_add_co_ci_u32_e32 v1, vcc_lo, 0, v1, vcc_lo
	s_cbranch_scc1 .LBB100_32
.LBB100_33:
	s_nop 0
	s_sendmsg sendmsg(MSG_DEALLOC_VGPRS)
	s_endpgm
	.section	.rodata,"a",@progbits
	.p2align	6, 0x0
	.amdhsa_kernel _ZN4vllm3moe10topkGatingILi8ELi64ELi4ELi16ELi32Ej6__halfLNS0_11ScoringFuncE0EEEvPKT5_PKbPfiPT4_PiiiibPKf
		.amdhsa_group_segment_fixed_size 0
		.amdhsa_private_segment_fixed_size 0
		.amdhsa_kernarg_size 72
		.amdhsa_user_sgpr_count 15
		.amdhsa_user_sgpr_dispatch_ptr 0
		.amdhsa_user_sgpr_queue_ptr 0
		.amdhsa_user_sgpr_kernarg_segment_ptr 1
		.amdhsa_user_sgpr_dispatch_id 0
		.amdhsa_user_sgpr_private_segment_size 0
		.amdhsa_wavefront_size32 1
		.amdhsa_uses_dynamic_stack 0
		.amdhsa_enable_private_segment 0
		.amdhsa_system_sgpr_workgroup_id_x 1
		.amdhsa_system_sgpr_workgroup_id_y 0
		.amdhsa_system_sgpr_workgroup_id_z 0
		.amdhsa_system_sgpr_workgroup_info 0
		.amdhsa_system_vgpr_workitem_id 1
		.amdhsa_next_free_vgpr 37
		.amdhsa_next_free_sgpr 18
		.amdhsa_reserve_vcc 1
		.amdhsa_float_round_mode_32 0
		.amdhsa_float_round_mode_16_64 0
		.amdhsa_float_denorm_mode_32 3
		.amdhsa_float_denorm_mode_16_64 3
		.amdhsa_dx10_clamp 1
		.amdhsa_ieee_mode 1
		.amdhsa_fp16_overflow 0
		.amdhsa_workgroup_processor_mode 1
		.amdhsa_memory_ordered 1
		.amdhsa_forward_progress 0
		.amdhsa_shared_vgpr_count 0
		.amdhsa_exception_fp_ieee_invalid_op 0
		.amdhsa_exception_fp_denorm_src 0
		.amdhsa_exception_fp_ieee_div_zero 0
		.amdhsa_exception_fp_ieee_overflow 0
		.amdhsa_exception_fp_ieee_underflow 0
		.amdhsa_exception_fp_ieee_inexact 0
		.amdhsa_exception_int_div_zero 0
	.end_amdhsa_kernel
	.section	.text._ZN4vllm3moe10topkGatingILi8ELi64ELi4ELi16ELi32Ej6__halfLNS0_11ScoringFuncE0EEEvPKT5_PKbPfiPT4_PiiiibPKf,"axG",@progbits,_ZN4vllm3moe10topkGatingILi8ELi64ELi4ELi16ELi32Ej6__halfLNS0_11ScoringFuncE0EEEvPKT5_PKbPfiPT4_PiiiibPKf,comdat
.Lfunc_end100:
	.size	_ZN4vllm3moe10topkGatingILi8ELi64ELi4ELi16ELi32Ej6__halfLNS0_11ScoringFuncE0EEEvPKT5_PKbPfiPT4_PiiiibPKf, .Lfunc_end100-_ZN4vllm3moe10topkGatingILi8ELi64ELi4ELi16ELi32Ej6__halfLNS0_11ScoringFuncE0EEEvPKT5_PKbPfiPT4_PiiiibPKf
                                        ; -- End function
	.section	.AMDGPU.csdata,"",@progbits
; Kernel info:
; codeLenInByte = 3180
; NumSgprs: 20
; NumVgprs: 37
; ScratchSize: 0
; MemoryBound: 0
; FloatMode: 240
; IeeeMode: 1
; LDSByteSize: 0 bytes/workgroup (compile time only)
; SGPRBlocks: 2
; VGPRBlocks: 4
; NumSGPRsForWavesPerEU: 20
; NumVGPRsForWavesPerEU: 37
; Occupancy: 16
; WaveLimiterHint : 0
; COMPUTE_PGM_RSRC2:SCRATCH_EN: 0
; COMPUTE_PGM_RSRC2:USER_SGPR: 15
; COMPUTE_PGM_RSRC2:TRAP_HANDLER: 0
; COMPUTE_PGM_RSRC2:TGID_X_EN: 1
; COMPUTE_PGM_RSRC2:TGID_Y_EN: 0
; COMPUTE_PGM_RSRC2:TGID_Z_EN: 0
; COMPUTE_PGM_RSRC2:TIDIG_COMP_CNT: 1
	.section	.text._ZN4vllm3moe10topkGatingILi8ELi128ELi4ELi16ELi64Ej6__halfLNS0_11ScoringFuncE0EEEvPKT5_PKbPfiPT4_PiiiibPKf,"axG",@progbits,_ZN4vllm3moe10topkGatingILi8ELi128ELi4ELi16ELi64Ej6__halfLNS0_11ScoringFuncE0EEEvPKT5_PKbPfiPT4_PiiiibPKf,comdat
	.protected	_ZN4vllm3moe10topkGatingILi8ELi128ELi4ELi16ELi64Ej6__halfLNS0_11ScoringFuncE0EEEvPKT5_PKbPfiPT4_PiiiibPKf ; -- Begin function _ZN4vllm3moe10topkGatingILi8ELi128ELi4ELi16ELi64Ej6__halfLNS0_11ScoringFuncE0EEEvPKT5_PKbPfiPT4_PiiiibPKf
	.globl	_ZN4vllm3moe10topkGatingILi8ELi128ELi4ELi16ELi64Ej6__halfLNS0_11ScoringFuncE0EEEvPKT5_PKbPfiPT4_PiiiibPKf
	.p2align	8
	.type	_ZN4vllm3moe10topkGatingILi8ELi128ELi4ELi16ELi64Ej6__halfLNS0_11ScoringFuncE0EEEvPKT5_PKbPfiPT4_PiiiibPKf,@function
_ZN4vllm3moe10topkGatingILi8ELi128ELi4ELi16ELi64Ej6__halfLNS0_11ScoringFuncE0EEEvPKT5_PKbPfiPT4_PiiiibPKf: ; @_ZN4vllm3moe10topkGatingILi8ELi128ELi4ELi16ELi64Ej6__halfLNS0_11ScoringFuncE0EEEvPKT5_PKbPfiPT4_PiiiibPKf
; %bb.0:
	s_load_b32 s14, s[0:1], 0x18
	v_bfe_u32 v1, v0, 10, 10
	v_and_b32_e32 v0, 0x3ff, v0
	s_lshl_b32 s2, s15, 4
	s_delay_alu instid0(VALU_DEP_2) | instskip(NEXT) | instid1(VALU_DEP_2)
	v_lshlrev_b32_e32 v1, 2, v1
	v_lshrrev_b32_e32 v2, 4, v0
	s_delay_alu instid0(VALU_DEP_1) | instskip(SKIP_2) | instid1(VALU_DEP_1)
	v_add3_u32 v16, s2, v1, v2
	s_mov_b32 s2, exec_lo
	s_waitcnt lgkmcnt(0)
	v_cmpx_gt_i32_e64 s14, v16
	s_cbranch_execz .LBB101_37
; %bb.1:
	s_clause 0x1
	s_load_b128 s[4:7], s[0:1], 0x0
	s_load_b64 s[12:13], s[0:1], 0x10
	s_mov_b32 s8, -1
	s_mov_b32 s15, -1
	s_waitcnt lgkmcnt(0)
	s_cmp_eq_u64 s[6:7], 0
	s_cbranch_scc1 .LBB101_3
; %bb.2:
	v_ashrrev_i32_e32 v2, 31, v16
	v_add_co_u32 v1, vcc_lo, s6, v16
	s_delay_alu instid0(VALU_DEP_2) | instskip(SKIP_3) | instid1(VALU_DEP_1)
	v_add_co_ci_u32_e32 v2, vcc_lo, s7, v2, vcc_lo
	global_load_u8 v1, v[1:2], off
	s_waitcnt vmcnt(0)
	v_and_b32_e32 v1, 1, v1
	v_cmp_eq_u32_e32 vcc_lo, 1, v1
	s_xor_b32 s2, vcc_lo, -1
	s_delay_alu instid0(SALU_CYCLE_1)
	s_or_not1_b32 s15, s2, exec_lo
.LBB101_3:
	v_lshlrev_b32_e32 v1, 7, v16
	v_and_b32_e32 v17, 15, v0
	v_mbcnt_lo_u32_b32 v4, -1, 0
	s_load_b64 s[2:3], s[0:1], 0x40
	s_delay_alu instid0(VALU_DEP_3) | instskip(NEXT) | instid1(VALU_DEP_2)
	v_ashrrev_i32_e32 v2, 31, v1
	v_and_b32_e32 v6, 16, v4
	v_xor_b32_e32 v8, 8, v4
	v_xor_b32_e32 v12, 4, v4
	s_delay_alu instid0(VALU_DEP_4) | instskip(SKIP_1) | instid1(VALU_DEP_2)
	v_lshlrev_b64 v[0:1], 1, v[1:2]
	v_lshlrev_b32_e32 v2, 4, v17
	v_add_co_u32 v0, vcc_lo, s4, v0
	s_delay_alu instid0(VALU_DEP_3) | instskip(NEXT) | instid1(VALU_DEP_2)
	v_add_co_ci_u32_e32 v1, vcc_lo, s5, v1, vcc_lo
	v_add_co_u32 v0, vcc_lo, v0, v2
	s_delay_alu instid0(VALU_DEP_2)
	v_add_co_ci_u32_e32 v1, vcc_lo, 0, v1, vcc_lo
	s_waitcnt lgkmcnt(0)
	s_cmp_eq_u64 s[2:3], 0
	global_load_b128 v[0:3], v[0:1], off
	s_waitcnt vmcnt(0)
	v_lshrrev_b32_e32 v5, 16, v0
	v_cvt_f32_f16_e32 v0, v0
	v_lshrrev_b32_e32 v7, 16, v1
	v_cvt_f32_f16_e32 v1, v1
	;; [unrolled: 2-line block ×3, first 2 shown]
	v_add_nc_u32_e32 v6, 16, v6
	v_cvt_f32_f16_e32 v7, v7
	v_cvt_f32_f16_e32 v2, v2
	v_lshrrev_b32_e32 v11, 16, v3
	v_max_f32_e32 v10, v0, v5
	v_cvt_f32_f16_e32 v9, v9
	v_cmp_lt_i32_e32 vcc_lo, v8, v6
	v_cvt_f32_f16_e32 v3, v3
	v_cvt_f32_f16_e32 v11, v11
	v_max3_f32 v10, v10, v1, v7
	v_cndmask_b32_e32 v8, v4, v8, vcc_lo
	v_cmp_lt_i32_e32 vcc_lo, v12, v6
	s_delay_alu instid0(VALU_DEP_3) | instskip(NEXT) | instid1(VALU_DEP_3)
	v_max3_f32 v10, v10, v2, v9
	v_lshlrev_b32_e32 v18, 2, v8
	v_cndmask_b32_e32 v12, v4, v12, vcc_lo
	s_delay_alu instid0(VALU_DEP_3) | instskip(SKIP_4) | instid1(VALU_DEP_2)
	v_max3_f32 v8, v10, v3, v11
	ds_bpermute_b32 v10, v18, v8
	s_waitcnt lgkmcnt(0)
	v_dual_max_f32 v10, v10, v10 :: v_dual_lshlrev_b32 v19, 2, v12
	v_xor_b32_e32 v12, 2, v4
	v_max_f32_e32 v8, v8, v10
	s_delay_alu instid0(VALU_DEP_2) | instskip(SKIP_2) | instid1(VALU_DEP_1)
	v_cmp_lt_i32_e32 vcc_lo, v12, v6
	ds_bpermute_b32 v10, v19, v8
	v_cndmask_b32_e32 v12, v4, v12, vcc_lo
	v_lshlrev_b32_e32 v20, 2, v12
	v_xor_b32_e32 v12, 1, v4
	s_delay_alu instid0(VALU_DEP_1) | instskip(SKIP_2) | instid1(VALU_DEP_1)
	v_cmp_lt_i32_e32 vcc_lo, v12, v6
	v_cndmask_b32_e32 v4, v4, v12, vcc_lo
	s_waitcnt lgkmcnt(0)
	v_dual_max_f32 v10, v10, v10 :: v_dual_lshlrev_b32 v21, 2, v4
	s_delay_alu instid0(VALU_DEP_1) | instskip(SKIP_3) | instid1(VALU_DEP_1)
	v_max_f32_e32 v8, v8, v10
	ds_bpermute_b32 v10, v20, v8
	s_waitcnt lgkmcnt(0)
	v_max_f32_e32 v6, v10, v10
	v_max_f32_e32 v4, v8, v6
	ds_bpermute_b32 v6, v21, v4
	s_waitcnt lgkmcnt(0)
	v_max_f32_e32 v6, v6, v6
	s_delay_alu instid0(VALU_DEP_1) | instskip(NEXT) | instid1(VALU_DEP_1)
	v_max_f32_e32 v4, v4, v6
	v_sub_f32_e32 v5, v5, v4
	v_sub_f32_e32 v6, v7, v4
	;; [unrolled: 1-line block ×5, first 2 shown]
	v_mul_f32_e32 v9, 0x3fb8aa3b, v5
	s_delay_alu instid0(VALU_DEP_4) | instskip(NEXT) | instid1(VALU_DEP_3)
	v_mul_f32_e32 v13, 0x3fb8aa3b, v7
	v_mul_f32_e32 v14, 0x3fb8aa3b, v3
	s_delay_alu instid0(VALU_DEP_3) | instskip(SKIP_1) | instid1(VALU_DEP_4)
	v_fma_f32 v24, 0x3fb8aa3b, v5, -v9
	v_rndne_f32_e32 v25, v9
	v_fma_f32 v32, 0x3fb8aa3b, v7, -v13
	v_rndne_f32_e32 v33, v13
	v_fma_f32 v34, 0x3fb8aa3b, v3, -v14
	v_fmac_f32_e32 v24, 0x32a5705f, v5
	s_delay_alu instid0(VALU_DEP_4) | instskip(NEXT) | instid1(VALU_DEP_4)
	v_dual_sub_f32 v9, v9, v25 :: v_dual_fmac_f32 v32, 0x32a5705f, v7
	v_sub_f32_e32 v13, v13, v33
	v_mul_f32_e32 v10, 0x3fb8aa3b, v1
	v_cvt_i32_f32_e32 v25, v25
	s_delay_alu instid0(VALU_DEP_4)
	v_add_f32_e32 v9, v9, v24
	v_cvt_i32_f32_e32 v33, v33
	v_add_f32_e32 v13, v13, v32
	v_fma_f32 v26, 0x3fb8aa3b, v1, -v10
	v_rndne_f32_e32 v27, v10
	v_exp_f32_e32 v9, v9
	v_rndne_f32_e32 v35, v14
	v_exp_f32_e32 v13, v13
	v_fmac_f32_e32 v26, 0x32a5705f, v1
	v_sub_f32_e32 v10, v10, v27
	v_cvt_i32_f32_e32 v27, v27
	v_fmac_f32_e32 v34, 0x32a5705f, v3
	v_sub_f32_e32 v14, v14, v35
	s_delay_alu instid0(VALU_DEP_4) | instskip(NEXT) | instid1(TRANS32_DEP_2)
	v_add_f32_e32 v10, v10, v26
	v_ldexp_f32 v9, v9, v25
	v_sub_f32_e32 v0, v0, v4
	s_delay_alu instid0(TRANS32_DEP_1) | instskip(SKIP_2) | instid1(VALU_DEP_3)
	v_ldexp_f32 v13, v13, v33
	v_add_f32_e32 v14, v14, v34
	v_exp_f32_e32 v10, v10
	v_mul_f32_e32 v8, 0x3fb8aa3b, v0
	v_cmp_ngt_f32_e32 vcc_lo, 0xc2ce8ed0, v0
	s_delay_alu instid0(VALU_DEP_3) | instskip(NEXT) | instid1(VALU_DEP_2)
	v_exp_f32_e32 v14, v14
	v_fma_f32 v22, 0x3fb8aa3b, v0, -v8
	v_rndne_f32_e32 v23, v8
	s_waitcnt_depctr 0xfff
	v_ldexp_f32 v10, v10, v27
	v_fmac_f32_e32 v22, 0x32a5705f, v0
	v_sub_f32_e32 v8, v8, v23
	v_cvt_i32_f32_e32 v23, v23
	s_delay_alu instid0(VALU_DEP_2) | instskip(SKIP_1) | instid1(VALU_DEP_2)
	v_add_f32_e32 v8, v8, v22
	v_cvt_i32_f32_e32 v22, v35
	v_exp_f32_e32 v8, v8
	s_delay_alu instid0(VALU_DEP_1) | instskip(SKIP_3) | instid1(VALU_DEP_1)
	v_ldexp_f32 v14, v14, v22
	v_lshlrev_b32_e32 v22, 3, v17
	s_waitcnt_depctr 0xfff
	v_ldexp_f32 v8, v8, v23
	v_cndmask_b32_e32 v8, 0, v8, vcc_lo
	v_cmp_ngt_f32_e32 vcc_lo, 0xc2ce8ed0, v5
	v_cndmask_b32_e32 v9, 0, v9, vcc_lo
	v_cmp_ngt_f32_e32 vcc_lo, 0xc2ce8ed0, v1
	v_cndmask_b32_e32 v10, 0, v10, vcc_lo
	v_cmp_nlt_f32_e32 vcc_lo, 0x42b17218, v0
	v_sub_f32_e32 v2, v2, v4
	v_cndmask_b32_e32 v0, 0x7f800000, v8, vcc_lo
	v_cmp_nlt_f32_e32 vcc_lo, 0x42b17218, v5
	v_dual_cndmask_b32 v5, 0x7f800000, v9 :: v_dual_sub_f32 v4, v11, v4
	v_mul_f32_e32 v11, 0x3fb8aa3b, v6
	v_cmp_ngt_f32_e32 vcc_lo, 0xc2ce8ed0, v6
	s_delay_alu instid0(VALU_DEP_3) | instskip(NEXT) | instid1(VALU_DEP_4)
	v_add_f32_e32 v9, v0, v5
	v_mul_f32_e32 v15, 0x3fb8aa3b, v4
	s_delay_alu instid0(VALU_DEP_4) | instskip(SKIP_1) | instid1(VALU_DEP_3)
	v_fma_f32 v28, 0x3fb8aa3b, v6, -v11
	v_rndne_f32_e32 v29, v11
	v_fma_f32 v36, 0x3fb8aa3b, v4, -v15
	s_delay_alu instid0(VALU_DEP_2) | instskip(SKIP_2) | instid1(VALU_DEP_4)
	v_dual_fmac_f32 v28, 0x32a5705f, v6 :: v_dual_sub_f32 v11, v11, v29
	v_cvt_i32_f32_e32 v29, v29
	v_rndne_f32_e32 v37, v15
	v_fmac_f32_e32 v36, 0x32a5705f, v4
	s_delay_alu instid0(VALU_DEP_4) | instskip(NEXT) | instid1(VALU_DEP_3)
	v_add_f32_e32 v11, v11, v28
	v_sub_f32_e32 v15, v15, v37
	v_cvt_i32_f32_e32 v24, v37
	s_delay_alu instid0(VALU_DEP_3) | instskip(NEXT) | instid1(VALU_DEP_2)
	v_exp_f32_e32 v11, v11
	v_add_f32_e32 v15, v15, v36
	s_delay_alu instid0(VALU_DEP_1) | instskip(SKIP_2) | instid1(VALU_DEP_1)
	v_exp_f32_e32 v15, v15
	s_waitcnt_depctr 0xfff
	v_ldexp_f32 v11, v11, v29
	v_cndmask_b32_e32 v8, 0, v11, vcc_lo
	v_cmp_nlt_f32_e32 vcc_lo, 0x42b17218, v1
	v_ldexp_f32 v15, v15, v24
	v_cndmask_b32_e32 v1, 0x7f800000, v10, vcc_lo
	v_mul_f32_e32 v12, 0x3fb8aa3b, v2
	v_cmp_ngt_f32_e32 vcc_lo, 0xc2ce8ed0, v2
	s_delay_alu instid0(VALU_DEP_2) | instskip(SKIP_1) | instid1(VALU_DEP_2)
	v_fma_f32 v30, 0x3fb8aa3b, v2, -v12
	v_rndne_f32_e32 v31, v12
	v_fmac_f32_e32 v30, 0x32a5705f, v2
	s_delay_alu instid0(VALU_DEP_2) | instskip(SKIP_1) | instid1(VALU_DEP_2)
	v_sub_f32_e32 v12, v12, v31
	v_cvt_i32_f32_e32 v31, v31
	v_add_f32_e32 v12, v12, v30
	s_delay_alu instid0(VALU_DEP_1) | instskip(SKIP_2) | instid1(VALU_DEP_1)
	v_exp_f32_e32 v12, v12
	s_waitcnt_depctr 0xfff
	v_ldexp_f32 v12, v12, v31
	v_cndmask_b32_e32 v10, 0, v12, vcc_lo
	v_cmp_nlt_f32_e32 vcc_lo, 0x42b17218, v6
	v_cndmask_b32_e32 v6, 0x7f800000, v8, vcc_lo
	v_cmp_ngt_f32_e32 vcc_lo, 0xc2ce8ed0, v7
	v_add_f32_e32 v8, v9, v1
	v_cndmask_b32_e32 v9, 0, v13, vcc_lo
	v_cmp_nlt_f32_e32 vcc_lo, 0x42b17218, v2
	s_delay_alu instid0(VALU_DEP_3) | instskip(SKIP_2) | instid1(VALU_DEP_2)
	v_add_f32_e32 v8, v8, v6
	v_cndmask_b32_e32 v2, 0x7f800000, v10, vcc_lo
	v_cmp_ngt_f32_e32 vcc_lo, 0xc2ce8ed0, v3
	v_add_f32_e32 v8, v8, v2
	v_cndmask_b32_e32 v10, 0, v14, vcc_lo
	v_cmp_nlt_f32_e32 vcc_lo, 0x42b17218, v7
	v_cndmask_b32_e32 v7, 0x7f800000, v9, vcc_lo
	v_cmp_ngt_f32_e32 vcc_lo, 0xc2ce8ed0, v4
	s_delay_alu instid0(VALU_DEP_2) | instskip(SKIP_4) | instid1(VALU_DEP_2)
	v_add_f32_e32 v8, v8, v7
	v_cndmask_b32_e32 v9, 0, v15, vcc_lo
	v_cmp_nlt_f32_e32 vcc_lo, 0x42b17218, v3
	v_cndmask_b32_e32 v3, 0x7f800000, v10, vcc_lo
	v_cmp_nlt_f32_e32 vcc_lo, 0x42b17218, v4
	v_add_f32_e32 v8, v8, v3
	v_cndmask_b32_e32 v4, 0x7f800000, v9, vcc_lo
	s_delay_alu instid0(VALU_DEP_1)
	v_add_f32_e32 v8, v8, v4
	ds_bpermute_b32 v9, v18, v8
	s_waitcnt lgkmcnt(0)
	v_add_f32_e32 v8, v8, v9
	ds_bpermute_b32 v9, v19, v8
	s_waitcnt lgkmcnt(0)
	;; [unrolled: 3-line block ×4, first 2 shown]
	v_add_f32_e32 v8, v8, v9
	s_delay_alu instid0(VALU_DEP_1) | instskip(SKIP_1) | instid1(VALU_DEP_2)
	v_div_scale_f32 v9, null, v8, v8, 1.0
	v_div_scale_f32 v12, vcc_lo, 1.0, v8, 1.0
	v_rcp_f32_e32 v10, v9
	s_waitcnt_depctr 0xfff
	v_fma_f32 v11, -v9, v10, 1.0
	s_delay_alu instid0(VALU_DEP_1) | instskip(NEXT) | instid1(VALU_DEP_1)
	v_fmac_f32_e32 v10, v11, v10
	v_mul_f32_e32 v11, v12, v10
	s_delay_alu instid0(VALU_DEP_1) | instskip(NEXT) | instid1(VALU_DEP_1)
	v_fma_f32 v13, -v9, v11, v12
	v_fmac_f32_e32 v11, v13, v10
	s_delay_alu instid0(VALU_DEP_1) | instskip(NEXT) | instid1(VALU_DEP_1)
	v_fma_f32 v9, -v9, v11, v12
	v_div_fmas_f32 v9, v9, v10, v11
	s_delay_alu instid0(VALU_DEP_1) | instskip(NEXT) | instid1(VALU_DEP_1)
	v_div_fixup_f32 v8, v9, v8, 1.0
	v_mul_f32_e32 v0, v8, v0
	v_mul_f32_e32 v5, v8, v5
	;; [unrolled: 1-line block ×5, first 2 shown]
	v_cmp_class_f32_e64 vcc_lo, v0, 0x1f8
	v_mul_f32_e32 v7, v8, v7
	v_mul_f32_e32 v11, v8, v3
	v_mul_f32_e32 v8, v8, v4
	v_cndmask_b32_e32 v0, 0, v0, vcc_lo
	v_cmp_class_f32_e64 vcc_lo, v5, 0x1f8
	v_cndmask_b32_e32 v1, 0, v5, vcc_lo
	v_cmp_class_f32_e64 vcc_lo, v9, 0x1f8
	;; [unrolled: 2-line block ×7, first 2 shown]
	v_cndmask_b32_e32 v7, 0, v8, vcc_lo
	s_cbranch_scc1 .LBB101_31
; %bb.4:
	v_lshlrev_b32_e32 v12, 2, v22
	s_clause 0x1
	global_load_b128 v[8:11], v12, s[2:3]
	global_load_b128 v[12:15], v12, s[2:3] offset:16
	s_waitcnt vmcnt(1)
	v_dual_add_f32 v9, v9, v1 :: v_dual_add_f32 v8, v8, v0
	v_dual_add_f32 v11, v11, v3 :: v_dual_add_f32 v10, v10, v2
	s_waitcnt vmcnt(0)
	v_dual_add_f32 v13, v13, v5 :: v_dual_add_f32 v12, v12, v4
	v_dual_add_f32 v15, v15, v7 :: v_dual_add_f32 v14, v14, v6
	s_cbranch_execnz .LBB101_6
.LBB101_5:
	v_dual_mov_b32 v15, v7 :: v_dual_mov_b32 v14, v6
	v_dual_mov_b32 v13, v5 :: v_dual_mov_b32 v12, v4
	;; [unrolled: 1-line block ×4, first 2 shown]
.LBB101_6:
	s_load_b128 s[4:7], s[0:1], 0x30
	v_cmp_eq_u32_e64 s2, 0, v17
	s_waitcnt lgkmcnt(0)
	s_bitcmp1_b32 s7, 0
	s_mov_b32 s7, 0
	s_cselect_b32 vcc_lo, -1, 0
	s_cmp_gt_i32 s4, 0
	s_cselect_b32 s3, -1, 0
	s_cmp_lt_i32 s4, 1
	s_cbranch_scc1 .LBB101_32
; %bb.7:
	s_load_b128 s[8:11], s[0:1], 0x20
	v_mul_lo_u32 v24, v16, s4
	v_mov_b32_e32 v23, 0
	v_mov_b32_e32 v25, v16
	s_branch .LBB101_10
.LBB101_8:                              ;   in Loop: Header=BB101_10 Depth=1
	s_or_b32 exec_lo, exec_lo, s1
.LBB101_9:                              ;   in Loop: Header=BB101_10 Depth=1
	v_add_nc_u32_e32 v25, s14, v25
	s_cmp_eq_u32 s4, s7
	s_cbranch_scc1 .LBB101_33
.LBB101_10:                             ; =>This Inner Loop Header: Depth=1
	v_cmp_gt_f32_e64 s0, v9, v8
	s_mov_b32 s17, exec_lo
	s_delay_alu instid0(VALU_DEP_1) | instskip(SKIP_2) | instid1(VALU_DEP_3)
	v_cndmask_b32_e64 v26, v8, v9, s0
	v_cndmask_b32_e64 v27, 0, 1, s0
	;; [unrolled: 1-line block ×3, first 2 shown]
	v_cmp_gt_f32_e64 s1, v10, v26
	s_delay_alu instid0(VALU_DEP_1) | instskip(NEXT) | instid1(VALU_DEP_4)
	v_cndmask_b32_e64 v26, v26, v10, s1
	v_cndmask_b32_e64 v27, v27, 2, s1
	s_delay_alu instid0(VALU_DEP_4) | instskip(NEXT) | instid1(VALU_DEP_3)
	v_cndmask_b32_e64 v28, v28, v2, s1
	v_cmp_gt_f32_e64 s0, v11, v26
	s_delay_alu instid0(VALU_DEP_1) | instskip(NEXT) | instid1(VALU_DEP_4)
	v_cndmask_b32_e64 v26, v26, v11, s0
	v_cndmask_b32_e64 v27, v27, 3, s0
	s_delay_alu instid0(VALU_DEP_4) | instskip(NEXT) | instid1(VALU_DEP_3)
	v_cndmask_b32_e64 v28, v28, v3, s0
	;; [unrolled: 6-line block ×4, first 2 shown]
	v_cmp_gt_f32_e64 s1, v14, v26
	s_delay_alu instid0(VALU_DEP_1) | instskip(NEXT) | instid1(VALU_DEP_4)
	v_cndmask_b32_e64 v26, v26, v14, s1
	v_cndmask_b32_e64 v27, v27, 6, s1
	s_waitcnt lgkmcnt(0)
	v_cndmask_b32_e64 v29, v28, v6, s1
	s_delay_alu instid0(VALU_DEP_3) | instskip(NEXT) | instid1(VALU_DEP_1)
	v_cmp_gt_f32_e64 s0, v15, v26
	v_cndmask_b32_e64 v28, v26, v15, s0
	v_cndmask_b32_e64 v26, v27, 7, s0
	s_delay_alu instid0(VALU_DEP_4)
	v_cndmask_b32_e64 v27, v29, v7, s0
	ds_bpermute_b32 v29, v18, v28
	v_or_b32_e32 v26, v22, v26
	ds_bpermute_b32 v31, v18, v27
	ds_bpermute_b32 v30, v18, v26
	s_waitcnt lgkmcnt(0)
	v_cmp_lt_f32_e64 s16, v28, v29
	v_cmpx_nlt_f32_e32 v28, v29
; %bb.11:                               ;   in Loop: Header=BB101_10 Depth=1
	v_cmp_eq_f32_e64 s0, v28, v29
	v_cmp_lt_i32_e64 s1, v30, v26
	s_delay_alu instid0(VALU_DEP_1) | instskip(SKIP_2) | instid1(SALU_CYCLE_1)
	s_and_b32 s0, s0, s1
	s_and_not1_b32 s1, s16, exec_lo
	s_and_b32 s0, s0, exec_lo
	s_or_b32 s16, s1, s0
; %bb.12:                               ;   in Loop: Header=BB101_10 Depth=1
	s_or_b32 exec_lo, exec_lo, s17
	s_and_saveexec_b32 s0, s16
; %bb.13:                               ;   in Loop: Header=BB101_10 Depth=1
	v_dual_mov_b32 v27, v31 :: v_dual_mov_b32 v28, v29
	v_mov_b32_e32 v26, v30
; %bb.14:                               ;   in Loop: Header=BB101_10 Depth=1
	s_or_b32 exec_lo, exec_lo, s0
	ds_bpermute_b32 v30, v19, v28
	ds_bpermute_b32 v31, v19, v27
	;; [unrolled: 1-line block ×3, first 2 shown]
	s_mov_b32 s17, exec_lo
	s_waitcnt lgkmcnt(2)
	v_cmp_lt_f32_e64 s16, v28, v30
	v_cmpx_nlt_f32_e32 v28, v30
	s_cbranch_execz .LBB101_16
; %bb.15:                               ;   in Loop: Header=BB101_10 Depth=1
	v_cmp_eq_f32_e64 s0, v28, v30
	s_waitcnt lgkmcnt(0)
	v_cmp_lt_i32_e64 s1, v29, v26
	s_delay_alu instid0(VALU_DEP_1) | instskip(SKIP_2) | instid1(SALU_CYCLE_1)
	s_and_b32 s0, s0, s1
	s_and_not1_b32 s1, s16, exec_lo
	s_and_b32 s0, s0, exec_lo
	s_or_b32 s16, s1, s0
.LBB101_16:                             ;   in Loop: Header=BB101_10 Depth=1
	s_or_b32 exec_lo, exec_lo, s17
	s_delay_alu instid0(VALU_DEP_2)
	s_and_saveexec_b32 s0, s16
	s_cbranch_execz .LBB101_18
; %bb.17:                               ;   in Loop: Header=BB101_10 Depth=1
	s_waitcnt lgkmcnt(1)
	v_dual_mov_b32 v27, v31 :: v_dual_mov_b32 v28, v30
	s_waitcnt lgkmcnt(0)
	v_mov_b32_e32 v26, v29
.LBB101_18:                             ;   in Loop: Header=BB101_10 Depth=1
	s_or_b32 exec_lo, exec_lo, s0
	ds_bpermute_b32 v30, v20, v28
	s_waitcnt lgkmcnt(2)
	ds_bpermute_b32 v31, v20, v27
	s_waitcnt lgkmcnt(2)
	ds_bpermute_b32 v29, v20, v26
	s_mov_b32 s17, exec_lo
	s_waitcnt lgkmcnt(2)
	v_cmp_lt_f32_e64 s16, v28, v30
	v_cmpx_nlt_f32_e32 v28, v30
	s_cbranch_execz .LBB101_20
; %bb.19:                               ;   in Loop: Header=BB101_10 Depth=1
	v_cmp_eq_f32_e64 s0, v28, v30
	s_waitcnt lgkmcnt(0)
	v_cmp_lt_i32_e64 s1, v29, v26
	s_delay_alu instid0(VALU_DEP_1) | instskip(SKIP_2) | instid1(SALU_CYCLE_1)
	s_and_b32 s0, s0, s1
	s_and_not1_b32 s1, s16, exec_lo
	s_and_b32 s0, s0, exec_lo
	s_or_b32 s16, s1, s0
.LBB101_20:                             ;   in Loop: Header=BB101_10 Depth=1
	s_or_b32 exec_lo, exec_lo, s17
	s_delay_alu instid0(VALU_DEP_2)
	s_and_saveexec_b32 s0, s16
	s_cbranch_execz .LBB101_22
; %bb.21:                               ;   in Loop: Header=BB101_10 Depth=1
	s_waitcnt lgkmcnt(1)
	v_dual_mov_b32 v27, v31 :: v_dual_mov_b32 v28, v30
	s_waitcnt lgkmcnt(0)
	v_mov_b32_e32 v26, v29
.LBB101_22:                             ;   in Loop: Header=BB101_10 Depth=1
	s_or_b32 exec_lo, exec_lo, s0
	s_waitcnt lgkmcnt(1)
	ds_bpermute_b32 v31, v21, v28
	ds_bpermute_b32 v30, v21, v27
	s_waitcnt lgkmcnt(2)
	ds_bpermute_b32 v29, v21, v26
	s_mov_b32 s17, exec_lo
	s_waitcnt lgkmcnt(2)
	v_cmp_lt_f32_e64 s16, v28, v31
	v_cmpx_nlt_f32_e32 v28, v31
	s_cbranch_execnz .LBB101_26
; %bb.23:                               ;   in Loop: Header=BB101_10 Depth=1
	s_or_b32 exec_lo, exec_lo, s17
	s_delay_alu instid0(VALU_DEP_2)
	s_and_saveexec_b32 s0, s16
	s_cbranch_execnz .LBB101_27
.LBB101_24:                             ;   in Loop: Header=BB101_10 Depth=1
	s_or_b32 exec_lo, exec_lo, s0
	s_and_saveexec_b32 s16, s2
	s_cbranch_execnz .LBB101_28
.LBB101_25:                             ;   in Loop: Header=BB101_10 Depth=1
	s_or_b32 exec_lo, exec_lo, s16
	s_add_i32 s7, s7, 1
	s_delay_alu instid0(SALU_CYCLE_1)
	s_cmp_ge_i32 s7, s4
	s_cbranch_scc1 .LBB101_9
	s_branch .LBB101_29
.LBB101_26:                             ;   in Loop: Header=BB101_10 Depth=1
	v_cmp_eq_f32_e64 s0, v28, v31
	s_waitcnt lgkmcnt(0)
	v_cmp_lt_i32_e64 s1, v29, v26
	s_delay_alu instid0(VALU_DEP_1) | instskip(SKIP_2) | instid1(SALU_CYCLE_1)
	s_and_b32 s0, s0, s1
	s_and_not1_b32 s1, s16, exec_lo
	s_and_b32 s0, s0, exec_lo
	s_or_b32 s16, s1, s0
	s_or_b32 exec_lo, exec_lo, s17
	s_and_saveexec_b32 s0, s16
	s_cbranch_execz .LBB101_24
.LBB101_27:                             ;   in Loop: Header=BB101_10 Depth=1
	s_waitcnt lgkmcnt(0)
	v_dual_mov_b32 v27, v30 :: v_dual_mov_b32 v26, v29
	s_or_b32 exec_lo, exec_lo, s0
	s_and_saveexec_b32 s16, s2
	s_cbranch_execz .LBB101_25
.LBB101_28:                             ;   in Loop: Header=BB101_10 Depth=1
	s_delay_alu instid0(VALU_DEP_1)
	v_dual_add_f32 v35, v23, v27 :: v_dual_add_nc_u32 v28, s7, v24
	v_cmp_le_i32_e64 s0, s5, v26
	v_cmp_gt_i32_e64 s1, s6, v26
	s_waitcnt lgkmcnt(1)
	v_subrev_nc_u32_e32 v30, s5, v26
	s_waitcnt lgkmcnt(0)
	v_ashrrev_i32_e32 v29, 31, v28
	v_cndmask_b32_e32 v23, v23, v35, vcc_lo
	s_and_b32 s0, s0, s1
	s_delay_alu instid0(SALU_CYCLE_1) | instskip(NEXT) | instid1(VALU_DEP_2)
	s_and_b32 s0, s15, s0
	v_lshlrev_b64 v[28:29], 2, v[28:29]
	v_cndmask_b32_e64 v34, 0x80, v30, s0
	s_delay_alu instid0(VALU_DEP_2) | instskip(NEXT) | instid1(VALU_DEP_1)
	v_add_co_u32 v30, s0, s12, v28
	v_add_co_ci_u32_e64 v31, s0, s13, v29, s0
	v_add_co_u32 v32, s0, s8, v28
	s_delay_alu instid0(VALU_DEP_1) | instskip(SKIP_1) | instid1(VALU_DEP_1)
	v_add_co_ci_u32_e64 v33, s0, s9, v29, s0
	v_add_co_u32 v28, s0, s10, v28
	v_add_co_ci_u32_e64 v29, s0, s11, v29, s0
	global_store_b32 v[30:31], v27, off
	global_store_b32 v[32:33], v34, off
	;; [unrolled: 1-line block ×3, first 2 shown]
	s_or_b32 exec_lo, exec_lo, s16
	s_add_i32 s7, s7, 1
	s_delay_alu instid0(SALU_CYCLE_1)
	s_cmp_ge_i32 s7, s4
	s_cbranch_scc1 .LBB101_9
.LBB101_29:                             ;   in Loop: Header=BB101_10 Depth=1
	v_ashrrev_i32_e32 v28, 31, v26
	s_mov_b32 s1, exec_lo
	s_delay_alu instid0(VALU_DEP_1) | instskip(NEXT) | instid1(VALU_DEP_1)
	v_lshrrev_b32_e32 v27, 29, v28
	v_add_nc_u32_e32 v27, v26, v27
	s_delay_alu instid0(VALU_DEP_1) | instskip(SKIP_1) | instid1(VALU_DEP_1)
	v_ashrrev_i32_e32 v27, 3, v27
	s_waitcnt lgkmcnt(0)
	v_lshrrev_b32_e32 v29, 28, v27
	s_delay_alu instid0(VALU_DEP_1) | instskip(NEXT) | instid1(VALU_DEP_1)
	v_add_nc_u32_e32 v29, v27, v29
	v_and_b32_e32 v29, -16, v29
	s_delay_alu instid0(VALU_DEP_1) | instskip(NEXT) | instid1(VALU_DEP_1)
	v_sub_nc_u32_e32 v29, v27, v29
	v_cmpx_eq_u32_e64 v17, v29
	s_cbranch_execz .LBB101_8
; %bb.30:                               ;   in Loop: Header=BB101_10 Depth=1
	v_lshrrev_b32_e32 v28, 25, v28
	v_lshlrev_b32_e32 v27, 3, v27
	s_delay_alu instid0(VALU_DEP_2) | instskip(NEXT) | instid1(VALU_DEP_2)
	v_add_nc_u32_e32 v28, v26, v28
	v_sub_nc_u32_e32 v26, v26, v27
	s_delay_alu instid0(VALU_DEP_2) | instskip(NEXT) | instid1(VALU_DEP_1)
	v_ashrrev_i32_e32 v27, 7, v28
	v_lshl_add_u32 v26, v27, 3, v26
	s_delay_alu instid0(VALU_DEP_1) | instskip(NEXT) | instid1(VALU_DEP_1)
	v_cmp_ne_u32_e64 s0, 7, v26
	v_cndmask_b32_e64 v15, 0xc61c4000, v15, s0
	v_cmp_ne_u32_e64 s0, 6, v26
	s_delay_alu instid0(VALU_DEP_1) | instskip(SKIP_1) | instid1(VALU_DEP_1)
	v_cndmask_b32_e64 v14, 0xc61c4000, v14, s0
	v_cmp_ne_u32_e64 s0, 5, v26
	v_cndmask_b32_e64 v13, 0xc61c4000, v13, s0
	v_cmp_ne_u32_e64 s0, 4, v26
	s_delay_alu instid0(VALU_DEP_1) | instskip(SKIP_1) | instid1(VALU_DEP_1)
	v_cndmask_b32_e64 v12, 0xc61c4000, v12, s0
	;; [unrolled: 5-line block ×3, first 2 shown]
	v_cmp_ne_u32_e64 s0, 1, v26
	v_cndmask_b32_e64 v9, 0xc61c4000, v9, s0
	v_cmp_ne_u32_e64 s0, 0, v26
	s_delay_alu instid0(VALU_DEP_1)
	v_cndmask_b32_e64 v8, 0xc61c4000, v8, s0
	s_branch .LBB101_8
.LBB101_31:
                                        ; implicit-def: $vgpr8_vgpr9_vgpr10_vgpr11_vgpr12_vgpr13_vgpr14_vgpr15
	s_and_not1_b32 vcc_lo, exec_lo, s8
	s_cbranch_vccz .LBB101_5
	s_branch .LBB101_6
.LBB101_32:
	v_mov_b32_e32 v23, 0
.LBB101_33:
	v_cmp_eq_u32_e64 s0, 0, v17
	s_delay_alu instid0(VALU_DEP_1) | instskip(NEXT) | instid1(SALU_CYCLE_1)
	s_and_b32 s0, s0, vcc_lo
	s_and_b32 exec_lo, exec_lo, s0
	s_cbranch_execz .LBB101_37
; %bb.34:
	s_and_not1_b32 vcc_lo, exec_lo, s3
	s_cbranch_vccnz .LBB101_37
; %bb.35:
	v_mul_lo_u32 v0, v16, s4
	v_cmp_lt_f32_e32 vcc_lo, 0, v23
	v_cndmask_b32_e32 v2, 1.0, v23, vcc_lo
	s_delay_alu instid0(VALU_DEP_3) | instskip(NEXT) | instid1(VALU_DEP_1)
	v_ashrrev_i32_e32 v1, 31, v0
	v_lshlrev_b64 v[0:1], 2, v[0:1]
	s_delay_alu instid0(VALU_DEP_1) | instskip(NEXT) | instid1(VALU_DEP_2)
	v_add_co_u32 v0, vcc_lo, s12, v0
	v_add_co_ci_u32_e32 v1, vcc_lo, s13, v1, vcc_lo
	.p2align	6
.LBB101_36:                             ; =>This Inner Loop Header: Depth=1
	global_load_b32 v3, v[0:1], off
	s_add_i32 s4, s4, -1
	s_delay_alu instid0(SALU_CYCLE_1) | instskip(SKIP_3) | instid1(VALU_DEP_2)
	s_cmp_lg_u32 s4, 0
	s_waitcnt vmcnt(0)
	v_div_scale_f32 v4, null, v2, v2, v3
	v_div_scale_f32 v7, vcc_lo, v3, v2, v3
	v_rcp_f32_e32 v5, v4
	s_waitcnt_depctr 0xfff
	v_fma_f32 v6, -v4, v5, 1.0
	s_delay_alu instid0(VALU_DEP_1) | instskip(NEXT) | instid1(VALU_DEP_1)
	v_fmac_f32_e32 v5, v6, v5
	v_mul_f32_e32 v6, v7, v5
	s_delay_alu instid0(VALU_DEP_1) | instskip(NEXT) | instid1(VALU_DEP_1)
	v_fma_f32 v8, -v4, v6, v7
	v_fmac_f32_e32 v6, v8, v5
	s_delay_alu instid0(VALU_DEP_1) | instskip(NEXT) | instid1(VALU_DEP_1)
	v_fma_f32 v4, -v4, v6, v7
	v_div_fmas_f32 v4, v4, v5, v6
	s_delay_alu instid0(VALU_DEP_1)
	v_div_fixup_f32 v3, v4, v2, v3
	global_store_b32 v[0:1], v3, off
	v_add_co_u32 v0, vcc_lo, v0, 4
	v_add_co_ci_u32_e32 v1, vcc_lo, 0, v1, vcc_lo
	s_cbranch_scc1 .LBB101_36
.LBB101_37:
	s_nop 0
	s_sendmsg sendmsg(MSG_DEALLOC_VGPRS)
	s_endpgm
	.section	.rodata,"a",@progbits
	.p2align	6, 0x0
	.amdhsa_kernel _ZN4vllm3moe10topkGatingILi8ELi128ELi4ELi16ELi64Ej6__halfLNS0_11ScoringFuncE0EEEvPKT5_PKbPfiPT4_PiiiibPKf
		.amdhsa_group_segment_fixed_size 0
		.amdhsa_private_segment_fixed_size 0
		.amdhsa_kernarg_size 72
		.amdhsa_user_sgpr_count 15
		.amdhsa_user_sgpr_dispatch_ptr 0
		.amdhsa_user_sgpr_queue_ptr 0
		.amdhsa_user_sgpr_kernarg_segment_ptr 1
		.amdhsa_user_sgpr_dispatch_id 0
		.amdhsa_user_sgpr_private_segment_size 0
		.amdhsa_wavefront_size32 1
		.amdhsa_uses_dynamic_stack 0
		.amdhsa_enable_private_segment 0
		.amdhsa_system_sgpr_workgroup_id_x 1
		.amdhsa_system_sgpr_workgroup_id_y 0
		.amdhsa_system_sgpr_workgroup_id_z 0
		.amdhsa_system_sgpr_workgroup_info 0
		.amdhsa_system_vgpr_workitem_id 1
		.amdhsa_next_free_vgpr 38
		.amdhsa_next_free_sgpr 18
		.amdhsa_reserve_vcc 1
		.amdhsa_float_round_mode_32 0
		.amdhsa_float_round_mode_16_64 0
		.amdhsa_float_denorm_mode_32 3
		.amdhsa_float_denorm_mode_16_64 3
		.amdhsa_dx10_clamp 1
		.amdhsa_ieee_mode 1
		.amdhsa_fp16_overflow 0
		.amdhsa_workgroup_processor_mode 1
		.amdhsa_memory_ordered 1
		.amdhsa_forward_progress 0
		.amdhsa_shared_vgpr_count 0
		.amdhsa_exception_fp_ieee_invalid_op 0
		.amdhsa_exception_fp_denorm_src 0
		.amdhsa_exception_fp_ieee_div_zero 0
		.amdhsa_exception_fp_ieee_overflow 0
		.amdhsa_exception_fp_ieee_underflow 0
		.amdhsa_exception_fp_ieee_inexact 0
		.amdhsa_exception_int_div_zero 0
	.end_amdhsa_kernel
	.section	.text._ZN4vllm3moe10topkGatingILi8ELi128ELi4ELi16ELi64Ej6__halfLNS0_11ScoringFuncE0EEEvPKT5_PKbPfiPT4_PiiiibPKf,"axG",@progbits,_ZN4vllm3moe10topkGatingILi8ELi128ELi4ELi16ELi64Ej6__halfLNS0_11ScoringFuncE0EEEvPKT5_PKbPfiPT4_PiiiibPKf,comdat
.Lfunc_end101:
	.size	_ZN4vllm3moe10topkGatingILi8ELi128ELi4ELi16ELi64Ej6__halfLNS0_11ScoringFuncE0EEEvPKT5_PKbPfiPT4_PiiiibPKf, .Lfunc_end101-_ZN4vllm3moe10topkGatingILi8ELi128ELi4ELi16ELi64Ej6__halfLNS0_11ScoringFuncE0EEEvPKT5_PKbPfiPT4_PiiiibPKf
                                        ; -- End function
	.section	.AMDGPU.csdata,"",@progbits
; Kernel info:
; codeLenInByte = 3416
; NumSgprs: 20
; NumVgprs: 38
; ScratchSize: 0
; MemoryBound: 0
; FloatMode: 240
; IeeeMode: 1
; LDSByteSize: 0 bytes/workgroup (compile time only)
; SGPRBlocks: 2
; VGPRBlocks: 4
; NumSGPRsForWavesPerEU: 20
; NumVGPRsForWavesPerEU: 38
; Occupancy: 16
; WaveLimiterHint : 0
; COMPUTE_PGM_RSRC2:SCRATCH_EN: 0
; COMPUTE_PGM_RSRC2:USER_SGPR: 15
; COMPUTE_PGM_RSRC2:TRAP_HANDLER: 0
; COMPUTE_PGM_RSRC2:TGID_X_EN: 1
; COMPUTE_PGM_RSRC2:TGID_Y_EN: 0
; COMPUTE_PGM_RSRC2:TGID_Z_EN: 0
; COMPUTE_PGM_RSRC2:TIDIG_COMP_CNT: 1
	.section	.text._ZN4vllm3moe10topkGatingILi8ELi128ELi4ELi16ELi32Ej6__halfLNS0_11ScoringFuncE0EEEvPKT5_PKbPfiPT4_PiiiibPKf,"axG",@progbits,_ZN4vllm3moe10topkGatingILi8ELi128ELi4ELi16ELi32Ej6__halfLNS0_11ScoringFuncE0EEEvPKT5_PKbPfiPT4_PiiiibPKf,comdat
	.protected	_ZN4vllm3moe10topkGatingILi8ELi128ELi4ELi16ELi32Ej6__halfLNS0_11ScoringFuncE0EEEvPKT5_PKbPfiPT4_PiiiibPKf ; -- Begin function _ZN4vllm3moe10topkGatingILi8ELi128ELi4ELi16ELi32Ej6__halfLNS0_11ScoringFuncE0EEEvPKT5_PKbPfiPT4_PiiiibPKf
	.globl	_ZN4vllm3moe10topkGatingILi8ELi128ELi4ELi16ELi32Ej6__halfLNS0_11ScoringFuncE0EEEvPKT5_PKbPfiPT4_PiiiibPKf
	.p2align	8
	.type	_ZN4vllm3moe10topkGatingILi8ELi128ELi4ELi16ELi32Ej6__halfLNS0_11ScoringFuncE0EEEvPKT5_PKbPfiPT4_PiiiibPKf,@function
_ZN4vllm3moe10topkGatingILi8ELi128ELi4ELi16ELi32Ej6__halfLNS0_11ScoringFuncE0EEEvPKT5_PKbPfiPT4_PiiiibPKf: ; @_ZN4vllm3moe10topkGatingILi8ELi128ELi4ELi16ELi32Ej6__halfLNS0_11ScoringFuncE0EEEvPKT5_PKbPfiPT4_PiiiibPKf
; %bb.0:
	s_load_b32 s14, s[0:1], 0x18
	v_bfe_u32 v1, v0, 10, 10
	v_and_b32_e32 v0, 0x3ff, v0
	s_lshl_b32 s2, s15, 3
	s_delay_alu instid0(VALU_DEP_2) | instskip(NEXT) | instid1(VALU_DEP_2)
	v_lshlrev_b32_e32 v1, 1, v1
	v_lshrrev_b32_e32 v2, 4, v0
	s_delay_alu instid0(VALU_DEP_1) | instskip(SKIP_2) | instid1(VALU_DEP_1)
	v_add3_u32 v16, s2, v1, v2
	s_mov_b32 s2, exec_lo
	s_waitcnt lgkmcnt(0)
	v_cmpx_gt_i32_e64 s14, v16
	s_cbranch_execz .LBB102_37
; %bb.1:
	s_clause 0x1
	s_load_b128 s[4:7], s[0:1], 0x0
	s_load_b64 s[12:13], s[0:1], 0x10
	s_mov_b32 s8, -1
	s_mov_b32 s15, -1
	s_waitcnt lgkmcnt(0)
	s_cmp_eq_u64 s[6:7], 0
	s_cbranch_scc1 .LBB102_3
; %bb.2:
	v_ashrrev_i32_e32 v2, 31, v16
	v_add_co_u32 v1, vcc_lo, s6, v16
	s_delay_alu instid0(VALU_DEP_2) | instskip(SKIP_3) | instid1(VALU_DEP_1)
	v_add_co_ci_u32_e32 v2, vcc_lo, s7, v2, vcc_lo
	global_load_u8 v1, v[1:2], off
	s_waitcnt vmcnt(0)
	v_and_b32_e32 v1, 1, v1
	v_cmp_eq_u32_e32 vcc_lo, 1, v1
	s_xor_b32 s2, vcc_lo, -1
	s_delay_alu instid0(SALU_CYCLE_1)
	s_or_not1_b32 s15, s2, exec_lo
.LBB102_3:
	v_lshlrev_b32_e32 v1, 7, v16
	v_and_b32_e32 v17, 15, v0
	v_mbcnt_lo_u32_b32 v4, -1, 0
	s_load_b64 s[2:3], s[0:1], 0x40
	s_delay_alu instid0(VALU_DEP_3) | instskip(NEXT) | instid1(VALU_DEP_2)
	v_ashrrev_i32_e32 v2, 31, v1
	v_and_b32_e32 v6, 16, v4
	v_xor_b32_e32 v8, 8, v4
	v_xor_b32_e32 v12, 4, v4
	s_delay_alu instid0(VALU_DEP_4) | instskip(SKIP_1) | instid1(VALU_DEP_2)
	v_lshlrev_b64 v[0:1], 1, v[1:2]
	v_lshlrev_b32_e32 v2, 4, v17
	v_add_co_u32 v0, vcc_lo, s4, v0
	s_delay_alu instid0(VALU_DEP_3) | instskip(NEXT) | instid1(VALU_DEP_2)
	v_add_co_ci_u32_e32 v1, vcc_lo, s5, v1, vcc_lo
	v_add_co_u32 v0, vcc_lo, v0, v2
	s_delay_alu instid0(VALU_DEP_2)
	v_add_co_ci_u32_e32 v1, vcc_lo, 0, v1, vcc_lo
	s_waitcnt lgkmcnt(0)
	s_cmp_eq_u64 s[2:3], 0
	global_load_b128 v[0:3], v[0:1], off
	s_waitcnt vmcnt(0)
	v_lshrrev_b32_e32 v5, 16, v0
	v_cvt_f32_f16_e32 v0, v0
	v_lshrrev_b32_e32 v7, 16, v1
	v_cvt_f32_f16_e32 v1, v1
	;; [unrolled: 2-line block ×3, first 2 shown]
	v_add_nc_u32_e32 v6, 16, v6
	v_cvt_f32_f16_e32 v7, v7
	v_cvt_f32_f16_e32 v2, v2
	v_lshrrev_b32_e32 v11, 16, v3
	v_max_f32_e32 v10, v0, v5
	v_cvt_f32_f16_e32 v9, v9
	v_cmp_lt_i32_e32 vcc_lo, v8, v6
	v_cvt_f32_f16_e32 v3, v3
	v_cvt_f32_f16_e32 v11, v11
	v_max3_f32 v10, v10, v1, v7
	v_cndmask_b32_e32 v8, v4, v8, vcc_lo
	v_cmp_lt_i32_e32 vcc_lo, v12, v6
	s_delay_alu instid0(VALU_DEP_3) | instskip(NEXT) | instid1(VALU_DEP_3)
	v_max3_f32 v10, v10, v2, v9
	v_lshlrev_b32_e32 v18, 2, v8
	v_cndmask_b32_e32 v12, v4, v12, vcc_lo
	s_delay_alu instid0(VALU_DEP_3) | instskip(SKIP_4) | instid1(VALU_DEP_2)
	v_max3_f32 v8, v10, v3, v11
	ds_bpermute_b32 v10, v18, v8
	s_waitcnt lgkmcnt(0)
	v_dual_max_f32 v10, v10, v10 :: v_dual_lshlrev_b32 v19, 2, v12
	v_xor_b32_e32 v12, 2, v4
	v_max_f32_e32 v8, v8, v10
	s_delay_alu instid0(VALU_DEP_2) | instskip(SKIP_2) | instid1(VALU_DEP_1)
	v_cmp_lt_i32_e32 vcc_lo, v12, v6
	ds_bpermute_b32 v10, v19, v8
	v_cndmask_b32_e32 v12, v4, v12, vcc_lo
	v_lshlrev_b32_e32 v20, 2, v12
	v_xor_b32_e32 v12, 1, v4
	s_delay_alu instid0(VALU_DEP_1) | instskip(SKIP_2) | instid1(VALU_DEP_1)
	v_cmp_lt_i32_e32 vcc_lo, v12, v6
	v_cndmask_b32_e32 v4, v4, v12, vcc_lo
	s_waitcnt lgkmcnt(0)
	v_dual_max_f32 v10, v10, v10 :: v_dual_lshlrev_b32 v21, 2, v4
	s_delay_alu instid0(VALU_DEP_1) | instskip(SKIP_3) | instid1(VALU_DEP_1)
	v_max_f32_e32 v8, v8, v10
	ds_bpermute_b32 v10, v20, v8
	s_waitcnt lgkmcnt(0)
	v_max_f32_e32 v6, v10, v10
	v_max_f32_e32 v4, v8, v6
	ds_bpermute_b32 v6, v21, v4
	s_waitcnt lgkmcnt(0)
	v_max_f32_e32 v6, v6, v6
	s_delay_alu instid0(VALU_DEP_1) | instskip(NEXT) | instid1(VALU_DEP_1)
	v_max_f32_e32 v4, v4, v6
	v_sub_f32_e32 v5, v5, v4
	v_sub_f32_e32 v6, v7, v4
	;; [unrolled: 1-line block ×5, first 2 shown]
	v_mul_f32_e32 v9, 0x3fb8aa3b, v5
	s_delay_alu instid0(VALU_DEP_4) | instskip(NEXT) | instid1(VALU_DEP_3)
	v_mul_f32_e32 v13, 0x3fb8aa3b, v7
	v_mul_f32_e32 v14, 0x3fb8aa3b, v3
	s_delay_alu instid0(VALU_DEP_3) | instskip(SKIP_1) | instid1(VALU_DEP_4)
	v_fma_f32 v24, 0x3fb8aa3b, v5, -v9
	v_rndne_f32_e32 v25, v9
	v_fma_f32 v32, 0x3fb8aa3b, v7, -v13
	v_rndne_f32_e32 v33, v13
	v_fma_f32 v34, 0x3fb8aa3b, v3, -v14
	v_fmac_f32_e32 v24, 0x32a5705f, v5
	s_delay_alu instid0(VALU_DEP_4) | instskip(NEXT) | instid1(VALU_DEP_4)
	v_dual_sub_f32 v9, v9, v25 :: v_dual_fmac_f32 v32, 0x32a5705f, v7
	v_sub_f32_e32 v13, v13, v33
	v_mul_f32_e32 v10, 0x3fb8aa3b, v1
	v_cvt_i32_f32_e32 v25, v25
	s_delay_alu instid0(VALU_DEP_4)
	v_add_f32_e32 v9, v9, v24
	v_cvt_i32_f32_e32 v33, v33
	v_add_f32_e32 v13, v13, v32
	v_fma_f32 v26, 0x3fb8aa3b, v1, -v10
	v_rndne_f32_e32 v27, v10
	v_exp_f32_e32 v9, v9
	v_rndne_f32_e32 v35, v14
	v_exp_f32_e32 v13, v13
	v_fmac_f32_e32 v26, 0x32a5705f, v1
	v_sub_f32_e32 v10, v10, v27
	v_cvt_i32_f32_e32 v27, v27
	v_fmac_f32_e32 v34, 0x32a5705f, v3
	v_sub_f32_e32 v14, v14, v35
	s_delay_alu instid0(VALU_DEP_4) | instskip(NEXT) | instid1(TRANS32_DEP_2)
	v_add_f32_e32 v10, v10, v26
	v_ldexp_f32 v9, v9, v25
	v_sub_f32_e32 v0, v0, v4
	s_delay_alu instid0(TRANS32_DEP_1) | instskip(SKIP_2) | instid1(VALU_DEP_3)
	v_ldexp_f32 v13, v13, v33
	v_add_f32_e32 v14, v14, v34
	v_exp_f32_e32 v10, v10
	v_mul_f32_e32 v8, 0x3fb8aa3b, v0
	v_cmp_ngt_f32_e32 vcc_lo, 0xc2ce8ed0, v0
	s_delay_alu instid0(VALU_DEP_3) | instskip(NEXT) | instid1(VALU_DEP_2)
	v_exp_f32_e32 v14, v14
	v_fma_f32 v22, 0x3fb8aa3b, v0, -v8
	v_rndne_f32_e32 v23, v8
	s_waitcnt_depctr 0xfff
	v_ldexp_f32 v10, v10, v27
	v_fmac_f32_e32 v22, 0x32a5705f, v0
	v_sub_f32_e32 v8, v8, v23
	v_cvt_i32_f32_e32 v23, v23
	s_delay_alu instid0(VALU_DEP_2) | instskip(SKIP_1) | instid1(VALU_DEP_2)
	v_add_f32_e32 v8, v8, v22
	v_cvt_i32_f32_e32 v22, v35
	v_exp_f32_e32 v8, v8
	s_delay_alu instid0(VALU_DEP_1) | instskip(SKIP_3) | instid1(VALU_DEP_1)
	v_ldexp_f32 v14, v14, v22
	v_lshlrev_b32_e32 v22, 3, v17
	s_waitcnt_depctr 0xfff
	v_ldexp_f32 v8, v8, v23
	v_cndmask_b32_e32 v8, 0, v8, vcc_lo
	v_cmp_ngt_f32_e32 vcc_lo, 0xc2ce8ed0, v5
	v_cndmask_b32_e32 v9, 0, v9, vcc_lo
	v_cmp_ngt_f32_e32 vcc_lo, 0xc2ce8ed0, v1
	v_cndmask_b32_e32 v10, 0, v10, vcc_lo
	v_cmp_nlt_f32_e32 vcc_lo, 0x42b17218, v0
	v_sub_f32_e32 v2, v2, v4
	v_cndmask_b32_e32 v0, 0x7f800000, v8, vcc_lo
	v_cmp_nlt_f32_e32 vcc_lo, 0x42b17218, v5
	v_dual_cndmask_b32 v5, 0x7f800000, v9 :: v_dual_sub_f32 v4, v11, v4
	v_mul_f32_e32 v11, 0x3fb8aa3b, v6
	v_cmp_ngt_f32_e32 vcc_lo, 0xc2ce8ed0, v6
	s_delay_alu instid0(VALU_DEP_3) | instskip(NEXT) | instid1(VALU_DEP_4)
	v_add_f32_e32 v9, v0, v5
	v_mul_f32_e32 v15, 0x3fb8aa3b, v4
	s_delay_alu instid0(VALU_DEP_4) | instskip(SKIP_1) | instid1(VALU_DEP_3)
	v_fma_f32 v28, 0x3fb8aa3b, v6, -v11
	v_rndne_f32_e32 v29, v11
	v_fma_f32 v36, 0x3fb8aa3b, v4, -v15
	s_delay_alu instid0(VALU_DEP_2) | instskip(SKIP_2) | instid1(VALU_DEP_4)
	v_dual_fmac_f32 v28, 0x32a5705f, v6 :: v_dual_sub_f32 v11, v11, v29
	v_cvt_i32_f32_e32 v29, v29
	v_rndne_f32_e32 v37, v15
	v_fmac_f32_e32 v36, 0x32a5705f, v4
	s_delay_alu instid0(VALU_DEP_4) | instskip(NEXT) | instid1(VALU_DEP_3)
	v_add_f32_e32 v11, v11, v28
	v_sub_f32_e32 v15, v15, v37
	v_cvt_i32_f32_e32 v24, v37
	s_delay_alu instid0(VALU_DEP_3) | instskip(NEXT) | instid1(VALU_DEP_2)
	v_exp_f32_e32 v11, v11
	v_add_f32_e32 v15, v15, v36
	s_delay_alu instid0(VALU_DEP_1) | instskip(SKIP_2) | instid1(VALU_DEP_1)
	v_exp_f32_e32 v15, v15
	s_waitcnt_depctr 0xfff
	v_ldexp_f32 v11, v11, v29
	v_cndmask_b32_e32 v8, 0, v11, vcc_lo
	v_cmp_nlt_f32_e32 vcc_lo, 0x42b17218, v1
	v_ldexp_f32 v15, v15, v24
	v_cndmask_b32_e32 v1, 0x7f800000, v10, vcc_lo
	v_mul_f32_e32 v12, 0x3fb8aa3b, v2
	v_cmp_ngt_f32_e32 vcc_lo, 0xc2ce8ed0, v2
	s_delay_alu instid0(VALU_DEP_2) | instskip(SKIP_1) | instid1(VALU_DEP_2)
	v_fma_f32 v30, 0x3fb8aa3b, v2, -v12
	v_rndne_f32_e32 v31, v12
	v_fmac_f32_e32 v30, 0x32a5705f, v2
	s_delay_alu instid0(VALU_DEP_2) | instskip(SKIP_1) | instid1(VALU_DEP_2)
	v_sub_f32_e32 v12, v12, v31
	v_cvt_i32_f32_e32 v31, v31
	v_add_f32_e32 v12, v12, v30
	s_delay_alu instid0(VALU_DEP_1) | instskip(SKIP_2) | instid1(VALU_DEP_1)
	v_exp_f32_e32 v12, v12
	s_waitcnt_depctr 0xfff
	v_ldexp_f32 v12, v12, v31
	v_cndmask_b32_e32 v10, 0, v12, vcc_lo
	v_cmp_nlt_f32_e32 vcc_lo, 0x42b17218, v6
	v_cndmask_b32_e32 v6, 0x7f800000, v8, vcc_lo
	v_cmp_ngt_f32_e32 vcc_lo, 0xc2ce8ed0, v7
	v_add_f32_e32 v8, v9, v1
	v_cndmask_b32_e32 v9, 0, v13, vcc_lo
	v_cmp_nlt_f32_e32 vcc_lo, 0x42b17218, v2
	s_delay_alu instid0(VALU_DEP_3) | instskip(SKIP_2) | instid1(VALU_DEP_2)
	v_add_f32_e32 v8, v8, v6
	v_cndmask_b32_e32 v2, 0x7f800000, v10, vcc_lo
	v_cmp_ngt_f32_e32 vcc_lo, 0xc2ce8ed0, v3
	v_add_f32_e32 v8, v8, v2
	v_cndmask_b32_e32 v10, 0, v14, vcc_lo
	v_cmp_nlt_f32_e32 vcc_lo, 0x42b17218, v7
	v_cndmask_b32_e32 v7, 0x7f800000, v9, vcc_lo
	v_cmp_ngt_f32_e32 vcc_lo, 0xc2ce8ed0, v4
	s_delay_alu instid0(VALU_DEP_2) | instskip(SKIP_4) | instid1(VALU_DEP_2)
	v_add_f32_e32 v8, v8, v7
	v_cndmask_b32_e32 v9, 0, v15, vcc_lo
	v_cmp_nlt_f32_e32 vcc_lo, 0x42b17218, v3
	v_cndmask_b32_e32 v3, 0x7f800000, v10, vcc_lo
	v_cmp_nlt_f32_e32 vcc_lo, 0x42b17218, v4
	v_add_f32_e32 v8, v8, v3
	v_cndmask_b32_e32 v4, 0x7f800000, v9, vcc_lo
	s_delay_alu instid0(VALU_DEP_1)
	v_add_f32_e32 v8, v8, v4
	ds_bpermute_b32 v9, v18, v8
	s_waitcnt lgkmcnt(0)
	v_add_f32_e32 v8, v8, v9
	ds_bpermute_b32 v9, v19, v8
	s_waitcnt lgkmcnt(0)
	;; [unrolled: 3-line block ×4, first 2 shown]
	v_add_f32_e32 v8, v8, v9
	s_delay_alu instid0(VALU_DEP_1) | instskip(SKIP_1) | instid1(VALU_DEP_2)
	v_div_scale_f32 v9, null, v8, v8, 1.0
	v_div_scale_f32 v12, vcc_lo, 1.0, v8, 1.0
	v_rcp_f32_e32 v10, v9
	s_waitcnt_depctr 0xfff
	v_fma_f32 v11, -v9, v10, 1.0
	s_delay_alu instid0(VALU_DEP_1) | instskip(NEXT) | instid1(VALU_DEP_1)
	v_fmac_f32_e32 v10, v11, v10
	v_mul_f32_e32 v11, v12, v10
	s_delay_alu instid0(VALU_DEP_1) | instskip(NEXT) | instid1(VALU_DEP_1)
	v_fma_f32 v13, -v9, v11, v12
	v_fmac_f32_e32 v11, v13, v10
	s_delay_alu instid0(VALU_DEP_1) | instskip(NEXT) | instid1(VALU_DEP_1)
	v_fma_f32 v9, -v9, v11, v12
	v_div_fmas_f32 v9, v9, v10, v11
	s_delay_alu instid0(VALU_DEP_1) | instskip(NEXT) | instid1(VALU_DEP_1)
	v_div_fixup_f32 v8, v9, v8, 1.0
	v_mul_f32_e32 v0, v8, v0
	v_mul_f32_e32 v5, v8, v5
	;; [unrolled: 1-line block ×5, first 2 shown]
	v_cmp_class_f32_e64 vcc_lo, v0, 0x1f8
	v_mul_f32_e32 v7, v8, v7
	v_mul_f32_e32 v11, v8, v3
	v_mul_f32_e32 v8, v8, v4
	v_cndmask_b32_e32 v0, 0, v0, vcc_lo
	v_cmp_class_f32_e64 vcc_lo, v5, 0x1f8
	v_cndmask_b32_e32 v1, 0, v5, vcc_lo
	v_cmp_class_f32_e64 vcc_lo, v9, 0x1f8
	;; [unrolled: 2-line block ×7, first 2 shown]
	v_cndmask_b32_e32 v7, 0, v8, vcc_lo
	s_cbranch_scc1 .LBB102_31
; %bb.4:
	v_lshlrev_b32_e32 v12, 2, v22
	s_clause 0x1
	global_load_b128 v[8:11], v12, s[2:3]
	global_load_b128 v[12:15], v12, s[2:3] offset:16
	s_waitcnt vmcnt(1)
	v_dual_add_f32 v9, v9, v1 :: v_dual_add_f32 v8, v8, v0
	v_dual_add_f32 v11, v11, v3 :: v_dual_add_f32 v10, v10, v2
	s_waitcnt vmcnt(0)
	v_dual_add_f32 v13, v13, v5 :: v_dual_add_f32 v12, v12, v4
	v_dual_add_f32 v15, v15, v7 :: v_dual_add_f32 v14, v14, v6
	s_cbranch_execnz .LBB102_6
.LBB102_5:
	v_dual_mov_b32 v15, v7 :: v_dual_mov_b32 v14, v6
	v_dual_mov_b32 v13, v5 :: v_dual_mov_b32 v12, v4
	;; [unrolled: 1-line block ×4, first 2 shown]
.LBB102_6:
	s_load_b128 s[4:7], s[0:1], 0x30
	v_cmp_eq_u32_e64 s2, 0, v17
	s_waitcnt lgkmcnt(0)
	s_bitcmp1_b32 s7, 0
	s_mov_b32 s7, 0
	s_cselect_b32 vcc_lo, -1, 0
	s_cmp_gt_i32 s4, 0
	s_cselect_b32 s3, -1, 0
	s_cmp_lt_i32 s4, 1
	s_cbranch_scc1 .LBB102_32
; %bb.7:
	s_load_b128 s[8:11], s[0:1], 0x20
	v_mul_lo_u32 v24, v16, s4
	v_mov_b32_e32 v23, 0
	v_mov_b32_e32 v25, v16
	s_branch .LBB102_10
.LBB102_8:                              ;   in Loop: Header=BB102_10 Depth=1
	s_or_b32 exec_lo, exec_lo, s1
.LBB102_9:                              ;   in Loop: Header=BB102_10 Depth=1
	v_add_nc_u32_e32 v25, s14, v25
	s_cmp_eq_u32 s4, s7
	s_cbranch_scc1 .LBB102_33
.LBB102_10:                             ; =>This Inner Loop Header: Depth=1
	v_cmp_gt_f32_e64 s0, v9, v8
	s_mov_b32 s17, exec_lo
	s_delay_alu instid0(VALU_DEP_1) | instskip(SKIP_2) | instid1(VALU_DEP_3)
	v_cndmask_b32_e64 v26, v8, v9, s0
	v_cndmask_b32_e64 v27, 0, 1, s0
	;; [unrolled: 1-line block ×3, first 2 shown]
	v_cmp_gt_f32_e64 s1, v10, v26
	s_delay_alu instid0(VALU_DEP_1) | instskip(NEXT) | instid1(VALU_DEP_4)
	v_cndmask_b32_e64 v26, v26, v10, s1
	v_cndmask_b32_e64 v27, v27, 2, s1
	s_delay_alu instid0(VALU_DEP_4) | instskip(NEXT) | instid1(VALU_DEP_3)
	v_cndmask_b32_e64 v28, v28, v2, s1
	v_cmp_gt_f32_e64 s0, v11, v26
	s_delay_alu instid0(VALU_DEP_1) | instskip(NEXT) | instid1(VALU_DEP_4)
	v_cndmask_b32_e64 v26, v26, v11, s0
	v_cndmask_b32_e64 v27, v27, 3, s0
	s_delay_alu instid0(VALU_DEP_4) | instskip(NEXT) | instid1(VALU_DEP_3)
	v_cndmask_b32_e64 v28, v28, v3, s0
	;; [unrolled: 6-line block ×4, first 2 shown]
	v_cmp_gt_f32_e64 s1, v14, v26
	s_delay_alu instid0(VALU_DEP_1) | instskip(NEXT) | instid1(VALU_DEP_4)
	v_cndmask_b32_e64 v26, v26, v14, s1
	v_cndmask_b32_e64 v27, v27, 6, s1
	s_waitcnt lgkmcnt(0)
	v_cndmask_b32_e64 v29, v28, v6, s1
	s_delay_alu instid0(VALU_DEP_3) | instskip(NEXT) | instid1(VALU_DEP_1)
	v_cmp_gt_f32_e64 s0, v15, v26
	v_cndmask_b32_e64 v28, v26, v15, s0
	v_cndmask_b32_e64 v26, v27, 7, s0
	s_delay_alu instid0(VALU_DEP_4)
	v_cndmask_b32_e64 v27, v29, v7, s0
	ds_bpermute_b32 v29, v18, v28
	v_or_b32_e32 v26, v22, v26
	ds_bpermute_b32 v31, v18, v27
	ds_bpermute_b32 v30, v18, v26
	s_waitcnt lgkmcnt(0)
	v_cmp_lt_f32_e64 s16, v28, v29
	v_cmpx_nlt_f32_e32 v28, v29
; %bb.11:                               ;   in Loop: Header=BB102_10 Depth=1
	v_cmp_eq_f32_e64 s0, v28, v29
	v_cmp_lt_i32_e64 s1, v30, v26
	s_delay_alu instid0(VALU_DEP_1) | instskip(SKIP_2) | instid1(SALU_CYCLE_1)
	s_and_b32 s0, s0, s1
	s_and_not1_b32 s1, s16, exec_lo
	s_and_b32 s0, s0, exec_lo
	s_or_b32 s16, s1, s0
; %bb.12:                               ;   in Loop: Header=BB102_10 Depth=1
	s_or_b32 exec_lo, exec_lo, s17
	s_and_saveexec_b32 s0, s16
; %bb.13:                               ;   in Loop: Header=BB102_10 Depth=1
	v_dual_mov_b32 v27, v31 :: v_dual_mov_b32 v28, v29
	v_mov_b32_e32 v26, v30
; %bb.14:                               ;   in Loop: Header=BB102_10 Depth=1
	s_or_b32 exec_lo, exec_lo, s0
	ds_bpermute_b32 v30, v19, v28
	ds_bpermute_b32 v31, v19, v27
	;; [unrolled: 1-line block ×3, first 2 shown]
	s_mov_b32 s17, exec_lo
	s_waitcnt lgkmcnt(2)
	v_cmp_lt_f32_e64 s16, v28, v30
	v_cmpx_nlt_f32_e32 v28, v30
	s_cbranch_execz .LBB102_16
; %bb.15:                               ;   in Loop: Header=BB102_10 Depth=1
	v_cmp_eq_f32_e64 s0, v28, v30
	s_waitcnt lgkmcnt(0)
	v_cmp_lt_i32_e64 s1, v29, v26
	s_delay_alu instid0(VALU_DEP_1) | instskip(SKIP_2) | instid1(SALU_CYCLE_1)
	s_and_b32 s0, s0, s1
	s_and_not1_b32 s1, s16, exec_lo
	s_and_b32 s0, s0, exec_lo
	s_or_b32 s16, s1, s0
.LBB102_16:                             ;   in Loop: Header=BB102_10 Depth=1
	s_or_b32 exec_lo, exec_lo, s17
	s_delay_alu instid0(VALU_DEP_2)
	s_and_saveexec_b32 s0, s16
	s_cbranch_execz .LBB102_18
; %bb.17:                               ;   in Loop: Header=BB102_10 Depth=1
	s_waitcnt lgkmcnt(1)
	v_dual_mov_b32 v27, v31 :: v_dual_mov_b32 v28, v30
	s_waitcnt lgkmcnt(0)
	v_mov_b32_e32 v26, v29
.LBB102_18:                             ;   in Loop: Header=BB102_10 Depth=1
	s_or_b32 exec_lo, exec_lo, s0
	ds_bpermute_b32 v30, v20, v28
	s_waitcnt lgkmcnt(2)
	ds_bpermute_b32 v31, v20, v27
	s_waitcnt lgkmcnt(2)
	ds_bpermute_b32 v29, v20, v26
	s_mov_b32 s17, exec_lo
	s_waitcnt lgkmcnt(2)
	v_cmp_lt_f32_e64 s16, v28, v30
	v_cmpx_nlt_f32_e32 v28, v30
	s_cbranch_execz .LBB102_20
; %bb.19:                               ;   in Loop: Header=BB102_10 Depth=1
	v_cmp_eq_f32_e64 s0, v28, v30
	s_waitcnt lgkmcnt(0)
	v_cmp_lt_i32_e64 s1, v29, v26
	s_delay_alu instid0(VALU_DEP_1) | instskip(SKIP_2) | instid1(SALU_CYCLE_1)
	s_and_b32 s0, s0, s1
	s_and_not1_b32 s1, s16, exec_lo
	s_and_b32 s0, s0, exec_lo
	s_or_b32 s16, s1, s0
.LBB102_20:                             ;   in Loop: Header=BB102_10 Depth=1
	s_or_b32 exec_lo, exec_lo, s17
	s_delay_alu instid0(VALU_DEP_2)
	s_and_saveexec_b32 s0, s16
	s_cbranch_execz .LBB102_22
; %bb.21:                               ;   in Loop: Header=BB102_10 Depth=1
	s_waitcnt lgkmcnt(1)
	v_dual_mov_b32 v27, v31 :: v_dual_mov_b32 v28, v30
	s_waitcnt lgkmcnt(0)
	v_mov_b32_e32 v26, v29
.LBB102_22:                             ;   in Loop: Header=BB102_10 Depth=1
	s_or_b32 exec_lo, exec_lo, s0
	s_waitcnt lgkmcnt(1)
	ds_bpermute_b32 v31, v21, v28
	ds_bpermute_b32 v30, v21, v27
	s_waitcnt lgkmcnt(2)
	ds_bpermute_b32 v29, v21, v26
	s_mov_b32 s17, exec_lo
	s_waitcnt lgkmcnt(2)
	v_cmp_lt_f32_e64 s16, v28, v31
	v_cmpx_nlt_f32_e32 v28, v31
	s_cbranch_execnz .LBB102_26
; %bb.23:                               ;   in Loop: Header=BB102_10 Depth=1
	s_or_b32 exec_lo, exec_lo, s17
	s_delay_alu instid0(VALU_DEP_2)
	s_and_saveexec_b32 s0, s16
	s_cbranch_execnz .LBB102_27
.LBB102_24:                             ;   in Loop: Header=BB102_10 Depth=1
	s_or_b32 exec_lo, exec_lo, s0
	s_and_saveexec_b32 s16, s2
	s_cbranch_execnz .LBB102_28
.LBB102_25:                             ;   in Loop: Header=BB102_10 Depth=1
	s_or_b32 exec_lo, exec_lo, s16
	s_add_i32 s7, s7, 1
	s_delay_alu instid0(SALU_CYCLE_1)
	s_cmp_ge_i32 s7, s4
	s_cbranch_scc1 .LBB102_9
	s_branch .LBB102_29
.LBB102_26:                             ;   in Loop: Header=BB102_10 Depth=1
	v_cmp_eq_f32_e64 s0, v28, v31
	s_waitcnt lgkmcnt(0)
	v_cmp_lt_i32_e64 s1, v29, v26
	s_delay_alu instid0(VALU_DEP_1) | instskip(SKIP_2) | instid1(SALU_CYCLE_1)
	s_and_b32 s0, s0, s1
	s_and_not1_b32 s1, s16, exec_lo
	s_and_b32 s0, s0, exec_lo
	s_or_b32 s16, s1, s0
	s_or_b32 exec_lo, exec_lo, s17
	s_and_saveexec_b32 s0, s16
	s_cbranch_execz .LBB102_24
.LBB102_27:                             ;   in Loop: Header=BB102_10 Depth=1
	s_waitcnt lgkmcnt(0)
	v_dual_mov_b32 v27, v30 :: v_dual_mov_b32 v26, v29
	s_or_b32 exec_lo, exec_lo, s0
	s_and_saveexec_b32 s16, s2
	s_cbranch_execz .LBB102_25
.LBB102_28:                             ;   in Loop: Header=BB102_10 Depth=1
	s_delay_alu instid0(VALU_DEP_1)
	v_dual_add_f32 v35, v23, v27 :: v_dual_add_nc_u32 v28, s7, v24
	v_cmp_le_i32_e64 s0, s5, v26
	v_cmp_gt_i32_e64 s1, s6, v26
	s_waitcnt lgkmcnt(1)
	v_subrev_nc_u32_e32 v30, s5, v26
	s_waitcnt lgkmcnt(0)
	v_ashrrev_i32_e32 v29, 31, v28
	v_cndmask_b32_e32 v23, v23, v35, vcc_lo
	s_and_b32 s0, s0, s1
	s_delay_alu instid0(SALU_CYCLE_1) | instskip(NEXT) | instid1(VALU_DEP_2)
	s_and_b32 s0, s15, s0
	v_lshlrev_b64 v[28:29], 2, v[28:29]
	v_cndmask_b32_e64 v34, 0x80, v30, s0
	s_delay_alu instid0(VALU_DEP_2) | instskip(NEXT) | instid1(VALU_DEP_1)
	v_add_co_u32 v30, s0, s12, v28
	v_add_co_ci_u32_e64 v31, s0, s13, v29, s0
	v_add_co_u32 v32, s0, s8, v28
	s_delay_alu instid0(VALU_DEP_1) | instskip(SKIP_1) | instid1(VALU_DEP_1)
	v_add_co_ci_u32_e64 v33, s0, s9, v29, s0
	v_add_co_u32 v28, s0, s10, v28
	v_add_co_ci_u32_e64 v29, s0, s11, v29, s0
	global_store_b32 v[30:31], v27, off
	global_store_b32 v[32:33], v34, off
	;; [unrolled: 1-line block ×3, first 2 shown]
	s_or_b32 exec_lo, exec_lo, s16
	s_add_i32 s7, s7, 1
	s_delay_alu instid0(SALU_CYCLE_1)
	s_cmp_ge_i32 s7, s4
	s_cbranch_scc1 .LBB102_9
.LBB102_29:                             ;   in Loop: Header=BB102_10 Depth=1
	v_ashrrev_i32_e32 v28, 31, v26
	s_mov_b32 s1, exec_lo
	s_delay_alu instid0(VALU_DEP_1) | instskip(NEXT) | instid1(VALU_DEP_1)
	v_lshrrev_b32_e32 v27, 29, v28
	v_add_nc_u32_e32 v27, v26, v27
	s_delay_alu instid0(VALU_DEP_1) | instskip(SKIP_1) | instid1(VALU_DEP_1)
	v_ashrrev_i32_e32 v27, 3, v27
	s_waitcnt lgkmcnt(0)
	v_lshrrev_b32_e32 v29, 28, v27
	s_delay_alu instid0(VALU_DEP_1) | instskip(NEXT) | instid1(VALU_DEP_1)
	v_add_nc_u32_e32 v29, v27, v29
	v_and_b32_e32 v29, -16, v29
	s_delay_alu instid0(VALU_DEP_1) | instskip(NEXT) | instid1(VALU_DEP_1)
	v_sub_nc_u32_e32 v29, v27, v29
	v_cmpx_eq_u32_e64 v17, v29
	s_cbranch_execz .LBB102_8
; %bb.30:                               ;   in Loop: Header=BB102_10 Depth=1
	v_lshrrev_b32_e32 v28, 25, v28
	v_lshlrev_b32_e32 v27, 3, v27
	s_delay_alu instid0(VALU_DEP_2) | instskip(NEXT) | instid1(VALU_DEP_2)
	v_add_nc_u32_e32 v28, v26, v28
	v_sub_nc_u32_e32 v26, v26, v27
	s_delay_alu instid0(VALU_DEP_2) | instskip(NEXT) | instid1(VALU_DEP_1)
	v_ashrrev_i32_e32 v27, 7, v28
	v_lshl_add_u32 v26, v27, 3, v26
	s_delay_alu instid0(VALU_DEP_1) | instskip(NEXT) | instid1(VALU_DEP_1)
	v_cmp_ne_u32_e64 s0, 7, v26
	v_cndmask_b32_e64 v15, 0xc61c4000, v15, s0
	v_cmp_ne_u32_e64 s0, 6, v26
	s_delay_alu instid0(VALU_DEP_1) | instskip(SKIP_1) | instid1(VALU_DEP_1)
	v_cndmask_b32_e64 v14, 0xc61c4000, v14, s0
	v_cmp_ne_u32_e64 s0, 5, v26
	v_cndmask_b32_e64 v13, 0xc61c4000, v13, s0
	v_cmp_ne_u32_e64 s0, 4, v26
	s_delay_alu instid0(VALU_DEP_1) | instskip(SKIP_1) | instid1(VALU_DEP_1)
	v_cndmask_b32_e64 v12, 0xc61c4000, v12, s0
	;; [unrolled: 5-line block ×3, first 2 shown]
	v_cmp_ne_u32_e64 s0, 1, v26
	v_cndmask_b32_e64 v9, 0xc61c4000, v9, s0
	v_cmp_ne_u32_e64 s0, 0, v26
	s_delay_alu instid0(VALU_DEP_1)
	v_cndmask_b32_e64 v8, 0xc61c4000, v8, s0
	s_branch .LBB102_8
.LBB102_31:
                                        ; implicit-def: $vgpr8_vgpr9_vgpr10_vgpr11_vgpr12_vgpr13_vgpr14_vgpr15
	s_and_not1_b32 vcc_lo, exec_lo, s8
	s_cbranch_vccz .LBB102_5
	s_branch .LBB102_6
.LBB102_32:
	v_mov_b32_e32 v23, 0
.LBB102_33:
	v_cmp_eq_u32_e64 s0, 0, v17
	s_delay_alu instid0(VALU_DEP_1) | instskip(NEXT) | instid1(SALU_CYCLE_1)
	s_and_b32 s0, s0, vcc_lo
	s_and_b32 exec_lo, exec_lo, s0
	s_cbranch_execz .LBB102_37
; %bb.34:
	s_and_not1_b32 vcc_lo, exec_lo, s3
	s_cbranch_vccnz .LBB102_37
; %bb.35:
	v_mul_lo_u32 v0, v16, s4
	v_cmp_lt_f32_e32 vcc_lo, 0, v23
	v_cndmask_b32_e32 v2, 1.0, v23, vcc_lo
	s_delay_alu instid0(VALU_DEP_3) | instskip(NEXT) | instid1(VALU_DEP_1)
	v_ashrrev_i32_e32 v1, 31, v0
	v_lshlrev_b64 v[0:1], 2, v[0:1]
	s_delay_alu instid0(VALU_DEP_1) | instskip(NEXT) | instid1(VALU_DEP_2)
	v_add_co_u32 v0, vcc_lo, s12, v0
	v_add_co_ci_u32_e32 v1, vcc_lo, s13, v1, vcc_lo
	.p2align	6
.LBB102_36:                             ; =>This Inner Loop Header: Depth=1
	global_load_b32 v3, v[0:1], off
	s_add_i32 s4, s4, -1
	s_delay_alu instid0(SALU_CYCLE_1) | instskip(SKIP_3) | instid1(VALU_DEP_2)
	s_cmp_lg_u32 s4, 0
	s_waitcnt vmcnt(0)
	v_div_scale_f32 v4, null, v2, v2, v3
	v_div_scale_f32 v7, vcc_lo, v3, v2, v3
	v_rcp_f32_e32 v5, v4
	s_waitcnt_depctr 0xfff
	v_fma_f32 v6, -v4, v5, 1.0
	s_delay_alu instid0(VALU_DEP_1) | instskip(NEXT) | instid1(VALU_DEP_1)
	v_fmac_f32_e32 v5, v6, v5
	v_mul_f32_e32 v6, v7, v5
	s_delay_alu instid0(VALU_DEP_1) | instskip(NEXT) | instid1(VALU_DEP_1)
	v_fma_f32 v8, -v4, v6, v7
	v_fmac_f32_e32 v6, v8, v5
	s_delay_alu instid0(VALU_DEP_1) | instskip(NEXT) | instid1(VALU_DEP_1)
	v_fma_f32 v4, -v4, v6, v7
	v_div_fmas_f32 v4, v4, v5, v6
	s_delay_alu instid0(VALU_DEP_1)
	v_div_fixup_f32 v3, v4, v2, v3
	global_store_b32 v[0:1], v3, off
	v_add_co_u32 v0, vcc_lo, v0, 4
	v_add_co_ci_u32_e32 v1, vcc_lo, 0, v1, vcc_lo
	s_cbranch_scc1 .LBB102_36
.LBB102_37:
	s_nop 0
	s_sendmsg sendmsg(MSG_DEALLOC_VGPRS)
	s_endpgm
	.section	.rodata,"a",@progbits
	.p2align	6, 0x0
	.amdhsa_kernel _ZN4vllm3moe10topkGatingILi8ELi128ELi4ELi16ELi32Ej6__halfLNS0_11ScoringFuncE0EEEvPKT5_PKbPfiPT4_PiiiibPKf
		.amdhsa_group_segment_fixed_size 0
		.amdhsa_private_segment_fixed_size 0
		.amdhsa_kernarg_size 72
		.amdhsa_user_sgpr_count 15
		.amdhsa_user_sgpr_dispatch_ptr 0
		.amdhsa_user_sgpr_queue_ptr 0
		.amdhsa_user_sgpr_kernarg_segment_ptr 1
		.amdhsa_user_sgpr_dispatch_id 0
		.amdhsa_user_sgpr_private_segment_size 0
		.amdhsa_wavefront_size32 1
		.amdhsa_uses_dynamic_stack 0
		.amdhsa_enable_private_segment 0
		.amdhsa_system_sgpr_workgroup_id_x 1
		.amdhsa_system_sgpr_workgroup_id_y 0
		.amdhsa_system_sgpr_workgroup_id_z 0
		.amdhsa_system_sgpr_workgroup_info 0
		.amdhsa_system_vgpr_workitem_id 1
		.amdhsa_next_free_vgpr 38
		.amdhsa_next_free_sgpr 18
		.amdhsa_reserve_vcc 1
		.amdhsa_float_round_mode_32 0
		.amdhsa_float_round_mode_16_64 0
		.amdhsa_float_denorm_mode_32 3
		.amdhsa_float_denorm_mode_16_64 3
		.amdhsa_dx10_clamp 1
		.amdhsa_ieee_mode 1
		.amdhsa_fp16_overflow 0
		.amdhsa_workgroup_processor_mode 1
		.amdhsa_memory_ordered 1
		.amdhsa_forward_progress 0
		.amdhsa_shared_vgpr_count 0
		.amdhsa_exception_fp_ieee_invalid_op 0
		.amdhsa_exception_fp_denorm_src 0
		.amdhsa_exception_fp_ieee_div_zero 0
		.amdhsa_exception_fp_ieee_overflow 0
		.amdhsa_exception_fp_ieee_underflow 0
		.amdhsa_exception_fp_ieee_inexact 0
		.amdhsa_exception_int_div_zero 0
	.end_amdhsa_kernel
	.section	.text._ZN4vllm3moe10topkGatingILi8ELi128ELi4ELi16ELi32Ej6__halfLNS0_11ScoringFuncE0EEEvPKT5_PKbPfiPT4_PiiiibPKf,"axG",@progbits,_ZN4vllm3moe10topkGatingILi8ELi128ELi4ELi16ELi32Ej6__halfLNS0_11ScoringFuncE0EEEvPKT5_PKbPfiPT4_PiiiibPKf,comdat
.Lfunc_end102:
	.size	_ZN4vllm3moe10topkGatingILi8ELi128ELi4ELi16ELi32Ej6__halfLNS0_11ScoringFuncE0EEEvPKT5_PKbPfiPT4_PiiiibPKf, .Lfunc_end102-_ZN4vllm3moe10topkGatingILi8ELi128ELi4ELi16ELi32Ej6__halfLNS0_11ScoringFuncE0EEEvPKT5_PKbPfiPT4_PiiiibPKf
                                        ; -- End function
	.section	.AMDGPU.csdata,"",@progbits
; Kernel info:
; codeLenInByte = 3416
; NumSgprs: 20
; NumVgprs: 38
; ScratchSize: 0
; MemoryBound: 0
; FloatMode: 240
; IeeeMode: 1
; LDSByteSize: 0 bytes/workgroup (compile time only)
; SGPRBlocks: 2
; VGPRBlocks: 4
; NumSGPRsForWavesPerEU: 20
; NumVGPRsForWavesPerEU: 38
; Occupancy: 16
; WaveLimiterHint : 0
; COMPUTE_PGM_RSRC2:SCRATCH_EN: 0
; COMPUTE_PGM_RSRC2:USER_SGPR: 15
; COMPUTE_PGM_RSRC2:TRAP_HANDLER: 0
; COMPUTE_PGM_RSRC2:TGID_X_EN: 1
; COMPUTE_PGM_RSRC2:TGID_Y_EN: 0
; COMPUTE_PGM_RSRC2:TGID_Z_EN: 0
; COMPUTE_PGM_RSRC2:TIDIG_COMP_CNT: 1
	.section	.text._ZN4vllm3moe10topkGatingILi8ELi256ELi4ELi16ELi64Ej6__halfLNS0_11ScoringFuncE0EEEvPKT5_PKbPfiPT4_PiiiibPKf,"axG",@progbits,_ZN4vllm3moe10topkGatingILi8ELi256ELi4ELi16ELi64Ej6__halfLNS0_11ScoringFuncE0EEEvPKT5_PKbPfiPT4_PiiiibPKf,comdat
	.protected	_ZN4vllm3moe10topkGatingILi8ELi256ELi4ELi16ELi64Ej6__halfLNS0_11ScoringFuncE0EEEvPKT5_PKbPfiPT4_PiiiibPKf ; -- Begin function _ZN4vllm3moe10topkGatingILi8ELi256ELi4ELi16ELi64Ej6__halfLNS0_11ScoringFuncE0EEEvPKT5_PKbPfiPT4_PiiiibPKf
	.globl	_ZN4vllm3moe10topkGatingILi8ELi256ELi4ELi16ELi64Ej6__halfLNS0_11ScoringFuncE0EEEvPKT5_PKbPfiPT4_PiiiibPKf
	.p2align	8
	.type	_ZN4vllm3moe10topkGatingILi8ELi256ELi4ELi16ELi64Ej6__halfLNS0_11ScoringFuncE0EEEvPKT5_PKbPfiPT4_PiiiibPKf,@function
_ZN4vllm3moe10topkGatingILi8ELi256ELi4ELi16ELi64Ej6__halfLNS0_11ScoringFuncE0EEEvPKT5_PKbPfiPT4_PiiiibPKf: ; @_ZN4vllm3moe10topkGatingILi8ELi256ELi4ELi16ELi64Ej6__halfLNS0_11ScoringFuncE0EEEvPKT5_PKbPfiPT4_PiiiibPKf
; %bb.0:
	s_load_b32 s14, s[0:1], 0x18
	v_bfe_u32 v1, v0, 10, 10
	v_and_b32_e32 v0, 0x3ff, v0
	s_lshl_b32 s2, s15, 3
	s_delay_alu instid0(VALU_DEP_2) | instskip(NEXT) | instid1(VALU_DEP_2)
	v_lshlrev_b32_e32 v1, 1, v1
	v_lshrrev_b32_e32 v2, 5, v0
	s_delay_alu instid0(VALU_DEP_1) | instskip(SKIP_2) | instid1(VALU_DEP_1)
	v_add3_u32 v16, s2, v1, v2
	s_mov_b32 s2, exec_lo
	s_waitcnt lgkmcnt(0)
	v_cmpx_gt_i32_e64 s14, v16
	s_cbranch_execz .LBB103_41
; %bb.1:
	s_clause 0x1
	s_load_b128 s[4:7], s[0:1], 0x0
	s_load_b64 s[12:13], s[0:1], 0x10
	s_mov_b32 s8, -1
	s_mov_b32 s15, -1
	s_waitcnt lgkmcnt(0)
	s_cmp_eq_u64 s[6:7], 0
	s_cbranch_scc1 .LBB103_3
; %bb.2:
	v_ashrrev_i32_e32 v2, 31, v16
	v_add_co_u32 v1, vcc_lo, s6, v16
	s_delay_alu instid0(VALU_DEP_2) | instskip(SKIP_3) | instid1(VALU_DEP_1)
	v_add_co_ci_u32_e32 v2, vcc_lo, s7, v2, vcc_lo
	global_load_u8 v1, v[1:2], off
	s_waitcnt vmcnt(0)
	v_and_b32_e32 v1, 1, v1
	v_cmp_eq_u32_e32 vcc_lo, 1, v1
	s_xor_b32 s2, vcc_lo, -1
	s_delay_alu instid0(SALU_CYCLE_1)
	s_or_not1_b32 s15, s2, exec_lo
.LBB103_3:
	v_lshlrev_b32_e32 v1, 8, v16
	v_and_b32_e32 v17, 31, v0
	v_mbcnt_lo_u32_b32 v6, -1, 0
	s_load_b64 s[2:3], s[0:1], 0x40
	s_delay_alu instid0(VALU_DEP_3) | instskip(NEXT) | instid1(VALU_DEP_2)
	v_ashrrev_i32_e32 v2, 31, v1
	v_xor_b32_e32 v11, 8, v6
	v_xor_b32_e32 v9, 16, v6
	s_delay_alu instid0(VALU_DEP_3) | instskip(SKIP_1) | instid1(VALU_DEP_2)
	v_lshlrev_b64 v[0:1], 1, v[1:2]
	v_lshlrev_b32_e32 v2, 4, v17
	v_add_co_u32 v0, vcc_lo, s4, v0
	s_delay_alu instid0(VALU_DEP_3) | instskip(NEXT) | instid1(VALU_DEP_2)
	v_add_co_ci_u32_e32 v1, vcc_lo, s5, v1, vcc_lo
	v_add_co_u32 v0, vcc_lo, v0, v2
	s_delay_alu instid0(VALU_DEP_2)
	v_add_co_ci_u32_e32 v1, vcc_lo, 0, v1, vcc_lo
	v_cmp_gt_i32_e32 vcc_lo, 32, v9
	s_waitcnt lgkmcnt(0)
	s_cmp_eq_u64 s[2:3], 0
	global_load_b128 v[0:3], v[0:1], off
	v_cndmask_b32_e32 v9, v6, v9, vcc_lo
	v_cmp_gt_i32_e32 vcc_lo, 32, v11
	v_cndmask_b32_e32 v11, v6, v11, vcc_lo
	s_delay_alu instid0(VALU_DEP_1) | instskip(SKIP_1) | instid1(VALU_DEP_1)
	v_lshlrev_b32_e32 v19, 2, v11
	v_xor_b32_e32 v11, 4, v6
	v_cmp_gt_i32_e32 vcc_lo, 32, v11
	v_dual_cndmask_b32 v11, v6, v11 :: v_dual_lshlrev_b32 v18, 2, v9
	s_delay_alu instid0(VALU_DEP_1) | instskip(SKIP_1) | instid1(VALU_DEP_1)
	v_lshlrev_b32_e32 v20, 2, v11
	v_xor_b32_e32 v11, 2, v6
	v_cmp_gt_i32_e32 vcc_lo, 32, v11
	v_cndmask_b32_e32 v11, v6, v11, vcc_lo
	s_delay_alu instid0(VALU_DEP_1) | instskip(SKIP_1) | instid1(VALU_DEP_1)
	v_lshlrev_b32_e32 v21, 2, v11
	v_xor_b32_e32 v11, 1, v6
	v_cmp_gt_i32_e32 vcc_lo, 32, v11
	v_cndmask_b32_e32 v6, v6, v11, vcc_lo
	s_delay_alu instid0(VALU_DEP_1)
	v_lshlrev_b32_e32 v22, 2, v6
	s_waitcnt vmcnt(0)
	v_lshrrev_b32_e32 v4, 16, v0
	v_cvt_f32_f16_e32 v0, v0
	v_lshrrev_b32_e32 v5, 16, v1
	v_cvt_f32_f16_e32 v1, v1
	;; [unrolled: 2-line block ×3, first 2 shown]
	v_cvt_f32_f16_e32 v2, v2
	v_cvt_f32_f16_e32 v5, v5
	v_lshrrev_b32_e32 v10, 16, v3
	v_cvt_f32_f16_e32 v7, v7
	v_max_f32_e32 v8, v0, v4
	v_cvt_f32_f16_e32 v3, v3
	s_delay_alu instid0(VALU_DEP_4) | instskip(NEXT) | instid1(VALU_DEP_3)
	v_cvt_f32_f16_e32 v10, v10
	v_max3_f32 v8, v8, v1, v5
	s_delay_alu instid0(VALU_DEP_1) | instskip(NEXT) | instid1(VALU_DEP_1)
	v_max3_f32 v8, v8, v2, v7
	v_max3_f32 v8, v8, v3, v10
	ds_bpermute_b32 v9, v18, v8
	s_waitcnt lgkmcnt(0)
	v_max_f32_e32 v9, v9, v9
	s_delay_alu instid0(VALU_DEP_1) | instskip(SKIP_3) | instid1(VALU_DEP_1)
	v_max_f32_e32 v8, v8, v9
	ds_bpermute_b32 v9, v19, v8
	s_waitcnt lgkmcnt(0)
	v_max_f32_e32 v9, v9, v9
	v_max_f32_e32 v8, v8, v9
	ds_bpermute_b32 v9, v20, v8
	s_waitcnt lgkmcnt(0)
	v_max_f32_e32 v9, v9, v9
	s_delay_alu instid0(VALU_DEP_1) | instskip(SKIP_3) | instid1(VALU_DEP_1)
	v_max_f32_e32 v8, v8, v9
	ds_bpermute_b32 v9, v21, v8
	s_waitcnt lgkmcnt(0)
	v_max_f32_e32 v9, v9, v9
	v_max_f32_e32 v6, v8, v9
	ds_bpermute_b32 v8, v22, v6
	s_waitcnt lgkmcnt(0)
	v_max_f32_e32 v8, v8, v8
	s_delay_alu instid0(VALU_DEP_1) | instskip(NEXT) | instid1(VALU_DEP_1)
	v_max_f32_e32 v6, v6, v8
	v_sub_f32_e32 v5, v5, v6
	s_delay_alu instid0(VALU_DEP_1) | instskip(NEXT) | instid1(VALU_DEP_1)
	v_dual_sub_f32 v4, v4, v6 :: v_dual_mul_f32 v11, 0x3fb8aa3b, v5
	v_dual_sub_f32 v0, v0, v6 :: v_dual_mul_f32 v9, 0x3fb8aa3b, v4
	v_sub_f32_e32 v1, v1, v6
	s_delay_alu instid0(VALU_DEP_3) | instskip(NEXT) | instid1(VALU_DEP_3)
	v_rndne_f32_e32 v30, v11
	v_mul_f32_e32 v8, 0x3fb8aa3b, v0
	s_delay_alu instid0(VALU_DEP_4) | instskip(SKIP_2) | instid1(VALU_DEP_4)
	v_fma_f32 v25, 0x3fb8aa3b, v4, -v9
	v_rndne_f32_e32 v26, v9
	v_cmp_ngt_f32_e32 vcc_lo, 0xc2ce8ed0, v0
	v_fma_f32 v23, 0x3fb8aa3b, v0, -v8
	v_rndne_f32_e32 v24, v8
	v_sub_f32_e32 v3, v3, v6
	v_sub_f32_e32 v9, v9, v26
	v_cvt_i32_f32_e32 v26, v26
	v_fmac_f32_e32 v23, 0x32a5705f, v0
	v_dual_sub_f32 v8, v8, v24 :: v_dual_sub_f32 v7, v7, v6
	v_mul_f32_e32 v14, 0x3fb8aa3b, v3
	v_sub_f32_e32 v2, v2, v6
	v_sub_f32_e32 v6, v10, v6
	v_mul_f32_e32 v10, 0x3fb8aa3b, v1
	v_dual_fmac_f32 v25, 0x32a5705f, v4 :: v_dual_add_f32 v8, v8, v23
	s_delay_alu instid0(VALU_DEP_4) | instskip(NEXT) | instid1(VALU_DEP_3)
	v_dual_mul_f32 v13, 0x3fb8aa3b, v7 :: v_dual_mul_f32 v12, 0x3fb8aa3b, v2
	v_fma_f32 v27, 0x3fb8aa3b, v1, -v10
	s_delay_alu instid0(VALU_DEP_3) | instskip(SKIP_4) | instid1(VALU_DEP_4)
	v_add_f32_e32 v9, v9, v25
	v_rndne_f32_e32 v28, v10
	v_mul_f32_e32 v15, 0x3fb8aa3b, v6
	v_fma_f32 v29, 0x3fb8aa3b, v5, -v11
	v_rndne_f32_e32 v36, v14
	v_dual_fmac_f32 v27, 0x32a5705f, v1 :: v_dual_sub_f32 v10, v10, v28
	v_exp_f32_e32 v8, v8
	v_fma_f32 v35, 0x3fb8aa3b, v3, -v14
	s_delay_alu instid0(VALU_DEP_3)
	v_sub_f32_e32 v14, v14, v36
	v_cvt_i32_f32_e32 v24, v24
	v_dual_fmac_f32 v29, 0x32a5705f, v5 :: v_dual_add_f32 v10, v10, v27
	v_exp_f32_e32 v9, v9
	v_fma_f32 v33, 0x3fb8aa3b, v7, -v13
	v_cvt_i32_f32_e32 v28, v28
	v_fma_f32 v31, 0x3fb8aa3b, v2, -v12
	v_exp_f32_e32 v10, v10
	v_ldexp_f32 v8, v8, v24
	v_fmac_f32_e32 v33, 0x32a5705f, v7
	v_rndne_f32_e32 v32, v12
	v_rndne_f32_e32 v34, v13
	;; [unrolled: 1-line block ×3, first 2 shown]
	v_cndmask_b32_e32 v8, 0, v8, vcc_lo
	v_ldexp_f32 v9, v9, v26
	v_cmp_ngt_f32_e32 vcc_lo, 0xc2ce8ed0, v4
	v_sub_f32_e32 v12, v12, v32
	v_ldexp_f32 v10, v10, v28
	v_cvt_i32_f32_e32 v32, v32
	v_fma_f32 v37, 0x3fb8aa3b, v6, -v15
	v_cndmask_b32_e32 v9, 0, v9, vcc_lo
	v_cmp_ngt_f32_e32 vcc_lo, 0xc2ce8ed0, v1
	v_fmac_f32_e32 v35, 0x32a5705f, v3
	v_cvt_i32_f32_e32 v23, v36
	v_cvt_i32_f32_e32 v25, v38
	v_cndmask_b32_e32 v10, 0, v10, vcc_lo
	s_delay_alu instid0(VALU_DEP_4) | instskip(SKIP_3) | instid1(VALU_DEP_4)
	v_dual_fmac_f32 v31, 0x32a5705f, v2 :: v_dual_add_f32 v14, v14, v35
	v_sub_f32_e32 v11, v11, v30
	v_cmp_nlt_f32_e32 vcc_lo, 0x42b17218, v0
	v_cvt_i32_f32_e32 v30, v30
	v_dual_add_f32 v12, v12, v31 :: v_dual_sub_f32 v13, v13, v34
	v_cvt_i32_f32_e32 v34, v34
	v_cndmask_b32_e32 v0, 0x7f800000, v8, vcc_lo
	v_cmp_nlt_f32_e32 vcc_lo, 0x42b17218, v4
	s_delay_alu instid0(VALU_DEP_4) | instskip(SKIP_4) | instid1(VALU_DEP_2)
	v_exp_f32_e32 v12, v12
	v_sub_f32_e32 v15, v15, v38
	v_exp_f32_e32 v14, v14
	v_cndmask_b32_e32 v4, 0x7f800000, v9, vcc_lo
	v_cmp_ngt_f32_e32 vcc_lo, 0xc2ce8ed0, v5
	v_add_f32_e32 v9, v0, v4
	s_waitcnt_depctr 0xfff
	v_ldexp_f32 v12, v12, v32
	v_add_f32_e32 v11, v11, v29
	v_ldexp_f32 v14, v14, v23
	s_delay_alu instid0(VALU_DEP_2) | instskip(SKIP_2) | instid1(VALU_DEP_1)
	v_exp_f32_e32 v11, v11
	s_waitcnt_depctr 0xfff
	v_ldexp_f32 v11, v11, v30
	v_dual_fmac_f32 v37, 0x32a5705f, v6 :: v_dual_cndmask_b32 v8, 0, v11
	v_cmp_nlt_f32_e32 vcc_lo, 0x42b17218, v1
	v_cndmask_b32_e32 v1, 0x7f800000, v10, vcc_lo
	v_cmp_ngt_f32_e32 vcc_lo, 0xc2ce8ed0, v2
	v_dual_cndmask_b32 v10, 0, v12 :: v_dual_add_f32 v13, v13, v33
	v_cmp_nlt_f32_e32 vcc_lo, 0x42b17218, v5
	s_delay_alu instid0(VALU_DEP_2) | instskip(SKIP_2) | instid1(VALU_DEP_2)
	v_exp_f32_e32 v13, v13
	v_dual_cndmask_b32 v5, 0x7f800000, v8 :: v_dual_add_f32 v8, v9, v1
	v_cmp_ngt_f32_e32 vcc_lo, 0xc2ce8ed0, v7
	v_add_f32_e32 v8, v8, v5
	s_waitcnt_depctr 0xfff
	v_ldexp_f32 v13, v13, v34
	s_delay_alu instid0(VALU_DEP_1) | instskip(SKIP_3) | instid1(VALU_DEP_2)
	v_cndmask_b32_e32 v9, 0, v13, vcc_lo
	v_cmp_nlt_f32_e32 vcc_lo, 0x42b17218, v2
	v_cndmask_b32_e32 v2, 0x7f800000, v10, vcc_lo
	v_cmp_ngt_f32_e32 vcc_lo, 0xc2ce8ed0, v3
	v_dual_add_f32 v15, v15, v37 :: v_dual_add_f32 v8, v8, v2
	v_cndmask_b32_e32 v10, 0, v14, vcc_lo
	s_delay_alu instid0(VALU_DEP_2)
	v_exp_f32_e32 v15, v15
	v_cmp_nlt_f32_e32 vcc_lo, 0x42b17218, v7
	v_cndmask_b32_e32 v7, 0x7f800000, v9, vcc_lo
	v_cmp_ngt_f32_e32 vcc_lo, 0xc2ce8ed0, v6
	s_waitcnt_depctr 0xfff
	v_ldexp_f32 v15, v15, v25
	v_add_f32_e32 v8, v8, v7
	s_delay_alu instid0(VALU_DEP_2) | instskip(SKIP_3) | instid1(VALU_DEP_2)
	v_cndmask_b32_e32 v9, 0, v15, vcc_lo
	v_cmp_nlt_f32_e32 vcc_lo, 0x42b17218, v3
	v_cndmask_b32_e32 v3, 0x7f800000, v10, vcc_lo
	v_cmp_nlt_f32_e32 vcc_lo, 0x42b17218, v6
	v_add_f32_e32 v8, v8, v3
	v_cndmask_b32_e32 v6, 0x7f800000, v9, vcc_lo
	s_delay_alu instid0(VALU_DEP_1)
	v_add_f32_e32 v8, v8, v6
	ds_bpermute_b32 v9, v18, v8
	s_waitcnt lgkmcnt(0)
	v_add_f32_e32 v8, v8, v9
	ds_bpermute_b32 v9, v19, v8
	s_waitcnt lgkmcnt(0)
	;; [unrolled: 3-line block ×5, first 2 shown]
	v_add_f32_e32 v8, v8, v9
	s_delay_alu instid0(VALU_DEP_1) | instskip(SKIP_1) | instid1(VALU_DEP_2)
	v_div_scale_f32 v9, null, v8, v8, 1.0
	v_div_scale_f32 v12, vcc_lo, 1.0, v8, 1.0
	v_rcp_f32_e32 v10, v9
	s_waitcnt_depctr 0xfff
	v_fma_f32 v11, -v9, v10, 1.0
	s_delay_alu instid0(VALU_DEP_1) | instskip(NEXT) | instid1(VALU_DEP_1)
	v_fmac_f32_e32 v10, v11, v10
	v_mul_f32_e32 v11, v12, v10
	s_delay_alu instid0(VALU_DEP_1) | instskip(NEXT) | instid1(VALU_DEP_1)
	v_fma_f32 v13, -v9, v11, v12
	v_fmac_f32_e32 v11, v13, v10
	s_delay_alu instid0(VALU_DEP_1) | instskip(NEXT) | instid1(VALU_DEP_1)
	v_fma_f32 v9, -v9, v11, v12
	v_div_fmas_f32 v9, v9, v10, v11
	s_delay_alu instid0(VALU_DEP_1) | instskip(NEXT) | instid1(VALU_DEP_1)
	v_div_fixup_f32 v8, v9, v8, 1.0
	v_dual_mul_f32 v0, v8, v0 :: v_dual_lshlrev_b32 v23, 3, v17
	v_mul_f32_e32 v10, v8, v2
	v_mul_f32_e32 v5, v8, v5
	;; [unrolled: 1-line block ×4, first 2 shown]
	v_cmp_class_f32_e64 vcc_lo, v0, 0x1f8
	v_dual_mul_f32 v9, v8, v1 :: v_dual_cndmask_b32 v0, 0, v0
	s_delay_alu instid0(VALU_DEP_4) | instskip(SKIP_1) | instid1(VALU_DEP_3)
	v_cmp_class_f32_e64 vcc_lo, v4, 0x1f8
	v_cndmask_b32_e32 v1, 0, v4, vcc_lo
	v_cmp_class_f32_e64 vcc_lo, v9, 0x1f8
	v_mul_f32_e32 v7, v8, v7
	v_mul_f32_e32 v8, v8, v6
	v_cndmask_b32_e32 v2, 0, v9, vcc_lo
	v_cmp_class_f32_e64 vcc_lo, v5, 0x1f8
	v_cndmask_b32_e32 v3, 0, v5, vcc_lo
	v_cmp_class_f32_e64 vcc_lo, v10, 0x1f8
	;; [unrolled: 2-line block ×5, first 2 shown]
	v_cndmask_b32_e32 v7, 0, v8, vcc_lo
	s_cbranch_scc1 .LBB103_35
; %bb.4:
	v_lshlrev_b32_e32 v12, 2, v23
	s_clause 0x1
	global_load_b128 v[8:11], v12, s[2:3]
	global_load_b128 v[12:15], v12, s[2:3] offset:16
	s_waitcnt vmcnt(1)
	v_dual_add_f32 v9, v9, v1 :: v_dual_add_f32 v8, v8, v0
	v_dual_add_f32 v11, v11, v3 :: v_dual_add_f32 v10, v10, v2
	s_waitcnt vmcnt(0)
	v_dual_add_f32 v13, v13, v5 :: v_dual_add_f32 v12, v12, v4
	v_dual_add_f32 v15, v15, v7 :: v_dual_add_f32 v14, v14, v6
	s_cbranch_execnz .LBB103_6
.LBB103_5:
	v_dual_mov_b32 v15, v7 :: v_dual_mov_b32 v14, v6
	v_dual_mov_b32 v13, v5 :: v_dual_mov_b32 v12, v4
	;; [unrolled: 1-line block ×4, first 2 shown]
.LBB103_6:
	s_load_b128 s[4:7], s[0:1], 0x30
	v_cmp_eq_u32_e64 s2, 0, v17
	s_waitcnt lgkmcnt(0)
	s_bitcmp1_b32 s7, 0
	s_mov_b32 s7, 0
	s_cselect_b32 vcc_lo, -1, 0
	s_cmp_gt_i32 s4, 0
	s_cselect_b32 s3, -1, 0
	s_cmp_lt_i32 s4, 1
	s_cbranch_scc1 .LBB103_36
; %bb.7:
	s_load_b128 s[8:11], s[0:1], 0x20
	v_mul_lo_u32 v25, v16, s4
	v_mov_b32_e32 v24, 0
	v_mov_b32_e32 v26, v16
	s_branch .LBB103_10
.LBB103_8:                              ;   in Loop: Header=BB103_10 Depth=1
	s_or_b32 exec_lo, exec_lo, s1
.LBB103_9:                              ;   in Loop: Header=BB103_10 Depth=1
	v_add_nc_u32_e32 v26, s14, v26
	s_cmp_eq_u32 s4, s7
	s_cbranch_scc1 .LBB103_37
.LBB103_10:                             ; =>This Inner Loop Header: Depth=1
	v_cmp_gt_f32_e64 s0, v9, v8
	s_mov_b32 s17, exec_lo
	s_delay_alu instid0(VALU_DEP_1) | instskip(SKIP_2) | instid1(VALU_DEP_3)
	v_cndmask_b32_e64 v27, v8, v9, s0
	v_cndmask_b32_e64 v28, 0, 1, s0
	;; [unrolled: 1-line block ×3, first 2 shown]
	v_cmp_gt_f32_e64 s1, v10, v27
	s_delay_alu instid0(VALU_DEP_1) | instskip(NEXT) | instid1(VALU_DEP_4)
	v_cndmask_b32_e64 v27, v27, v10, s1
	v_cndmask_b32_e64 v28, v28, 2, s1
	s_delay_alu instid0(VALU_DEP_4) | instskip(NEXT) | instid1(VALU_DEP_3)
	v_cndmask_b32_e64 v29, v29, v2, s1
	v_cmp_gt_f32_e64 s0, v11, v27
	s_delay_alu instid0(VALU_DEP_1) | instskip(NEXT) | instid1(VALU_DEP_4)
	v_cndmask_b32_e64 v27, v27, v11, s0
	v_cndmask_b32_e64 v28, v28, 3, s0
	s_delay_alu instid0(VALU_DEP_4) | instskip(NEXT) | instid1(VALU_DEP_3)
	v_cndmask_b32_e64 v29, v29, v3, s0
	;; [unrolled: 6-line block ×4, first 2 shown]
	v_cmp_gt_f32_e64 s1, v14, v27
	s_delay_alu instid0(VALU_DEP_1) | instskip(NEXT) | instid1(VALU_DEP_4)
	v_cndmask_b32_e64 v27, v27, v14, s1
	v_cndmask_b32_e64 v28, v28, 6, s1
	s_waitcnt lgkmcnt(0)
	v_cndmask_b32_e64 v30, v29, v6, s1
	s_delay_alu instid0(VALU_DEP_3) | instskip(NEXT) | instid1(VALU_DEP_1)
	v_cmp_gt_f32_e64 s0, v15, v27
	v_cndmask_b32_e64 v29, v27, v15, s0
	v_cndmask_b32_e64 v27, v28, 7, s0
	s_delay_alu instid0(VALU_DEP_4)
	v_cndmask_b32_e64 v28, v30, v7, s0
	ds_bpermute_b32 v30, v18, v29
	v_or_b32_e32 v27, v23, v27
	ds_bpermute_b32 v32, v18, v28
	ds_bpermute_b32 v31, v18, v27
	s_waitcnt lgkmcnt(0)
	v_cmp_lt_f32_e64 s16, v29, v30
	v_cmpx_nlt_f32_e32 v29, v30
; %bb.11:                               ;   in Loop: Header=BB103_10 Depth=1
	v_cmp_eq_f32_e64 s0, v29, v30
	v_cmp_lt_i32_e64 s1, v31, v27
	s_delay_alu instid0(VALU_DEP_1) | instskip(SKIP_2) | instid1(SALU_CYCLE_1)
	s_and_b32 s0, s0, s1
	s_and_not1_b32 s1, s16, exec_lo
	s_and_b32 s0, s0, exec_lo
	s_or_b32 s16, s1, s0
; %bb.12:                               ;   in Loop: Header=BB103_10 Depth=1
	s_or_b32 exec_lo, exec_lo, s17
	s_and_saveexec_b32 s0, s16
; %bb.13:                               ;   in Loop: Header=BB103_10 Depth=1
	v_dual_mov_b32 v28, v32 :: v_dual_mov_b32 v29, v30
	v_mov_b32_e32 v27, v31
; %bb.14:                               ;   in Loop: Header=BB103_10 Depth=1
	s_or_b32 exec_lo, exec_lo, s0
	ds_bpermute_b32 v31, v19, v29
	ds_bpermute_b32 v32, v19, v28
	;; [unrolled: 1-line block ×3, first 2 shown]
	s_mov_b32 s17, exec_lo
	s_waitcnt lgkmcnt(2)
	v_cmp_lt_f32_e64 s16, v29, v31
	v_cmpx_nlt_f32_e32 v29, v31
	s_cbranch_execz .LBB103_16
; %bb.15:                               ;   in Loop: Header=BB103_10 Depth=1
	v_cmp_eq_f32_e64 s0, v29, v31
	s_waitcnt lgkmcnt(0)
	v_cmp_lt_i32_e64 s1, v30, v27
	s_delay_alu instid0(VALU_DEP_1) | instskip(SKIP_2) | instid1(SALU_CYCLE_1)
	s_and_b32 s0, s0, s1
	s_and_not1_b32 s1, s16, exec_lo
	s_and_b32 s0, s0, exec_lo
	s_or_b32 s16, s1, s0
.LBB103_16:                             ;   in Loop: Header=BB103_10 Depth=1
	s_or_b32 exec_lo, exec_lo, s17
	s_delay_alu instid0(VALU_DEP_2)
	s_and_saveexec_b32 s0, s16
	s_cbranch_execz .LBB103_18
; %bb.17:                               ;   in Loop: Header=BB103_10 Depth=1
	s_waitcnt lgkmcnt(1)
	v_dual_mov_b32 v28, v32 :: v_dual_mov_b32 v29, v31
	s_waitcnt lgkmcnt(0)
	v_mov_b32_e32 v27, v30
.LBB103_18:                             ;   in Loop: Header=BB103_10 Depth=1
	s_or_b32 exec_lo, exec_lo, s0
	ds_bpermute_b32 v31, v20, v29
	s_waitcnt lgkmcnt(2)
	ds_bpermute_b32 v32, v20, v28
	s_waitcnt lgkmcnt(2)
	ds_bpermute_b32 v30, v20, v27
	s_mov_b32 s17, exec_lo
	s_waitcnt lgkmcnt(2)
	v_cmp_lt_f32_e64 s16, v29, v31
	v_cmpx_nlt_f32_e32 v29, v31
	s_cbranch_execz .LBB103_20
; %bb.19:                               ;   in Loop: Header=BB103_10 Depth=1
	v_cmp_eq_f32_e64 s0, v29, v31
	s_waitcnt lgkmcnt(0)
	v_cmp_lt_i32_e64 s1, v30, v27
	s_delay_alu instid0(VALU_DEP_1) | instskip(SKIP_2) | instid1(SALU_CYCLE_1)
	s_and_b32 s0, s0, s1
	s_and_not1_b32 s1, s16, exec_lo
	s_and_b32 s0, s0, exec_lo
	s_or_b32 s16, s1, s0
.LBB103_20:                             ;   in Loop: Header=BB103_10 Depth=1
	s_or_b32 exec_lo, exec_lo, s17
	s_delay_alu instid0(VALU_DEP_2)
	s_and_saveexec_b32 s0, s16
	s_cbranch_execz .LBB103_22
; %bb.21:                               ;   in Loop: Header=BB103_10 Depth=1
	s_waitcnt lgkmcnt(1)
	v_dual_mov_b32 v28, v32 :: v_dual_mov_b32 v29, v31
	s_waitcnt lgkmcnt(0)
	v_mov_b32_e32 v27, v30
.LBB103_22:                             ;   in Loop: Header=BB103_10 Depth=1
	s_or_b32 exec_lo, exec_lo, s0
	ds_bpermute_b32 v31, v21, v29
	s_waitcnt lgkmcnt(2)
	ds_bpermute_b32 v32, v21, v28
	s_waitcnt lgkmcnt(2)
	ds_bpermute_b32 v30, v21, v27
	s_mov_b32 s17, exec_lo
	s_waitcnt lgkmcnt(2)
	v_cmp_lt_f32_e64 s16, v29, v31
	v_cmpx_nlt_f32_e32 v29, v31
	s_cbranch_execz .LBB103_24
; %bb.23:                               ;   in Loop: Header=BB103_10 Depth=1
	v_cmp_eq_f32_e64 s0, v29, v31
	s_waitcnt lgkmcnt(0)
	v_cmp_lt_i32_e64 s1, v30, v27
	s_delay_alu instid0(VALU_DEP_1) | instskip(SKIP_2) | instid1(SALU_CYCLE_1)
	s_and_b32 s0, s0, s1
	s_and_not1_b32 s1, s16, exec_lo
	s_and_b32 s0, s0, exec_lo
	s_or_b32 s16, s1, s0
.LBB103_24:                             ;   in Loop: Header=BB103_10 Depth=1
	s_or_b32 exec_lo, exec_lo, s17
	s_delay_alu instid0(VALU_DEP_2)
	s_and_saveexec_b32 s0, s16
	s_cbranch_execz .LBB103_26
; %bb.25:                               ;   in Loop: Header=BB103_10 Depth=1
	s_waitcnt lgkmcnt(1)
	v_dual_mov_b32 v28, v32 :: v_dual_mov_b32 v29, v31
	s_waitcnt lgkmcnt(0)
	v_mov_b32_e32 v27, v30
.LBB103_26:                             ;   in Loop: Header=BB103_10 Depth=1
	s_or_b32 exec_lo, exec_lo, s0
	s_waitcnt lgkmcnt(1)
	ds_bpermute_b32 v32, v22, v29
	ds_bpermute_b32 v31, v22, v28
	s_waitcnt lgkmcnt(2)
	ds_bpermute_b32 v30, v22, v27
	s_mov_b32 s17, exec_lo
	s_waitcnt lgkmcnt(2)
	v_cmp_lt_f32_e64 s16, v29, v32
	v_cmpx_nlt_f32_e32 v29, v32
	s_cbranch_execnz .LBB103_30
; %bb.27:                               ;   in Loop: Header=BB103_10 Depth=1
	s_or_b32 exec_lo, exec_lo, s17
	s_delay_alu instid0(VALU_DEP_2)
	s_and_saveexec_b32 s0, s16
	s_cbranch_execnz .LBB103_31
.LBB103_28:                             ;   in Loop: Header=BB103_10 Depth=1
	s_or_b32 exec_lo, exec_lo, s0
	s_and_saveexec_b32 s16, s2
	s_cbranch_execnz .LBB103_32
.LBB103_29:                             ;   in Loop: Header=BB103_10 Depth=1
	s_or_b32 exec_lo, exec_lo, s16
	s_add_i32 s7, s7, 1
	s_delay_alu instid0(SALU_CYCLE_1)
	s_cmp_ge_i32 s7, s4
	s_cbranch_scc1 .LBB103_9
	s_branch .LBB103_33
.LBB103_30:                             ;   in Loop: Header=BB103_10 Depth=1
	v_cmp_eq_f32_e64 s0, v29, v32
	s_waitcnt lgkmcnt(0)
	v_cmp_lt_i32_e64 s1, v30, v27
	s_delay_alu instid0(VALU_DEP_1) | instskip(SKIP_2) | instid1(SALU_CYCLE_1)
	s_and_b32 s0, s0, s1
	s_and_not1_b32 s1, s16, exec_lo
	s_and_b32 s0, s0, exec_lo
	s_or_b32 s16, s1, s0
	s_or_b32 exec_lo, exec_lo, s17
	s_and_saveexec_b32 s0, s16
	s_cbranch_execz .LBB103_28
.LBB103_31:                             ;   in Loop: Header=BB103_10 Depth=1
	s_waitcnt lgkmcnt(0)
	v_dual_mov_b32 v28, v31 :: v_dual_mov_b32 v27, v30
	s_or_b32 exec_lo, exec_lo, s0
	s_and_saveexec_b32 s16, s2
	s_cbranch_execz .LBB103_29
.LBB103_32:                             ;   in Loop: Header=BB103_10 Depth=1
	s_delay_alu instid0(VALU_DEP_1)
	v_dual_add_f32 v36, v24, v28 :: v_dual_add_nc_u32 v29, s7, v25
	v_cmp_le_i32_e64 s0, s5, v27
	v_cmp_gt_i32_e64 s1, s6, v27
	s_waitcnt lgkmcnt(1)
	v_subrev_nc_u32_e32 v31, s5, v27
	s_waitcnt lgkmcnt(0)
	v_ashrrev_i32_e32 v30, 31, v29
	v_cndmask_b32_e32 v24, v24, v36, vcc_lo
	s_and_b32 s0, s0, s1
	s_delay_alu instid0(SALU_CYCLE_1) | instskip(NEXT) | instid1(VALU_DEP_2)
	s_and_b32 s0, s15, s0
	v_lshlrev_b64 v[29:30], 2, v[29:30]
	v_cndmask_b32_e64 v35, 0x100, v31, s0
	s_delay_alu instid0(VALU_DEP_2) | instskip(NEXT) | instid1(VALU_DEP_1)
	v_add_co_u32 v31, s0, s12, v29
	v_add_co_ci_u32_e64 v32, s0, s13, v30, s0
	v_add_co_u32 v33, s0, s8, v29
	s_delay_alu instid0(VALU_DEP_1) | instskip(SKIP_1) | instid1(VALU_DEP_1)
	v_add_co_ci_u32_e64 v34, s0, s9, v30, s0
	v_add_co_u32 v29, s0, s10, v29
	v_add_co_ci_u32_e64 v30, s0, s11, v30, s0
	global_store_b32 v[31:32], v28, off
	global_store_b32 v[33:34], v35, off
	;; [unrolled: 1-line block ×3, first 2 shown]
	s_or_b32 exec_lo, exec_lo, s16
	s_add_i32 s7, s7, 1
	s_delay_alu instid0(SALU_CYCLE_1)
	s_cmp_ge_i32 s7, s4
	s_cbranch_scc1 .LBB103_9
.LBB103_33:                             ;   in Loop: Header=BB103_10 Depth=1
	v_ashrrev_i32_e32 v28, 31, v27
	s_mov_b32 s1, exec_lo
	s_delay_alu instid0(VALU_DEP_1) | instskip(NEXT) | instid1(VALU_DEP_1)
	v_lshrrev_b32_e32 v29, 29, v28
	v_add_nc_u32_e32 v29, v27, v29
	s_waitcnt lgkmcnt(0)
	s_delay_alu instid0(VALU_DEP_1) | instskip(SKIP_1) | instid1(VALU_DEP_2)
	v_ashrrev_i32_e32 v30, 31, v29
	v_ashrrev_i32_e32 v29, 3, v29
	v_lshrrev_b32_e32 v30, 27, v30
	s_delay_alu instid0(VALU_DEP_1) | instskip(NEXT) | instid1(VALU_DEP_1)
	v_add_nc_u32_e32 v30, v29, v30
	v_and_b32_e32 v30, 0xffffffe0, v30
	s_delay_alu instid0(VALU_DEP_1) | instskip(NEXT) | instid1(VALU_DEP_1)
	v_sub_nc_u32_e32 v30, v29, v30
	v_cmpx_eq_u32_e64 v17, v30
	s_cbranch_execz .LBB103_8
; %bb.34:                               ;   in Loop: Header=BB103_10 Depth=1
	v_lshrrev_b32_e32 v28, 24, v28
	v_lshlrev_b32_e32 v29, 3, v29
	s_delay_alu instid0(VALU_DEP_2) | instskip(NEXT) | instid1(VALU_DEP_2)
	v_add_nc_u32_e32 v28, v27, v28
	v_sub_nc_u32_e32 v27, v27, v29
	s_delay_alu instid0(VALU_DEP_2) | instskip(NEXT) | instid1(VALU_DEP_1)
	v_ashrrev_i32_e32 v28, 8, v28
	v_lshl_add_u32 v27, v28, 3, v27
	s_delay_alu instid0(VALU_DEP_1) | instskip(NEXT) | instid1(VALU_DEP_1)
	v_cmp_ne_u32_e64 s0, 7, v27
	v_cndmask_b32_e64 v15, 0xc61c4000, v15, s0
	v_cmp_ne_u32_e64 s0, 6, v27
	s_delay_alu instid0(VALU_DEP_1) | instskip(SKIP_1) | instid1(VALU_DEP_1)
	v_cndmask_b32_e64 v14, 0xc61c4000, v14, s0
	v_cmp_ne_u32_e64 s0, 5, v27
	v_cndmask_b32_e64 v13, 0xc61c4000, v13, s0
	v_cmp_ne_u32_e64 s0, 4, v27
	s_delay_alu instid0(VALU_DEP_1) | instskip(SKIP_1) | instid1(VALU_DEP_1)
	v_cndmask_b32_e64 v12, 0xc61c4000, v12, s0
	;; [unrolled: 5-line block ×3, first 2 shown]
	v_cmp_ne_u32_e64 s0, 1, v27
	v_cndmask_b32_e64 v9, 0xc61c4000, v9, s0
	v_cmp_ne_u32_e64 s0, 0, v27
	s_delay_alu instid0(VALU_DEP_1)
	v_cndmask_b32_e64 v8, 0xc61c4000, v8, s0
	s_branch .LBB103_8
.LBB103_35:
                                        ; implicit-def: $vgpr8_vgpr9_vgpr10_vgpr11_vgpr12_vgpr13_vgpr14_vgpr15
	s_and_not1_b32 vcc_lo, exec_lo, s8
	s_cbranch_vccz .LBB103_5
	s_branch .LBB103_6
.LBB103_36:
	v_mov_b32_e32 v24, 0
.LBB103_37:
	v_cmp_eq_u32_e64 s0, 0, v17
	s_delay_alu instid0(VALU_DEP_1) | instskip(NEXT) | instid1(SALU_CYCLE_1)
	s_and_b32 s0, s0, vcc_lo
	s_and_b32 exec_lo, exec_lo, s0
	s_cbranch_execz .LBB103_41
; %bb.38:
	s_and_not1_b32 vcc_lo, exec_lo, s3
	s_cbranch_vccnz .LBB103_41
; %bb.39:
	v_mul_lo_u32 v0, v16, s4
	v_cmp_lt_f32_e32 vcc_lo, 0, v24
	v_cndmask_b32_e32 v2, 1.0, v24, vcc_lo
	s_delay_alu instid0(VALU_DEP_3) | instskip(NEXT) | instid1(VALU_DEP_1)
	v_ashrrev_i32_e32 v1, 31, v0
	v_lshlrev_b64 v[0:1], 2, v[0:1]
	s_delay_alu instid0(VALU_DEP_1) | instskip(NEXT) | instid1(VALU_DEP_2)
	v_add_co_u32 v0, vcc_lo, s12, v0
	v_add_co_ci_u32_e32 v1, vcc_lo, s13, v1, vcc_lo
	.p2align	6
.LBB103_40:                             ; =>This Inner Loop Header: Depth=1
	global_load_b32 v3, v[0:1], off
	s_add_i32 s4, s4, -1
	s_delay_alu instid0(SALU_CYCLE_1) | instskip(SKIP_3) | instid1(VALU_DEP_2)
	s_cmp_lg_u32 s4, 0
	s_waitcnt vmcnt(0)
	v_div_scale_f32 v4, null, v2, v2, v3
	v_div_scale_f32 v7, vcc_lo, v3, v2, v3
	v_rcp_f32_e32 v5, v4
	s_waitcnt_depctr 0xfff
	v_fma_f32 v6, -v4, v5, 1.0
	s_delay_alu instid0(VALU_DEP_1) | instskip(NEXT) | instid1(VALU_DEP_1)
	v_fmac_f32_e32 v5, v6, v5
	v_mul_f32_e32 v6, v7, v5
	s_delay_alu instid0(VALU_DEP_1) | instskip(NEXT) | instid1(VALU_DEP_1)
	v_fma_f32 v8, -v4, v6, v7
	v_fmac_f32_e32 v6, v8, v5
	s_delay_alu instid0(VALU_DEP_1) | instskip(NEXT) | instid1(VALU_DEP_1)
	v_fma_f32 v4, -v4, v6, v7
	v_div_fmas_f32 v4, v4, v5, v6
	s_delay_alu instid0(VALU_DEP_1)
	v_div_fixup_f32 v3, v4, v2, v3
	global_store_b32 v[0:1], v3, off
	v_add_co_u32 v0, vcc_lo, v0, 4
	v_add_co_ci_u32_e32 v1, vcc_lo, 0, v1, vcc_lo
	s_cbranch_scc1 .LBB103_40
.LBB103_41:
	s_nop 0
	s_sendmsg sendmsg(MSG_DEALLOC_VGPRS)
	s_endpgm
	.section	.rodata,"a",@progbits
	.p2align	6, 0x0
	.amdhsa_kernel _ZN4vllm3moe10topkGatingILi8ELi256ELi4ELi16ELi64Ej6__halfLNS0_11ScoringFuncE0EEEvPKT5_PKbPfiPT4_PiiiibPKf
		.amdhsa_group_segment_fixed_size 0
		.amdhsa_private_segment_fixed_size 0
		.amdhsa_kernarg_size 72
		.amdhsa_user_sgpr_count 15
		.amdhsa_user_sgpr_dispatch_ptr 0
		.amdhsa_user_sgpr_queue_ptr 0
		.amdhsa_user_sgpr_kernarg_segment_ptr 1
		.amdhsa_user_sgpr_dispatch_id 0
		.amdhsa_user_sgpr_private_segment_size 0
		.amdhsa_wavefront_size32 1
		.amdhsa_uses_dynamic_stack 0
		.amdhsa_enable_private_segment 0
		.amdhsa_system_sgpr_workgroup_id_x 1
		.amdhsa_system_sgpr_workgroup_id_y 0
		.amdhsa_system_sgpr_workgroup_id_z 0
		.amdhsa_system_sgpr_workgroup_info 0
		.amdhsa_system_vgpr_workitem_id 1
		.amdhsa_next_free_vgpr 39
		.amdhsa_next_free_sgpr 18
		.amdhsa_reserve_vcc 1
		.amdhsa_float_round_mode_32 0
		.amdhsa_float_round_mode_16_64 0
		.amdhsa_float_denorm_mode_32 3
		.amdhsa_float_denorm_mode_16_64 3
		.amdhsa_dx10_clamp 1
		.amdhsa_ieee_mode 1
		.amdhsa_fp16_overflow 0
		.amdhsa_workgroup_processor_mode 1
		.amdhsa_memory_ordered 1
		.amdhsa_forward_progress 0
		.amdhsa_shared_vgpr_count 0
		.amdhsa_exception_fp_ieee_invalid_op 0
		.amdhsa_exception_fp_denorm_src 0
		.amdhsa_exception_fp_ieee_div_zero 0
		.amdhsa_exception_fp_ieee_overflow 0
		.amdhsa_exception_fp_ieee_underflow 0
		.amdhsa_exception_fp_ieee_inexact 0
		.amdhsa_exception_int_div_zero 0
	.end_amdhsa_kernel
	.section	.text._ZN4vllm3moe10topkGatingILi8ELi256ELi4ELi16ELi64Ej6__halfLNS0_11ScoringFuncE0EEEvPKT5_PKbPfiPT4_PiiiibPKf,"axG",@progbits,_ZN4vllm3moe10topkGatingILi8ELi256ELi4ELi16ELi64Ej6__halfLNS0_11ScoringFuncE0EEEvPKT5_PKbPfiPT4_PiiiibPKf,comdat
.Lfunc_end103:
	.size	_ZN4vllm3moe10topkGatingILi8ELi256ELi4ELi16ELi64Ej6__halfLNS0_11ScoringFuncE0EEEvPKT5_PKbPfiPT4_PiiiibPKf, .Lfunc_end103-_ZN4vllm3moe10topkGatingILi8ELi256ELi4ELi16ELi64Ej6__halfLNS0_11ScoringFuncE0EEEvPKT5_PKbPfiPT4_PiiiibPKf
                                        ; -- End function
	.section	.AMDGPU.csdata,"",@progbits
; Kernel info:
; codeLenInByte = 3588
; NumSgprs: 20
; NumVgprs: 39
; ScratchSize: 0
; MemoryBound: 0
; FloatMode: 240
; IeeeMode: 1
; LDSByteSize: 0 bytes/workgroup (compile time only)
; SGPRBlocks: 2
; VGPRBlocks: 4
; NumSGPRsForWavesPerEU: 20
; NumVGPRsForWavesPerEU: 39
; Occupancy: 16
; WaveLimiterHint : 0
; COMPUTE_PGM_RSRC2:SCRATCH_EN: 0
; COMPUTE_PGM_RSRC2:USER_SGPR: 15
; COMPUTE_PGM_RSRC2:TRAP_HANDLER: 0
; COMPUTE_PGM_RSRC2:TGID_X_EN: 1
; COMPUTE_PGM_RSRC2:TGID_Y_EN: 0
; COMPUTE_PGM_RSRC2:TGID_Z_EN: 0
; COMPUTE_PGM_RSRC2:TIDIG_COMP_CNT: 1
	.section	.text._ZN4vllm3moe10topkGatingILi8ELi256ELi4ELi16ELi32Ej6__halfLNS0_11ScoringFuncE0EEEvPKT5_PKbPfiPT4_PiiiibPKf,"axG",@progbits,_ZN4vllm3moe10topkGatingILi8ELi256ELi4ELi16ELi32Ej6__halfLNS0_11ScoringFuncE0EEEvPKT5_PKbPfiPT4_PiiiibPKf,comdat
	.protected	_ZN4vllm3moe10topkGatingILi8ELi256ELi4ELi16ELi32Ej6__halfLNS0_11ScoringFuncE0EEEvPKT5_PKbPfiPT4_PiiiibPKf ; -- Begin function _ZN4vllm3moe10topkGatingILi8ELi256ELi4ELi16ELi32Ej6__halfLNS0_11ScoringFuncE0EEEvPKT5_PKbPfiPT4_PiiiibPKf
	.globl	_ZN4vllm3moe10topkGatingILi8ELi256ELi4ELi16ELi32Ej6__halfLNS0_11ScoringFuncE0EEEvPKT5_PKbPfiPT4_PiiiibPKf
	.p2align	8
	.type	_ZN4vllm3moe10topkGatingILi8ELi256ELi4ELi16ELi32Ej6__halfLNS0_11ScoringFuncE0EEEvPKT5_PKbPfiPT4_PiiiibPKf,@function
_ZN4vllm3moe10topkGatingILi8ELi256ELi4ELi16ELi32Ej6__halfLNS0_11ScoringFuncE0EEEvPKT5_PKbPfiPT4_PiiiibPKf: ; @_ZN4vllm3moe10topkGatingILi8ELi256ELi4ELi16ELi32Ej6__halfLNS0_11ScoringFuncE0EEEvPKT5_PKbPfiPT4_PiiiibPKf
; %bb.0:
	s_load_b32 s14, s[0:1], 0x18
	v_and_b32_e32 v1, 0x3ff, v0
	v_bfe_u32 v0, v0, 10, 10
	s_lshl_b32 s2, s15, 2
	s_delay_alu instid0(VALU_DEP_2) | instskip(NEXT) | instid1(VALU_DEP_1)
	v_lshrrev_b32_e32 v2, 5, v1
	v_add3_u32 v16, s2, v0, v2
	s_mov_b32 s2, exec_lo
	s_waitcnt lgkmcnt(0)
	s_delay_alu instid0(VALU_DEP_1)
	v_cmpx_gt_i32_e64 s14, v16
	s_cbranch_execz .LBB104_41
; %bb.1:
	s_clause 0x1
	s_load_b128 s[4:7], s[0:1], 0x0
	s_load_b64 s[12:13], s[0:1], 0x10
	s_mov_b32 s8, -1
	s_mov_b32 s15, -1
	s_waitcnt lgkmcnt(0)
	s_cmp_eq_u64 s[6:7], 0
	s_cbranch_scc1 .LBB104_3
; %bb.2:
	v_ashrrev_i32_e32 v0, 31, v16
	v_add_co_u32 v2, vcc_lo, s6, v16
	s_delay_alu instid0(VALU_DEP_2) | instskip(SKIP_3) | instid1(VALU_DEP_1)
	v_add_co_ci_u32_e32 v3, vcc_lo, s7, v0, vcc_lo
	global_load_u8 v0, v[2:3], off
	s_waitcnt vmcnt(0)
	v_and_b32_e32 v0, 1, v0
	v_cmp_eq_u32_e32 vcc_lo, 1, v0
	s_xor_b32 s2, vcc_lo, -1
	s_delay_alu instid0(SALU_CYCLE_1)
	s_or_not1_b32 s15, s2, exec_lo
.LBB104_3:
	v_mbcnt_lo_u32_b32 v6, -1, 0
	v_and_b32_e32 v17, 31, v1
	s_load_b64 s[2:3], s[0:1], 0x40
	s_delay_alu instid0(VALU_DEP_2) | instskip(SKIP_2) | instid1(VALU_DEP_2)
	v_xor_b32_e32 v9, 16, v6
	v_lshlrev_b32_e32 v2, 8, v16
	v_xor_b32_e32 v11, 8, v6
	v_ashrrev_i32_e32 v3, 31, v2
	s_delay_alu instid0(VALU_DEP_1) | instskip(SKIP_3) | instid1(VALU_DEP_2)
	v_lshlrev_b64 v[0:1], 1, v[2:3]
	v_lshlrev_b32_e32 v2, 4, v17
	s_waitcnt lgkmcnt(0)
	s_cmp_eq_u64 s[2:3], 0
	v_add_co_u32 v0, vcc_lo, s4, v0
	s_delay_alu instid0(VALU_DEP_3) | instskip(NEXT) | instid1(VALU_DEP_2)
	v_add_co_ci_u32_e32 v1, vcc_lo, s5, v1, vcc_lo
	v_add_co_u32 v0, vcc_lo, v0, v2
	s_delay_alu instid0(VALU_DEP_2)
	v_add_co_ci_u32_e32 v1, vcc_lo, 0, v1, vcc_lo
	v_cmp_gt_i32_e32 vcc_lo, 32, v9
	global_load_b128 v[0:3], v[0:1], off
	v_cndmask_b32_e32 v9, v6, v9, vcc_lo
	v_cmp_gt_i32_e32 vcc_lo, 32, v11
	v_cndmask_b32_e32 v11, v6, v11, vcc_lo
	s_waitcnt vmcnt(0)
	v_lshrrev_b32_e32 v4, 16, v0
	v_cvt_f32_f16_e32 v0, v0
	v_lshrrev_b32_e32 v5, 16, v1
	v_cvt_f32_f16_e32 v1, v1
	;; [unrolled: 2-line block ×3, first 2 shown]
	v_cvt_f32_f16_e32 v2, v2
	v_cvt_f32_f16_e32 v5, v5
	v_lshrrev_b32_e32 v10, 16, v3
	v_cvt_f32_f16_e32 v7, v7
	v_max_f32_e32 v8, v0, v4
	v_cvt_f32_f16_e32 v3, v3
	s_delay_alu instid0(VALU_DEP_4) | instskip(NEXT) | instid1(VALU_DEP_3)
	v_cvt_f32_f16_e32 v10, v10
	v_max3_f32 v8, v8, v1, v5
	s_delay_alu instid0(VALU_DEP_1) | instskip(NEXT) | instid1(VALU_DEP_1)
	v_max3_f32 v8, v8, v2, v7
	v_max3_f32 v8, v8, v3, v10
	v_lshlrev_b32_e32 v19, 2, v11
	v_xor_b32_e32 v11, 4, v6
	s_delay_alu instid0(VALU_DEP_1) | instskip(SKIP_4) | instid1(VALU_DEP_1)
	v_cmp_gt_i32_e32 vcc_lo, 32, v11
	v_dual_cndmask_b32 v11, v6, v11 :: v_dual_lshlrev_b32 v18, 2, v9
	ds_bpermute_b32 v9, v18, v8
	v_lshlrev_b32_e32 v20, 2, v11
	v_xor_b32_e32 v11, 2, v6
	v_cmp_gt_i32_e32 vcc_lo, 32, v11
	v_cndmask_b32_e32 v11, v6, v11, vcc_lo
	s_waitcnt lgkmcnt(0)
	v_max_f32_e32 v9, v9, v9
	s_delay_alu instid0(VALU_DEP_2) | instskip(SKIP_1) | instid1(VALU_DEP_3)
	v_lshlrev_b32_e32 v21, 2, v11
	v_xor_b32_e32 v11, 1, v6
	v_max_f32_e32 v8, v8, v9
	s_delay_alu instid0(VALU_DEP_2) | instskip(SKIP_3) | instid1(VALU_DEP_1)
	v_cmp_gt_i32_e32 vcc_lo, 32, v11
	ds_bpermute_b32 v9, v19, v8
	v_cndmask_b32_e32 v6, v6, v11, vcc_lo
	s_waitcnt lgkmcnt(0)
	v_dual_max_f32 v9, v9, v9 :: v_dual_lshlrev_b32 v22, 2, v6
	s_delay_alu instid0(VALU_DEP_1) | instskip(SKIP_3) | instid1(VALU_DEP_1)
	v_max_f32_e32 v8, v8, v9
	ds_bpermute_b32 v9, v20, v8
	s_waitcnt lgkmcnt(0)
	v_max_f32_e32 v9, v9, v9
	v_max_f32_e32 v8, v8, v9
	ds_bpermute_b32 v9, v21, v8
	s_waitcnt lgkmcnt(0)
	v_max_f32_e32 v9, v9, v9
	s_delay_alu instid0(VALU_DEP_1) | instskip(SKIP_3) | instid1(VALU_DEP_1)
	v_max_f32_e32 v6, v8, v9
	ds_bpermute_b32 v8, v22, v6
	s_waitcnt lgkmcnt(0)
	v_max_f32_e32 v8, v8, v8
	v_max_f32_e32 v6, v6, v8
	s_delay_alu instid0(VALU_DEP_1) | instskip(NEXT) | instid1(VALU_DEP_1)
	v_sub_f32_e32 v5, v5, v6
	v_mul_f32_e32 v11, 0x3fb8aa3b, v5
	v_sub_f32_e32 v1, v1, v6
	v_sub_f32_e32 v7, v7, v6
	;; [unrolled: 1-line block ×3, first 2 shown]
	s_delay_alu instid0(VALU_DEP_4) | instskip(NEXT) | instid1(VALU_DEP_3)
	v_rndne_f32_e32 v30, v11
	v_dual_mul_f32 v13, 0x3fb8aa3b, v7 :: v_dual_sub_f32 v0, v0, v6
	s_delay_alu instid0(VALU_DEP_3) | instskip(NEXT) | instid1(VALU_DEP_2)
	v_mul_f32_e32 v9, 0x3fb8aa3b, v4
	v_rndne_f32_e32 v34, v13
	s_delay_alu instid0(VALU_DEP_3) | instskip(NEXT) | instid1(VALU_DEP_3)
	v_mul_f32_e32 v8, 0x3fb8aa3b, v0
	v_fma_f32 v25, 0x3fb8aa3b, v4, -v9
	v_rndne_f32_e32 v26, v9
	v_fma_f32 v29, 0x3fb8aa3b, v5, -v11
	v_cmp_ngt_f32_e32 vcc_lo, 0xc2ce8ed0, v0
	v_fma_f32 v23, 0x3fb8aa3b, v0, -v8
	v_sub_f32_e32 v2, v2, v6
	v_rndne_f32_e32 v24, v8
	v_sub_f32_e32 v3, v3, v6
	v_dual_sub_f32 v6, v10, v6 :: v_dual_fmac_f32 v25, 0x32a5705f, v4
	v_mul_f32_e32 v10, 0x3fb8aa3b, v1
	v_fmac_f32_e32 v23, 0x32a5705f, v0
	v_dual_sub_f32 v8, v8, v24 :: v_dual_sub_f32 v11, v11, v30
	v_fma_f32 v33, 0x3fb8aa3b, v7, -v13
	s_delay_alu instid0(VALU_DEP_4) | instskip(SKIP_1) | instid1(VALU_DEP_4)
	v_rndne_f32_e32 v28, v10
	v_fma_f32 v27, 0x3fb8aa3b, v1, -v10
	v_dual_add_f32 v8, v8, v23 :: v_dual_sub_f32 v9, v9, v26
	v_cvt_i32_f32_e32 v24, v24
	s_delay_alu instid0(VALU_DEP_4) | instskip(SKIP_1) | instid1(VALU_DEP_4)
	v_sub_f32_e32 v10, v10, v28
	v_mul_f32_e32 v12, 0x3fb8aa3b, v2
	v_exp_f32_e32 v8, v8
	v_dual_add_f32 v9, v9, v25 :: v_dual_mul_f32 v14, 0x3fb8aa3b, v3
	v_mul_f32_e32 v15, 0x3fb8aa3b, v6
	s_delay_alu instid0(VALU_DEP_3)
	v_fma_f32 v31, 0x3fb8aa3b, v2, -v12
	v_rndne_f32_e32 v32, v12
	v_fmac_f32_e32 v27, 0x32a5705f, v1
	v_exp_f32_e32 v9, v9
	v_cvt_i32_f32_e32 v26, v26
	v_rndne_f32_e32 v36, v14
	v_dual_sub_f32 v12, v12, v32 :: v_dual_fmac_f32 v31, 0x32a5705f, v2
	v_dual_add_f32 v10, v10, v27 :: v_dual_sub_f32 v13, v13, v34
	v_ldexp_f32 v8, v8, v24
	v_cvt_i32_f32_e32 v28, v28
	s_delay_alu instid0(VALU_DEP_4) | instskip(NEXT) | instid1(VALU_DEP_4)
	v_add_f32_e32 v12, v12, v31
	v_exp_f32_e32 v10, v10
	v_fmac_f32_e32 v29, 0x32a5705f, v5
	v_cvt_i32_f32_e32 v32, v32
	v_dual_fmac_f32 v33, 0x32a5705f, v7 :: v_dual_cndmask_b32 v8, 0, v8
	v_exp_f32_e32 v12, v12
	v_ldexp_f32 v9, v9, v26
	v_cmp_ngt_f32_e32 vcc_lo, 0xc2ce8ed0, v4
	v_fma_f32 v35, 0x3fb8aa3b, v3, -v14
	v_sub_f32_e32 v14, v14, v36
	s_delay_alu instid0(TRANS32_DEP_2)
	v_ldexp_f32 v10, v10, v28
	v_rndne_f32_e32 v38, v15
	v_cndmask_b32_e32 v9, 0, v9, vcc_lo
	v_cmp_ngt_f32_e32 vcc_lo, 0xc2ce8ed0, v1
	v_fmac_f32_e32 v35, 0x32a5705f, v3
	v_ldexp_f32 v12, v12, v32
	v_add_f32_e32 v11, v11, v29
	v_fma_f32 v37, 0x3fb8aa3b, v6, -v15
	v_cndmask_b32_e32 v10, 0, v10, vcc_lo
	v_cmp_nlt_f32_e32 vcc_lo, 0x42b17218, v0
	v_cvt_i32_f32_e32 v30, v30
	v_exp_f32_e32 v11, v11
	v_sub_f32_e32 v15, v15, v38
	v_cvt_i32_f32_e32 v34, v34
	v_cndmask_b32_e32 v0, 0x7f800000, v8, vcc_lo
	v_cmp_nlt_f32_e32 vcc_lo, 0x42b17218, v4
	v_dual_fmac_f32 v37, 0x32a5705f, v6 :: v_dual_add_f32 v14, v14, v35
	v_cvt_i32_f32_e32 v23, v36
	v_cvt_i32_f32_e32 v25, v38
	v_cndmask_b32_e32 v4, 0x7f800000, v9, vcc_lo
	s_delay_alu instid0(TRANS32_DEP_1) | instskip(SKIP_3) | instid1(VALU_DEP_3)
	v_ldexp_f32 v11, v11, v30
	v_cmp_ngt_f32_e32 vcc_lo, 0xc2ce8ed0, v5
	v_add_f32_e32 v13, v13, v33
	v_exp_f32_e32 v14, v14
	v_dual_add_f32 v9, v0, v4 :: v_dual_cndmask_b32 v8, 0, v11
	v_cmp_nlt_f32_e32 vcc_lo, 0x42b17218, v1
	s_delay_alu instid0(VALU_DEP_3)
	v_exp_f32_e32 v13, v13
	v_cndmask_b32_e32 v1, 0x7f800000, v10, vcc_lo
	v_cmp_ngt_f32_e32 vcc_lo, 0xc2ce8ed0, v2
	s_waitcnt_depctr 0xfff
	v_ldexp_f32 v14, v14, v23
	v_cndmask_b32_e32 v10, 0, v12, vcc_lo
	v_cmp_nlt_f32_e32 vcc_lo, 0x42b17218, v5
	v_ldexp_f32 v13, v13, v34
	v_dual_cndmask_b32 v5, 0x7f800000, v8 :: v_dual_add_f32 v8, v9, v1
	v_cmp_ngt_f32_e32 vcc_lo, 0xc2ce8ed0, v7
	s_delay_alu instid0(VALU_DEP_2) | instskip(NEXT) | instid1(VALU_DEP_4)
	v_add_f32_e32 v8, v8, v5
	v_cndmask_b32_e32 v9, 0, v13, vcc_lo
	v_cmp_nlt_f32_e32 vcc_lo, 0x42b17218, v2
	v_dual_add_f32 v15, v15, v37 :: v_dual_cndmask_b32 v2, 0x7f800000, v10
	s_delay_alu instid0(VALU_DEP_1) | instskip(SKIP_1) | instid1(VALU_DEP_2)
	v_exp_f32_e32 v15, v15
	v_cmp_ngt_f32_e32 vcc_lo, 0xc2ce8ed0, v3
	v_add_f32_e32 v8, v8, v2
	v_cndmask_b32_e32 v10, 0, v14, vcc_lo
	v_cmp_nlt_f32_e32 vcc_lo, 0x42b17218, v7
	s_waitcnt_depctr 0xfff
	v_ldexp_f32 v15, v15, v25
	v_cndmask_b32_e32 v7, 0x7f800000, v9, vcc_lo
	v_cmp_ngt_f32_e32 vcc_lo, 0xc2ce8ed0, v6
	s_delay_alu instid0(VALU_DEP_2) | instskip(NEXT) | instid1(VALU_DEP_4)
	v_add_f32_e32 v8, v8, v7
	v_cndmask_b32_e32 v9, 0, v15, vcc_lo
	v_cmp_nlt_f32_e32 vcc_lo, 0x42b17218, v3
	v_cndmask_b32_e32 v3, 0x7f800000, v10, vcc_lo
	v_cmp_nlt_f32_e32 vcc_lo, 0x42b17218, v6
	s_delay_alu instid0(VALU_DEP_2) | instskip(SKIP_1) | instid1(VALU_DEP_1)
	v_add_f32_e32 v8, v8, v3
	v_cndmask_b32_e32 v6, 0x7f800000, v9, vcc_lo
	v_add_f32_e32 v8, v8, v6
	ds_bpermute_b32 v9, v18, v8
	s_waitcnt lgkmcnt(0)
	v_add_f32_e32 v8, v8, v9
	ds_bpermute_b32 v9, v19, v8
	s_waitcnt lgkmcnt(0)
	;; [unrolled: 3-line block ×5, first 2 shown]
	v_add_f32_e32 v8, v8, v9
	s_delay_alu instid0(VALU_DEP_1) | instskip(SKIP_1) | instid1(VALU_DEP_2)
	v_div_scale_f32 v9, null, v8, v8, 1.0
	v_div_scale_f32 v12, vcc_lo, 1.0, v8, 1.0
	v_rcp_f32_e32 v10, v9
	s_waitcnt_depctr 0xfff
	v_fma_f32 v11, -v9, v10, 1.0
	s_delay_alu instid0(VALU_DEP_1) | instskip(NEXT) | instid1(VALU_DEP_1)
	v_fmac_f32_e32 v10, v11, v10
	v_mul_f32_e32 v11, v12, v10
	s_delay_alu instid0(VALU_DEP_1) | instskip(NEXT) | instid1(VALU_DEP_1)
	v_fma_f32 v13, -v9, v11, v12
	v_fmac_f32_e32 v11, v13, v10
	s_delay_alu instid0(VALU_DEP_1) | instskip(NEXT) | instid1(VALU_DEP_1)
	v_fma_f32 v9, -v9, v11, v12
	v_div_fmas_f32 v9, v9, v10, v11
	s_delay_alu instid0(VALU_DEP_1) | instskip(NEXT) | instid1(VALU_DEP_1)
	v_div_fixup_f32 v8, v9, v8, 1.0
	v_dual_mul_f32 v0, v8, v0 :: v_dual_lshlrev_b32 v23, 3, v17
	v_mul_f32_e32 v10, v8, v2
	v_mul_f32_e32 v5, v8, v5
	;; [unrolled: 1-line block ×4, first 2 shown]
	v_cmp_class_f32_e64 vcc_lo, v0, 0x1f8
	v_dual_mul_f32 v9, v8, v1 :: v_dual_cndmask_b32 v0, 0, v0
	s_delay_alu instid0(VALU_DEP_4) | instskip(SKIP_1) | instid1(VALU_DEP_3)
	v_cmp_class_f32_e64 vcc_lo, v4, 0x1f8
	v_cndmask_b32_e32 v1, 0, v4, vcc_lo
	v_cmp_class_f32_e64 vcc_lo, v9, 0x1f8
	v_mul_f32_e32 v7, v8, v7
	v_mul_f32_e32 v8, v8, v6
	v_cndmask_b32_e32 v2, 0, v9, vcc_lo
	v_cmp_class_f32_e64 vcc_lo, v5, 0x1f8
	v_cndmask_b32_e32 v3, 0, v5, vcc_lo
	v_cmp_class_f32_e64 vcc_lo, v10, 0x1f8
	;; [unrolled: 2-line block ×5, first 2 shown]
	v_cndmask_b32_e32 v7, 0, v8, vcc_lo
	s_cbranch_scc1 .LBB104_35
; %bb.4:
	v_lshlrev_b32_e32 v12, 2, v23
	s_clause 0x1
	global_load_b128 v[8:11], v12, s[2:3]
	global_load_b128 v[12:15], v12, s[2:3] offset:16
	s_waitcnt vmcnt(1)
	v_dual_add_f32 v9, v9, v1 :: v_dual_add_f32 v8, v8, v0
	v_dual_add_f32 v11, v11, v3 :: v_dual_add_f32 v10, v10, v2
	s_waitcnt vmcnt(0)
	v_dual_add_f32 v13, v13, v5 :: v_dual_add_f32 v12, v12, v4
	v_dual_add_f32 v15, v15, v7 :: v_dual_add_f32 v14, v14, v6
	s_cbranch_execnz .LBB104_6
.LBB104_5:
	v_dual_mov_b32 v15, v7 :: v_dual_mov_b32 v14, v6
	v_dual_mov_b32 v13, v5 :: v_dual_mov_b32 v12, v4
	v_dual_mov_b32 v11, v3 :: v_dual_mov_b32 v10, v2
	v_dual_mov_b32 v9, v1 :: v_dual_mov_b32 v8, v0
.LBB104_6:
	s_load_b128 s[4:7], s[0:1], 0x30
	v_cmp_eq_u32_e64 s2, 0, v17
	s_waitcnt lgkmcnt(0)
	s_bitcmp1_b32 s7, 0
	s_mov_b32 s7, 0
	s_cselect_b32 vcc_lo, -1, 0
	s_cmp_gt_i32 s4, 0
	s_cselect_b32 s3, -1, 0
	s_cmp_lt_i32 s4, 1
	s_cbranch_scc1 .LBB104_36
; %bb.7:
	s_load_b128 s[8:11], s[0:1], 0x20
	v_mul_lo_u32 v25, v16, s4
	v_mov_b32_e32 v24, 0
	v_mov_b32_e32 v26, v16
	s_branch .LBB104_10
.LBB104_8:                              ;   in Loop: Header=BB104_10 Depth=1
	s_or_b32 exec_lo, exec_lo, s1
.LBB104_9:                              ;   in Loop: Header=BB104_10 Depth=1
	v_add_nc_u32_e32 v26, s14, v26
	s_cmp_eq_u32 s4, s7
	s_cbranch_scc1 .LBB104_37
.LBB104_10:                             ; =>This Inner Loop Header: Depth=1
	v_cmp_gt_f32_e64 s0, v9, v8
	s_mov_b32 s17, exec_lo
	s_delay_alu instid0(VALU_DEP_1) | instskip(SKIP_2) | instid1(VALU_DEP_3)
	v_cndmask_b32_e64 v27, v8, v9, s0
	v_cndmask_b32_e64 v28, 0, 1, s0
	;; [unrolled: 1-line block ×3, first 2 shown]
	v_cmp_gt_f32_e64 s1, v10, v27
	s_delay_alu instid0(VALU_DEP_1) | instskip(NEXT) | instid1(VALU_DEP_4)
	v_cndmask_b32_e64 v27, v27, v10, s1
	v_cndmask_b32_e64 v28, v28, 2, s1
	s_delay_alu instid0(VALU_DEP_4) | instskip(NEXT) | instid1(VALU_DEP_3)
	v_cndmask_b32_e64 v29, v29, v2, s1
	v_cmp_gt_f32_e64 s0, v11, v27
	s_delay_alu instid0(VALU_DEP_1) | instskip(NEXT) | instid1(VALU_DEP_4)
	v_cndmask_b32_e64 v27, v27, v11, s0
	v_cndmask_b32_e64 v28, v28, 3, s0
	s_delay_alu instid0(VALU_DEP_4) | instskip(NEXT) | instid1(VALU_DEP_3)
	v_cndmask_b32_e64 v29, v29, v3, s0
	;; [unrolled: 6-line block ×4, first 2 shown]
	v_cmp_gt_f32_e64 s1, v14, v27
	s_delay_alu instid0(VALU_DEP_1) | instskip(NEXT) | instid1(VALU_DEP_4)
	v_cndmask_b32_e64 v27, v27, v14, s1
	v_cndmask_b32_e64 v28, v28, 6, s1
	s_waitcnt lgkmcnt(0)
	v_cndmask_b32_e64 v30, v29, v6, s1
	s_delay_alu instid0(VALU_DEP_3) | instskip(NEXT) | instid1(VALU_DEP_1)
	v_cmp_gt_f32_e64 s0, v15, v27
	v_cndmask_b32_e64 v29, v27, v15, s0
	v_cndmask_b32_e64 v27, v28, 7, s0
	s_delay_alu instid0(VALU_DEP_4)
	v_cndmask_b32_e64 v28, v30, v7, s0
	ds_bpermute_b32 v30, v18, v29
	v_or_b32_e32 v27, v23, v27
	ds_bpermute_b32 v32, v18, v28
	ds_bpermute_b32 v31, v18, v27
	s_waitcnt lgkmcnt(0)
	v_cmp_lt_f32_e64 s16, v29, v30
	v_cmpx_nlt_f32_e32 v29, v30
; %bb.11:                               ;   in Loop: Header=BB104_10 Depth=1
	v_cmp_eq_f32_e64 s0, v29, v30
	v_cmp_lt_i32_e64 s1, v31, v27
	s_delay_alu instid0(VALU_DEP_1) | instskip(SKIP_2) | instid1(SALU_CYCLE_1)
	s_and_b32 s0, s0, s1
	s_and_not1_b32 s1, s16, exec_lo
	s_and_b32 s0, s0, exec_lo
	s_or_b32 s16, s1, s0
; %bb.12:                               ;   in Loop: Header=BB104_10 Depth=1
	s_or_b32 exec_lo, exec_lo, s17
	s_and_saveexec_b32 s0, s16
; %bb.13:                               ;   in Loop: Header=BB104_10 Depth=1
	v_dual_mov_b32 v28, v32 :: v_dual_mov_b32 v29, v30
	v_mov_b32_e32 v27, v31
; %bb.14:                               ;   in Loop: Header=BB104_10 Depth=1
	s_or_b32 exec_lo, exec_lo, s0
	ds_bpermute_b32 v31, v19, v29
	ds_bpermute_b32 v32, v19, v28
	;; [unrolled: 1-line block ×3, first 2 shown]
	s_mov_b32 s17, exec_lo
	s_waitcnt lgkmcnt(2)
	v_cmp_lt_f32_e64 s16, v29, v31
	v_cmpx_nlt_f32_e32 v29, v31
	s_cbranch_execz .LBB104_16
; %bb.15:                               ;   in Loop: Header=BB104_10 Depth=1
	v_cmp_eq_f32_e64 s0, v29, v31
	s_waitcnt lgkmcnt(0)
	v_cmp_lt_i32_e64 s1, v30, v27
	s_delay_alu instid0(VALU_DEP_1) | instskip(SKIP_2) | instid1(SALU_CYCLE_1)
	s_and_b32 s0, s0, s1
	s_and_not1_b32 s1, s16, exec_lo
	s_and_b32 s0, s0, exec_lo
	s_or_b32 s16, s1, s0
.LBB104_16:                             ;   in Loop: Header=BB104_10 Depth=1
	s_or_b32 exec_lo, exec_lo, s17
	s_delay_alu instid0(VALU_DEP_2)
	s_and_saveexec_b32 s0, s16
	s_cbranch_execz .LBB104_18
; %bb.17:                               ;   in Loop: Header=BB104_10 Depth=1
	s_waitcnt lgkmcnt(1)
	v_dual_mov_b32 v28, v32 :: v_dual_mov_b32 v29, v31
	s_waitcnt lgkmcnt(0)
	v_mov_b32_e32 v27, v30
.LBB104_18:                             ;   in Loop: Header=BB104_10 Depth=1
	s_or_b32 exec_lo, exec_lo, s0
	ds_bpermute_b32 v31, v20, v29
	s_waitcnt lgkmcnt(2)
	ds_bpermute_b32 v32, v20, v28
	s_waitcnt lgkmcnt(2)
	ds_bpermute_b32 v30, v20, v27
	s_mov_b32 s17, exec_lo
	s_waitcnt lgkmcnt(2)
	v_cmp_lt_f32_e64 s16, v29, v31
	v_cmpx_nlt_f32_e32 v29, v31
	s_cbranch_execz .LBB104_20
; %bb.19:                               ;   in Loop: Header=BB104_10 Depth=1
	v_cmp_eq_f32_e64 s0, v29, v31
	s_waitcnt lgkmcnt(0)
	v_cmp_lt_i32_e64 s1, v30, v27
	s_delay_alu instid0(VALU_DEP_1) | instskip(SKIP_2) | instid1(SALU_CYCLE_1)
	s_and_b32 s0, s0, s1
	s_and_not1_b32 s1, s16, exec_lo
	s_and_b32 s0, s0, exec_lo
	s_or_b32 s16, s1, s0
.LBB104_20:                             ;   in Loop: Header=BB104_10 Depth=1
	s_or_b32 exec_lo, exec_lo, s17
	s_delay_alu instid0(VALU_DEP_2)
	s_and_saveexec_b32 s0, s16
	s_cbranch_execz .LBB104_22
; %bb.21:                               ;   in Loop: Header=BB104_10 Depth=1
	s_waitcnt lgkmcnt(1)
	v_dual_mov_b32 v28, v32 :: v_dual_mov_b32 v29, v31
	s_waitcnt lgkmcnt(0)
	v_mov_b32_e32 v27, v30
.LBB104_22:                             ;   in Loop: Header=BB104_10 Depth=1
	s_or_b32 exec_lo, exec_lo, s0
	ds_bpermute_b32 v31, v21, v29
	s_waitcnt lgkmcnt(2)
	ds_bpermute_b32 v32, v21, v28
	s_waitcnt lgkmcnt(2)
	ds_bpermute_b32 v30, v21, v27
	s_mov_b32 s17, exec_lo
	s_waitcnt lgkmcnt(2)
	v_cmp_lt_f32_e64 s16, v29, v31
	v_cmpx_nlt_f32_e32 v29, v31
	s_cbranch_execz .LBB104_24
; %bb.23:                               ;   in Loop: Header=BB104_10 Depth=1
	v_cmp_eq_f32_e64 s0, v29, v31
	s_waitcnt lgkmcnt(0)
	v_cmp_lt_i32_e64 s1, v30, v27
	s_delay_alu instid0(VALU_DEP_1) | instskip(SKIP_2) | instid1(SALU_CYCLE_1)
	s_and_b32 s0, s0, s1
	s_and_not1_b32 s1, s16, exec_lo
	s_and_b32 s0, s0, exec_lo
	s_or_b32 s16, s1, s0
.LBB104_24:                             ;   in Loop: Header=BB104_10 Depth=1
	s_or_b32 exec_lo, exec_lo, s17
	s_delay_alu instid0(VALU_DEP_2)
	s_and_saveexec_b32 s0, s16
	s_cbranch_execz .LBB104_26
; %bb.25:                               ;   in Loop: Header=BB104_10 Depth=1
	s_waitcnt lgkmcnt(1)
	v_dual_mov_b32 v28, v32 :: v_dual_mov_b32 v29, v31
	s_waitcnt lgkmcnt(0)
	v_mov_b32_e32 v27, v30
.LBB104_26:                             ;   in Loop: Header=BB104_10 Depth=1
	s_or_b32 exec_lo, exec_lo, s0
	s_waitcnt lgkmcnt(1)
	ds_bpermute_b32 v32, v22, v29
	ds_bpermute_b32 v31, v22, v28
	s_waitcnt lgkmcnt(2)
	ds_bpermute_b32 v30, v22, v27
	s_mov_b32 s17, exec_lo
	s_waitcnt lgkmcnt(2)
	v_cmp_lt_f32_e64 s16, v29, v32
	v_cmpx_nlt_f32_e32 v29, v32
	s_cbranch_execnz .LBB104_30
; %bb.27:                               ;   in Loop: Header=BB104_10 Depth=1
	s_or_b32 exec_lo, exec_lo, s17
	s_delay_alu instid0(VALU_DEP_2)
	s_and_saveexec_b32 s0, s16
	s_cbranch_execnz .LBB104_31
.LBB104_28:                             ;   in Loop: Header=BB104_10 Depth=1
	s_or_b32 exec_lo, exec_lo, s0
	s_and_saveexec_b32 s16, s2
	s_cbranch_execnz .LBB104_32
.LBB104_29:                             ;   in Loop: Header=BB104_10 Depth=1
	s_or_b32 exec_lo, exec_lo, s16
	s_add_i32 s7, s7, 1
	s_delay_alu instid0(SALU_CYCLE_1)
	s_cmp_ge_i32 s7, s4
	s_cbranch_scc1 .LBB104_9
	s_branch .LBB104_33
.LBB104_30:                             ;   in Loop: Header=BB104_10 Depth=1
	v_cmp_eq_f32_e64 s0, v29, v32
	s_waitcnt lgkmcnt(0)
	v_cmp_lt_i32_e64 s1, v30, v27
	s_delay_alu instid0(VALU_DEP_1) | instskip(SKIP_2) | instid1(SALU_CYCLE_1)
	s_and_b32 s0, s0, s1
	s_and_not1_b32 s1, s16, exec_lo
	s_and_b32 s0, s0, exec_lo
	s_or_b32 s16, s1, s0
	s_or_b32 exec_lo, exec_lo, s17
	s_and_saveexec_b32 s0, s16
	s_cbranch_execz .LBB104_28
.LBB104_31:                             ;   in Loop: Header=BB104_10 Depth=1
	s_waitcnt lgkmcnt(0)
	v_dual_mov_b32 v28, v31 :: v_dual_mov_b32 v27, v30
	s_or_b32 exec_lo, exec_lo, s0
	s_and_saveexec_b32 s16, s2
	s_cbranch_execz .LBB104_29
.LBB104_32:                             ;   in Loop: Header=BB104_10 Depth=1
	s_delay_alu instid0(VALU_DEP_1)
	v_dual_add_f32 v36, v24, v28 :: v_dual_add_nc_u32 v29, s7, v25
	v_cmp_le_i32_e64 s0, s5, v27
	v_cmp_gt_i32_e64 s1, s6, v27
	s_waitcnt lgkmcnt(1)
	v_subrev_nc_u32_e32 v31, s5, v27
	s_waitcnt lgkmcnt(0)
	v_ashrrev_i32_e32 v30, 31, v29
	v_cndmask_b32_e32 v24, v24, v36, vcc_lo
	s_and_b32 s0, s0, s1
	s_delay_alu instid0(SALU_CYCLE_1) | instskip(NEXT) | instid1(VALU_DEP_2)
	s_and_b32 s0, s15, s0
	v_lshlrev_b64 v[29:30], 2, v[29:30]
	v_cndmask_b32_e64 v35, 0x100, v31, s0
	s_delay_alu instid0(VALU_DEP_2) | instskip(NEXT) | instid1(VALU_DEP_1)
	v_add_co_u32 v31, s0, s12, v29
	v_add_co_ci_u32_e64 v32, s0, s13, v30, s0
	v_add_co_u32 v33, s0, s8, v29
	s_delay_alu instid0(VALU_DEP_1) | instskip(SKIP_1) | instid1(VALU_DEP_1)
	v_add_co_ci_u32_e64 v34, s0, s9, v30, s0
	v_add_co_u32 v29, s0, s10, v29
	v_add_co_ci_u32_e64 v30, s0, s11, v30, s0
	global_store_b32 v[31:32], v28, off
	global_store_b32 v[33:34], v35, off
	;; [unrolled: 1-line block ×3, first 2 shown]
	s_or_b32 exec_lo, exec_lo, s16
	s_add_i32 s7, s7, 1
	s_delay_alu instid0(SALU_CYCLE_1)
	s_cmp_ge_i32 s7, s4
	s_cbranch_scc1 .LBB104_9
.LBB104_33:                             ;   in Loop: Header=BB104_10 Depth=1
	v_ashrrev_i32_e32 v28, 31, v27
	s_mov_b32 s1, exec_lo
	s_delay_alu instid0(VALU_DEP_1) | instskip(NEXT) | instid1(VALU_DEP_1)
	v_lshrrev_b32_e32 v29, 29, v28
	v_add_nc_u32_e32 v29, v27, v29
	s_waitcnt lgkmcnt(0)
	s_delay_alu instid0(VALU_DEP_1) | instskip(SKIP_1) | instid1(VALU_DEP_2)
	v_ashrrev_i32_e32 v30, 31, v29
	v_ashrrev_i32_e32 v29, 3, v29
	v_lshrrev_b32_e32 v30, 27, v30
	s_delay_alu instid0(VALU_DEP_1) | instskip(NEXT) | instid1(VALU_DEP_1)
	v_add_nc_u32_e32 v30, v29, v30
	v_and_b32_e32 v30, 0xffffffe0, v30
	s_delay_alu instid0(VALU_DEP_1) | instskip(NEXT) | instid1(VALU_DEP_1)
	v_sub_nc_u32_e32 v30, v29, v30
	v_cmpx_eq_u32_e64 v17, v30
	s_cbranch_execz .LBB104_8
; %bb.34:                               ;   in Loop: Header=BB104_10 Depth=1
	v_lshrrev_b32_e32 v28, 24, v28
	v_lshlrev_b32_e32 v29, 3, v29
	s_delay_alu instid0(VALU_DEP_2) | instskip(NEXT) | instid1(VALU_DEP_2)
	v_add_nc_u32_e32 v28, v27, v28
	v_sub_nc_u32_e32 v27, v27, v29
	s_delay_alu instid0(VALU_DEP_2) | instskip(NEXT) | instid1(VALU_DEP_1)
	v_ashrrev_i32_e32 v28, 8, v28
	v_lshl_add_u32 v27, v28, 3, v27
	s_delay_alu instid0(VALU_DEP_1) | instskip(NEXT) | instid1(VALU_DEP_1)
	v_cmp_ne_u32_e64 s0, 7, v27
	v_cndmask_b32_e64 v15, 0xc61c4000, v15, s0
	v_cmp_ne_u32_e64 s0, 6, v27
	s_delay_alu instid0(VALU_DEP_1) | instskip(SKIP_1) | instid1(VALU_DEP_1)
	v_cndmask_b32_e64 v14, 0xc61c4000, v14, s0
	v_cmp_ne_u32_e64 s0, 5, v27
	v_cndmask_b32_e64 v13, 0xc61c4000, v13, s0
	v_cmp_ne_u32_e64 s0, 4, v27
	s_delay_alu instid0(VALU_DEP_1) | instskip(SKIP_1) | instid1(VALU_DEP_1)
	v_cndmask_b32_e64 v12, 0xc61c4000, v12, s0
	v_cmp_ne_u32_e64 s0, 3, v27
	v_cndmask_b32_e64 v11, 0xc61c4000, v11, s0
	v_cmp_ne_u32_e64 s0, 2, v27
	s_delay_alu instid0(VALU_DEP_1) | instskip(SKIP_1) | instid1(VALU_DEP_1)
	v_cndmask_b32_e64 v10, 0xc61c4000, v10, s0
	v_cmp_ne_u32_e64 s0, 1, v27
	v_cndmask_b32_e64 v9, 0xc61c4000, v9, s0
	v_cmp_ne_u32_e64 s0, 0, v27
	s_delay_alu instid0(VALU_DEP_1)
	v_cndmask_b32_e64 v8, 0xc61c4000, v8, s0
	s_branch .LBB104_8
.LBB104_35:
                                        ; implicit-def: $vgpr8_vgpr9_vgpr10_vgpr11_vgpr12_vgpr13_vgpr14_vgpr15
	s_and_not1_b32 vcc_lo, exec_lo, s8
	s_cbranch_vccz .LBB104_5
	s_branch .LBB104_6
.LBB104_36:
	v_mov_b32_e32 v24, 0
.LBB104_37:
	v_cmp_eq_u32_e64 s0, 0, v17
	s_delay_alu instid0(VALU_DEP_1) | instskip(NEXT) | instid1(SALU_CYCLE_1)
	s_and_b32 s0, s0, vcc_lo
	s_and_b32 exec_lo, exec_lo, s0
	s_cbranch_execz .LBB104_41
; %bb.38:
	s_and_not1_b32 vcc_lo, exec_lo, s3
	s_cbranch_vccnz .LBB104_41
; %bb.39:
	v_mul_lo_u32 v0, v16, s4
	v_cmp_lt_f32_e32 vcc_lo, 0, v24
	v_cndmask_b32_e32 v2, 1.0, v24, vcc_lo
	s_delay_alu instid0(VALU_DEP_3) | instskip(NEXT) | instid1(VALU_DEP_1)
	v_ashrrev_i32_e32 v1, 31, v0
	v_lshlrev_b64 v[0:1], 2, v[0:1]
	s_delay_alu instid0(VALU_DEP_1) | instskip(NEXT) | instid1(VALU_DEP_2)
	v_add_co_u32 v0, vcc_lo, s12, v0
	v_add_co_ci_u32_e32 v1, vcc_lo, s13, v1, vcc_lo
	.p2align	6
.LBB104_40:                             ; =>This Inner Loop Header: Depth=1
	global_load_b32 v3, v[0:1], off
	s_add_i32 s4, s4, -1
	s_delay_alu instid0(SALU_CYCLE_1) | instskip(SKIP_3) | instid1(VALU_DEP_2)
	s_cmp_lg_u32 s4, 0
	s_waitcnt vmcnt(0)
	v_div_scale_f32 v4, null, v2, v2, v3
	v_div_scale_f32 v7, vcc_lo, v3, v2, v3
	v_rcp_f32_e32 v5, v4
	s_waitcnt_depctr 0xfff
	v_fma_f32 v6, -v4, v5, 1.0
	s_delay_alu instid0(VALU_DEP_1) | instskip(NEXT) | instid1(VALU_DEP_1)
	v_fmac_f32_e32 v5, v6, v5
	v_mul_f32_e32 v6, v7, v5
	s_delay_alu instid0(VALU_DEP_1) | instskip(NEXT) | instid1(VALU_DEP_1)
	v_fma_f32 v8, -v4, v6, v7
	v_fmac_f32_e32 v6, v8, v5
	s_delay_alu instid0(VALU_DEP_1) | instskip(NEXT) | instid1(VALU_DEP_1)
	v_fma_f32 v4, -v4, v6, v7
	v_div_fmas_f32 v4, v4, v5, v6
	s_delay_alu instid0(VALU_DEP_1)
	v_div_fixup_f32 v3, v4, v2, v3
	global_store_b32 v[0:1], v3, off
	v_add_co_u32 v0, vcc_lo, v0, 4
	v_add_co_ci_u32_e32 v1, vcc_lo, 0, v1, vcc_lo
	s_cbranch_scc1 .LBB104_40
.LBB104_41:
	s_nop 0
	s_sendmsg sendmsg(MSG_DEALLOC_VGPRS)
	s_endpgm
	.section	.rodata,"a",@progbits
	.p2align	6, 0x0
	.amdhsa_kernel _ZN4vllm3moe10topkGatingILi8ELi256ELi4ELi16ELi32Ej6__halfLNS0_11ScoringFuncE0EEEvPKT5_PKbPfiPT4_PiiiibPKf
		.amdhsa_group_segment_fixed_size 0
		.amdhsa_private_segment_fixed_size 0
		.amdhsa_kernarg_size 72
		.amdhsa_user_sgpr_count 15
		.amdhsa_user_sgpr_dispatch_ptr 0
		.amdhsa_user_sgpr_queue_ptr 0
		.amdhsa_user_sgpr_kernarg_segment_ptr 1
		.amdhsa_user_sgpr_dispatch_id 0
		.amdhsa_user_sgpr_private_segment_size 0
		.amdhsa_wavefront_size32 1
		.amdhsa_uses_dynamic_stack 0
		.amdhsa_enable_private_segment 0
		.amdhsa_system_sgpr_workgroup_id_x 1
		.amdhsa_system_sgpr_workgroup_id_y 0
		.amdhsa_system_sgpr_workgroup_id_z 0
		.amdhsa_system_sgpr_workgroup_info 0
		.amdhsa_system_vgpr_workitem_id 1
		.amdhsa_next_free_vgpr 39
		.amdhsa_next_free_sgpr 18
		.amdhsa_reserve_vcc 1
		.amdhsa_float_round_mode_32 0
		.amdhsa_float_round_mode_16_64 0
		.amdhsa_float_denorm_mode_32 3
		.amdhsa_float_denorm_mode_16_64 3
		.amdhsa_dx10_clamp 1
		.amdhsa_ieee_mode 1
		.amdhsa_fp16_overflow 0
		.amdhsa_workgroup_processor_mode 1
		.amdhsa_memory_ordered 1
		.amdhsa_forward_progress 0
		.amdhsa_shared_vgpr_count 0
		.amdhsa_exception_fp_ieee_invalid_op 0
		.amdhsa_exception_fp_denorm_src 0
		.amdhsa_exception_fp_ieee_div_zero 0
		.amdhsa_exception_fp_ieee_overflow 0
		.amdhsa_exception_fp_ieee_underflow 0
		.amdhsa_exception_fp_ieee_inexact 0
		.amdhsa_exception_int_div_zero 0
	.end_amdhsa_kernel
	.section	.text._ZN4vllm3moe10topkGatingILi8ELi256ELi4ELi16ELi32Ej6__halfLNS0_11ScoringFuncE0EEEvPKT5_PKbPfiPT4_PiiiibPKf,"axG",@progbits,_ZN4vllm3moe10topkGatingILi8ELi256ELi4ELi16ELi32Ej6__halfLNS0_11ScoringFuncE0EEEvPKT5_PKbPfiPT4_PiiiibPKf,comdat
.Lfunc_end104:
	.size	_ZN4vllm3moe10topkGatingILi8ELi256ELi4ELi16ELi32Ej6__halfLNS0_11ScoringFuncE0EEEvPKT5_PKbPfiPT4_PiiiibPKf, .Lfunc_end104-_ZN4vllm3moe10topkGatingILi8ELi256ELi4ELi16ELi32Ej6__halfLNS0_11ScoringFuncE0EEEvPKT5_PKbPfiPT4_PiiiibPKf
                                        ; -- End function
	.section	.AMDGPU.csdata,"",@progbits
; Kernel info:
; codeLenInByte = 3576
; NumSgprs: 20
; NumVgprs: 39
; ScratchSize: 0
; MemoryBound: 0
; FloatMode: 240
; IeeeMode: 1
; LDSByteSize: 0 bytes/workgroup (compile time only)
; SGPRBlocks: 2
; VGPRBlocks: 4
; NumSGPRsForWavesPerEU: 20
; NumVGPRsForWavesPerEU: 39
; Occupancy: 16
; WaveLimiterHint : 0
; COMPUTE_PGM_RSRC2:SCRATCH_EN: 0
; COMPUTE_PGM_RSRC2:USER_SGPR: 15
; COMPUTE_PGM_RSRC2:TRAP_HANDLER: 0
; COMPUTE_PGM_RSRC2:TGID_X_EN: 1
; COMPUTE_PGM_RSRC2:TGID_Y_EN: 0
; COMPUTE_PGM_RSRC2:TGID_Z_EN: 0
; COMPUTE_PGM_RSRC2:TIDIG_COMP_CNT: 1
	.section	.text._ZN4vllm3moe10topkGatingILi8ELi512ELi4ELi16ELi64Ej6__halfLNS0_11ScoringFuncE0EEEvPKT5_PKbPfiPT4_PiiiibPKf,"axG",@progbits,_ZN4vllm3moe10topkGatingILi8ELi512ELi4ELi16ELi64Ej6__halfLNS0_11ScoringFuncE0EEEvPKT5_PKbPfiPT4_PiiiibPKf,comdat
	.protected	_ZN4vllm3moe10topkGatingILi8ELi512ELi4ELi16ELi64Ej6__halfLNS0_11ScoringFuncE0EEEvPKT5_PKbPfiPT4_PiiiibPKf ; -- Begin function _ZN4vllm3moe10topkGatingILi8ELi512ELi4ELi16ELi64Ej6__halfLNS0_11ScoringFuncE0EEEvPKT5_PKbPfiPT4_PiiiibPKf
	.globl	_ZN4vllm3moe10topkGatingILi8ELi512ELi4ELi16ELi64Ej6__halfLNS0_11ScoringFuncE0EEEvPKT5_PKbPfiPT4_PiiiibPKf
	.p2align	8
	.type	_ZN4vllm3moe10topkGatingILi8ELi512ELi4ELi16ELi64Ej6__halfLNS0_11ScoringFuncE0EEEvPKT5_PKbPfiPT4_PiiiibPKf,@function
_ZN4vllm3moe10topkGatingILi8ELi512ELi4ELi16ELi64Ej6__halfLNS0_11ScoringFuncE0EEEvPKT5_PKbPfiPT4_PiiiibPKf: ; @_ZN4vllm3moe10topkGatingILi8ELi512ELi4ELi16ELi64Ej6__halfLNS0_11ScoringFuncE0EEEvPKT5_PKbPfiPT4_PiiiibPKf
; %bb.0:
	s_load_b32 s14, s[0:1], 0x18
	v_and_b32_e32 v1, 0x3ff, v0
	v_bfe_u32 v0, v0, 10, 10
	s_lshl_b32 s2, s15, 2
	s_delay_alu instid0(VALU_DEP_2) | instskip(NEXT) | instid1(VALU_DEP_1)
	v_lshrrev_b32_e32 v2, 6, v1
	v_add3_u32 v16, s2, v0, v2
	s_mov_b32 s2, exec_lo
	s_waitcnt lgkmcnt(0)
	s_delay_alu instid0(VALU_DEP_1)
	v_cmpx_gt_i32_e64 s14, v16
	s_cbranch_execz .LBB105_45
; %bb.1:
	s_clause 0x1
	s_load_b128 s[4:7], s[0:1], 0x0
	s_load_b64 s[12:13], s[0:1], 0x10
	s_mov_b32 s8, -1
	s_mov_b32 s15, -1
	s_waitcnt lgkmcnt(0)
	s_cmp_eq_u64 s[6:7], 0
	s_cbranch_scc1 .LBB105_3
; %bb.2:
	v_ashrrev_i32_e32 v0, 31, v16
	v_add_co_u32 v2, vcc_lo, s6, v16
	s_delay_alu instid0(VALU_DEP_2) | instskip(SKIP_3) | instid1(VALU_DEP_1)
	v_add_co_ci_u32_e32 v3, vcc_lo, s7, v0, vcc_lo
	global_load_u8 v0, v[2:3], off
	s_waitcnt vmcnt(0)
	v_and_b32_e32 v0, 1, v0
	v_cmp_eq_u32_e32 vcc_lo, 1, v0
	s_xor_b32 s2, vcc_lo, -1
	s_delay_alu instid0(SALU_CYCLE_1)
	s_or_not1_b32 s15, s2, exec_lo
.LBB105_3:
	v_mbcnt_lo_u32_b32 v6, -1, 0
	v_and_b32_e32 v17, 63, v1
	s_load_b64 s[2:3], s[0:1], 0x40
	s_delay_alu instid0(VALU_DEP_2) | instskip(SKIP_2) | instid1(VALU_DEP_2)
	v_or_b32_e32 v9, 32, v6
	v_lshlrev_b32_e32 v2, 9, v16
	v_xor_b32_e32 v11, 16, v6
	v_ashrrev_i32_e32 v3, 31, v2
	s_delay_alu instid0(VALU_DEP_1) | instskip(SKIP_3) | instid1(VALU_DEP_2)
	v_lshlrev_b64 v[0:1], 1, v[2:3]
	v_lshlrev_b32_e32 v2, 4, v17
	s_waitcnt lgkmcnt(0)
	s_cmp_eq_u64 s[2:3], 0
	v_add_co_u32 v0, vcc_lo, s4, v0
	s_delay_alu instid0(VALU_DEP_3) | instskip(NEXT) | instid1(VALU_DEP_2)
	v_add_co_ci_u32_e32 v1, vcc_lo, s5, v1, vcc_lo
	v_add_co_u32 v0, vcc_lo, v0, v2
	s_delay_alu instid0(VALU_DEP_2)
	v_add_co_ci_u32_e32 v1, vcc_lo, 0, v1, vcc_lo
	v_cmp_gt_i32_e32 vcc_lo, 64, v9
	global_load_b128 v[0:3], v[0:1], off
	v_cndmask_b32_e32 v9, v6, v9, vcc_lo
	v_cmp_gt_i32_e32 vcc_lo, 64, v11
	v_cndmask_b32_e32 v11, v6, v11, vcc_lo
	s_waitcnt vmcnt(0)
	v_lshrrev_b32_e32 v4, 16, v0
	v_cvt_f32_f16_e32 v0, v0
	v_lshrrev_b32_e32 v5, 16, v1
	v_cvt_f32_f16_e32 v1, v1
	;; [unrolled: 2-line block ×3, first 2 shown]
	v_cvt_f32_f16_e32 v2, v2
	v_cvt_f32_f16_e32 v5, v5
	v_lshrrev_b32_e32 v10, 16, v3
	v_cvt_f32_f16_e32 v7, v7
	v_max_f32_e32 v8, v0, v4
	v_cvt_f32_f16_e32 v3, v3
	s_delay_alu instid0(VALU_DEP_4) | instskip(NEXT) | instid1(VALU_DEP_3)
	v_cvt_f32_f16_e32 v10, v10
	v_max3_f32 v8, v8, v1, v5
	s_delay_alu instid0(VALU_DEP_1) | instskip(NEXT) | instid1(VALU_DEP_1)
	v_max3_f32 v8, v8, v2, v7
	v_max3_f32 v8, v8, v3, v10
	v_lshlrev_b32_e32 v19, 2, v11
	v_xor_b32_e32 v11, 8, v6
	s_delay_alu instid0(VALU_DEP_1) | instskip(SKIP_4) | instid1(VALU_DEP_1)
	v_cmp_gt_i32_e32 vcc_lo, 64, v11
	v_dual_cndmask_b32 v11, v6, v11 :: v_dual_lshlrev_b32 v18, 2, v9
	ds_bpermute_b32 v9, v18, v8
	v_lshlrev_b32_e32 v20, 2, v11
	v_xor_b32_e32 v11, 4, v6
	v_cmp_gt_i32_e32 vcc_lo, 64, v11
	v_cndmask_b32_e32 v11, v6, v11, vcc_lo
	s_waitcnt lgkmcnt(0)
	v_max_f32_e32 v9, v9, v9
	s_delay_alu instid0(VALU_DEP_2) | instskip(SKIP_1) | instid1(VALU_DEP_3)
	v_lshlrev_b32_e32 v21, 2, v11
	v_xor_b32_e32 v11, 2, v6
	v_max_f32_e32 v8, v8, v9
	s_delay_alu instid0(VALU_DEP_2) | instskip(SKIP_2) | instid1(VALU_DEP_1)
	v_cmp_gt_i32_e32 vcc_lo, 64, v11
	ds_bpermute_b32 v9, v19, v8
	v_cndmask_b32_e32 v11, v6, v11, vcc_lo
	v_lshlrev_b32_e32 v22, 2, v11
	v_xor_b32_e32 v11, 1, v6
	s_delay_alu instid0(VALU_DEP_1) | instskip(SKIP_2) | instid1(VALU_DEP_1)
	v_cmp_gt_i32_e32 vcc_lo, 64, v11
	s_waitcnt lgkmcnt(0)
	v_dual_cndmask_b32 v6, v6, v11 :: v_dual_max_f32 v9, v9, v9
	v_dual_max_f32 v8, v8, v9 :: v_dual_lshlrev_b32 v23, 2, v6
	ds_bpermute_b32 v9, v20, v8
	s_waitcnt lgkmcnt(0)
	v_max_f32_e32 v9, v9, v9
	s_delay_alu instid0(VALU_DEP_1) | instskip(SKIP_3) | instid1(VALU_DEP_1)
	v_max_f32_e32 v8, v8, v9
	ds_bpermute_b32 v9, v21, v8
	s_waitcnt lgkmcnt(0)
	v_max_f32_e32 v9, v9, v9
	v_max_f32_e32 v8, v8, v9
	ds_bpermute_b32 v9, v22, v8
	s_waitcnt lgkmcnt(0)
	v_max_f32_e32 v9, v9, v9
	s_delay_alu instid0(VALU_DEP_1) | instskip(SKIP_3) | instid1(VALU_DEP_1)
	v_max_f32_e32 v6, v8, v9
	ds_bpermute_b32 v8, v23, v6
	s_waitcnt lgkmcnt(0)
	v_max_f32_e32 v8, v8, v8
	v_max_f32_e32 v6, v6, v8
	s_delay_alu instid0(VALU_DEP_1) | instskip(NEXT) | instid1(VALU_DEP_1)
	v_sub_f32_e32 v5, v5, v6
	v_dual_sub_f32 v4, v4, v6 :: v_dual_mul_f32 v11, 0x3fb8aa3b, v5
	s_delay_alu instid0(VALU_DEP_1) | instskip(SKIP_1) | instid1(VALU_DEP_3)
	v_dual_sub_f32 v0, v0, v6 :: v_dual_mul_f32 v9, 0x3fb8aa3b, v4
	v_sub_f32_e32 v1, v1, v6
	v_rndne_f32_e32 v31, v11
	s_delay_alu instid0(VALU_DEP_3) | instskip(NEXT) | instid1(VALU_DEP_4)
	v_mul_f32_e32 v8, 0x3fb8aa3b, v0
	v_rndne_f32_e32 v27, v9
	v_fma_f32 v26, 0x3fb8aa3b, v4, -v9
	v_cmp_ngt_f32_e32 vcc_lo, 0xc2ce8ed0, v0
	s_delay_alu instid0(VALU_DEP_4)
	v_fma_f32 v24, 0x3fb8aa3b, v0, -v8
	v_sub_f32_e32 v3, v3, v6
	v_rndne_f32_e32 v25, v8
	v_sub_f32_e32 v9, v9, v27
	v_cvt_i32_f32_e32 v27, v27
	v_dual_fmac_f32 v24, 0x32a5705f, v0 :: v_dual_sub_f32 v7, v7, v6
	v_mul_f32_e32 v14, 0x3fb8aa3b, v3
	v_sub_f32_e32 v2, v2, v6
	v_sub_f32_e32 v6, v10, v6
	s_delay_alu instid0(VALU_DEP_4) | instskip(SKIP_2) | instid1(VALU_DEP_4)
	v_dual_mul_f32 v10, 0x3fb8aa3b, v1 :: v_dual_mul_f32 v13, 0x3fb8aa3b, v7
	v_sub_f32_e32 v8, v8, v25
	v_cvt_i32_f32_e32 v25, v25
	v_mul_f32_e32 v15, 0x3fb8aa3b, v6
	s_delay_alu instid0(VALU_DEP_4)
	v_fma_f32 v28, 0x3fb8aa3b, v1, -v10
	v_fma_f32 v34, 0x3fb8aa3b, v7, -v13
	v_rndne_f32_e32 v29, v10
	v_rndne_f32_e32 v35, v13
	v_fma_f32 v38, 0x3fb8aa3b, v6, -v15
	v_rndne_f32_e32 v39, v15
	v_fmac_f32_e32 v28, 0x32a5705f, v1
	s_delay_alu instid0(VALU_DEP_4) | instskip(NEXT) | instid1(VALU_DEP_3)
	v_dual_fmac_f32 v26, 0x32a5705f, v4 :: v_dual_sub_f32 v13, v13, v35
	v_dual_fmac_f32 v38, 0x32a5705f, v6 :: v_dual_sub_f32 v15, v15, v39
	v_fmac_f32_e32 v34, 0x32a5705f, v7
	v_add_f32_e32 v8, v8, v24
	s_delay_alu instid0(VALU_DEP_4) | instskip(NEXT) | instid1(VALU_DEP_4)
	v_dual_sub_f32 v10, v10, v29 :: v_dual_add_f32 v9, v9, v26
	v_add_f32_e32 v15, v15, v38
	v_cvt_i32_f32_e32 v26, v39
	s_delay_alu instid0(VALU_DEP_4)
	v_exp_f32_e32 v8, v8
	v_mul_f32_e32 v12, 0x3fb8aa3b, v2
	v_exp_f32_e32 v9, v9
	v_exp_f32_e32 v15, v15
	v_fma_f32 v30, 0x3fb8aa3b, v5, -v11
	v_sub_f32_e32 v11, v11, v31
	v_fma_f32 v32, 0x3fb8aa3b, v2, -v12
	v_rndne_f32_e32 v33, v12
	v_cvt_i32_f32_e32 v29, v29
	v_dual_fmac_f32 v30, 0x32a5705f, v5 :: v_dual_add_f32 v13, v13, v34
	v_ldexp_f32 v8, v8, v25
	s_delay_alu instid0(TRANS32_DEP_2) | instskip(NEXT) | instid1(TRANS32_DEP_1)
	v_ldexp_f32 v9, v9, v27
	v_ldexp_f32 v15, v15, v26
	v_add_f32_e32 v10, v10, v28
	v_dual_sub_f32 v12, v12, v33 :: v_dual_add_f32 v11, v11, v30
	v_cndmask_b32_e32 v8, 0, v8, vcc_lo
	v_cmp_ngt_f32_e32 vcc_lo, 0xc2ce8ed0, v4
	s_delay_alu instid0(VALU_DEP_4)
	v_exp_f32_e32 v10, v10
	v_fmac_f32_e32 v32, 0x32a5705f, v2
	v_exp_f32_e32 v11, v11
	v_cvt_i32_f32_e32 v31, v31
	v_cndmask_b32_e32 v9, 0, v9, vcc_lo
	v_cmp_ngt_f32_e32 vcc_lo, 0xc2ce8ed0, v1
	v_add_f32_e32 v12, v12, v32
	v_fma_f32 v36, 0x3fb8aa3b, v3, -v14
	v_rndne_f32_e32 v37, v14
	v_cvt_i32_f32_e32 v33, v33
	v_ldexp_f32 v10, v10, v29
	v_exp_f32_e32 v12, v12
	v_ldexp_f32 v11, v11, v31
	v_exp_f32_e32 v13, v13
	v_cvt_i32_f32_e32 v35, v35
	v_cndmask_b32_e32 v10, 0, v10, vcc_lo
	v_cmp_nlt_f32_e32 vcc_lo, 0x42b17218, v0
	v_cvt_i32_f32_e32 v24, v37
	v_cndmask_b32_e32 v0, 0x7f800000, v8, vcc_lo
	v_cmp_nlt_f32_e32 vcc_lo, 0x42b17218, v4
	s_delay_alu instid0(TRANS32_DEP_2) | instskip(NEXT) | instid1(TRANS32_DEP_1)
	v_ldexp_f32 v12, v12, v33
	v_ldexp_f32 v13, v13, v35
	v_cndmask_b32_e32 v4, 0x7f800000, v9, vcc_lo
	v_cmp_ngt_f32_e32 vcc_lo, 0xc2ce8ed0, v5
	s_delay_alu instid0(VALU_DEP_2) | instskip(SKIP_4) | instid1(VALU_DEP_2)
	v_dual_fmac_f32 v36, 0x32a5705f, v3 :: v_dual_add_f32 v9, v0, v4
	v_cndmask_b32_e32 v8, 0, v11, vcc_lo
	v_cmp_nlt_f32_e32 vcc_lo, 0x42b17218, v1
	v_dual_sub_f32 v14, v14, v37 :: v_dual_cndmask_b32 v1, 0x7f800000, v10
	v_cmp_ngt_f32_e32 vcc_lo, 0xc2ce8ed0, v2
	v_add_f32_e32 v14, v14, v36
	v_cndmask_b32_e32 v10, 0, v12, vcc_lo
	v_cmp_nlt_f32_e32 vcc_lo, 0x42b17218, v5
	s_delay_alu instid0(VALU_DEP_3)
	v_exp_f32_e32 v14, v14
	v_dual_cndmask_b32 v5, 0x7f800000, v8 :: v_dual_add_f32 v8, v9, v1
	v_cmp_ngt_f32_e32 vcc_lo, 0xc2ce8ed0, v7
	s_waitcnt_depctr 0xfff
	v_ldexp_f32 v14, v14, v24
	v_cndmask_b32_e32 v9, 0, v13, vcc_lo
	v_cmp_nlt_f32_e32 vcc_lo, 0x42b17218, v2
	v_add_f32_e32 v8, v8, v5
	v_lshlrev_b32_e32 v24, 3, v17
	v_cndmask_b32_e32 v2, 0x7f800000, v10, vcc_lo
	v_cmp_ngt_f32_e32 vcc_lo, 0xc2ce8ed0, v3
	s_delay_alu instid0(VALU_DEP_2) | instskip(SKIP_4) | instid1(VALU_DEP_2)
	v_add_f32_e32 v8, v8, v2
	v_cndmask_b32_e32 v10, 0, v14, vcc_lo
	v_cmp_nlt_f32_e32 vcc_lo, 0x42b17218, v7
	v_cndmask_b32_e32 v7, 0x7f800000, v9, vcc_lo
	v_cmp_ngt_f32_e32 vcc_lo, 0xc2ce8ed0, v6
	v_add_f32_e32 v8, v8, v7
	v_cndmask_b32_e32 v9, 0, v15, vcc_lo
	v_cmp_nlt_f32_e32 vcc_lo, 0x42b17218, v3
	v_cndmask_b32_e32 v3, 0x7f800000, v10, vcc_lo
	v_cmp_nlt_f32_e32 vcc_lo, 0x42b17218, v6
	s_delay_alu instid0(VALU_DEP_2) | instskip(SKIP_1) | instid1(VALU_DEP_1)
	v_add_f32_e32 v8, v8, v3
	v_cndmask_b32_e32 v6, 0x7f800000, v9, vcc_lo
	v_add_f32_e32 v8, v8, v6
	ds_bpermute_b32 v9, v18, v8
	s_waitcnt lgkmcnt(0)
	v_add_f32_e32 v8, v8, v9
	ds_bpermute_b32 v9, v19, v8
	s_waitcnt lgkmcnt(0)
	;; [unrolled: 3-line block ×6, first 2 shown]
	v_add_f32_e32 v8, v8, v9
	s_delay_alu instid0(VALU_DEP_1) | instskip(SKIP_1) | instid1(VALU_DEP_2)
	v_div_scale_f32 v9, null, v8, v8, 1.0
	v_div_scale_f32 v12, vcc_lo, 1.0, v8, 1.0
	v_rcp_f32_e32 v10, v9
	s_waitcnt_depctr 0xfff
	v_fma_f32 v11, -v9, v10, 1.0
	s_delay_alu instid0(VALU_DEP_1) | instskip(NEXT) | instid1(VALU_DEP_1)
	v_fmac_f32_e32 v10, v11, v10
	v_mul_f32_e32 v11, v12, v10
	s_delay_alu instid0(VALU_DEP_1) | instskip(NEXT) | instid1(VALU_DEP_1)
	v_fma_f32 v13, -v9, v11, v12
	v_fmac_f32_e32 v11, v13, v10
	s_delay_alu instid0(VALU_DEP_1) | instskip(NEXT) | instid1(VALU_DEP_1)
	v_fma_f32 v9, -v9, v11, v12
	v_div_fmas_f32 v9, v9, v10, v11
	s_delay_alu instid0(VALU_DEP_1) | instskip(NEXT) | instid1(VALU_DEP_1)
	v_div_fixup_f32 v8, v9, v8, 1.0
	v_mul_f32_e32 v5, v8, v5
	v_mul_f32_e32 v0, v8, v0
	;; [unrolled: 1-line block ×6, first 2 shown]
	v_cmp_class_f32_e64 vcc_lo, v0, 0x1f8
	v_mul_f32_e32 v11, v8, v3
	v_mul_f32_e32 v8, v8, v6
	v_cndmask_b32_e32 v0, 0, v0, vcc_lo
	v_cmp_class_f32_e64 vcc_lo, v4, 0x1f8
	v_cndmask_b32_e32 v1, 0, v4, vcc_lo
	v_cmp_class_f32_e64 vcc_lo, v9, 0x1f8
	;; [unrolled: 2-line block ×7, first 2 shown]
	v_cndmask_b32_e32 v7, 0, v8, vcc_lo
	s_cbranch_scc1 .LBB105_39
; %bb.4:
	v_lshlrev_b32_e32 v12, 2, v24
	s_clause 0x1
	global_load_b128 v[8:11], v12, s[2:3]
	global_load_b128 v[12:15], v12, s[2:3] offset:16
	s_waitcnt vmcnt(1)
	v_dual_add_f32 v9, v9, v1 :: v_dual_add_f32 v8, v8, v0
	v_dual_add_f32 v11, v11, v3 :: v_dual_add_f32 v10, v10, v2
	s_waitcnt vmcnt(0)
	v_dual_add_f32 v13, v13, v5 :: v_dual_add_f32 v12, v12, v4
	v_dual_add_f32 v15, v15, v7 :: v_dual_add_f32 v14, v14, v6
	s_cbranch_execnz .LBB105_6
.LBB105_5:
	v_dual_mov_b32 v15, v7 :: v_dual_mov_b32 v14, v6
	v_dual_mov_b32 v13, v5 :: v_dual_mov_b32 v12, v4
	;; [unrolled: 1-line block ×4, first 2 shown]
.LBB105_6:
	s_load_b128 s[4:7], s[0:1], 0x30
	v_cmp_eq_u32_e64 s2, 0, v17
	s_waitcnt lgkmcnt(0)
	s_bitcmp1_b32 s7, 0
	s_mov_b32 s7, 0
	s_cselect_b32 vcc_lo, -1, 0
	s_cmp_gt_i32 s4, 0
	s_cselect_b32 s3, -1, 0
	s_cmp_lt_i32 s4, 1
	s_cbranch_scc1 .LBB105_40
; %bb.7:
	s_load_b128 s[8:11], s[0:1], 0x20
	v_mul_lo_u32 v26, v16, s4
	v_mov_b32_e32 v25, 0
	v_mov_b32_e32 v27, v16
	s_branch .LBB105_10
.LBB105_8:                              ;   in Loop: Header=BB105_10 Depth=1
	s_or_b32 exec_lo, exec_lo, s1
.LBB105_9:                              ;   in Loop: Header=BB105_10 Depth=1
	v_add_nc_u32_e32 v27, s14, v27
	s_cmp_eq_u32 s4, s7
	s_cbranch_scc1 .LBB105_41
.LBB105_10:                             ; =>This Inner Loop Header: Depth=1
	v_cmp_gt_f32_e64 s0, v9, v8
	s_mov_b32 s17, exec_lo
	s_delay_alu instid0(VALU_DEP_1) | instskip(SKIP_2) | instid1(VALU_DEP_3)
	v_cndmask_b32_e64 v28, v8, v9, s0
	v_cndmask_b32_e64 v29, 0, 1, s0
	;; [unrolled: 1-line block ×3, first 2 shown]
	v_cmp_gt_f32_e64 s1, v10, v28
	s_delay_alu instid0(VALU_DEP_1) | instskip(NEXT) | instid1(VALU_DEP_4)
	v_cndmask_b32_e64 v28, v28, v10, s1
	v_cndmask_b32_e64 v29, v29, 2, s1
	s_delay_alu instid0(VALU_DEP_4) | instskip(NEXT) | instid1(VALU_DEP_3)
	v_cndmask_b32_e64 v30, v30, v2, s1
	v_cmp_gt_f32_e64 s0, v11, v28
	s_delay_alu instid0(VALU_DEP_1) | instskip(NEXT) | instid1(VALU_DEP_4)
	v_cndmask_b32_e64 v28, v28, v11, s0
	v_cndmask_b32_e64 v29, v29, 3, s0
	s_delay_alu instid0(VALU_DEP_4) | instskip(NEXT) | instid1(VALU_DEP_3)
	v_cndmask_b32_e64 v30, v30, v3, s0
	v_cmp_gt_f32_e64 s1, v12, v28
	s_delay_alu instid0(VALU_DEP_1) | instskip(NEXT) | instid1(VALU_DEP_4)
	v_cndmask_b32_e64 v28, v28, v12, s1
	v_cndmask_b32_e64 v29, v29, 4, s1
	s_delay_alu instid0(VALU_DEP_4) | instskip(NEXT) | instid1(VALU_DEP_3)
	v_cndmask_b32_e64 v30, v30, v4, s1
	v_cmp_gt_f32_e64 s0, v13, v28
	s_delay_alu instid0(VALU_DEP_1) | instskip(NEXT) | instid1(VALU_DEP_4)
	v_cndmask_b32_e64 v28, v28, v13, s0
	v_cndmask_b32_e64 v29, v29, 5, s0
	s_delay_alu instid0(VALU_DEP_4) | instskip(NEXT) | instid1(VALU_DEP_3)
	v_cndmask_b32_e64 v30, v30, v5, s0
	v_cmp_gt_f32_e64 s1, v14, v28
	s_delay_alu instid0(VALU_DEP_1) | instskip(NEXT) | instid1(VALU_DEP_4)
	v_cndmask_b32_e64 v28, v28, v14, s1
	v_cndmask_b32_e64 v29, v29, 6, s1
	s_waitcnt lgkmcnt(0)
	v_cndmask_b32_e64 v31, v30, v6, s1
	s_delay_alu instid0(VALU_DEP_3) | instskip(NEXT) | instid1(VALU_DEP_1)
	v_cmp_gt_f32_e64 s0, v15, v28
	v_cndmask_b32_e64 v30, v28, v15, s0
	v_cndmask_b32_e64 v28, v29, 7, s0
	s_delay_alu instid0(VALU_DEP_4)
	v_cndmask_b32_e64 v29, v31, v7, s0
	ds_bpermute_b32 v31, v18, v30
	v_or_b32_e32 v28, v24, v28
	ds_bpermute_b32 v33, v18, v29
	ds_bpermute_b32 v32, v18, v28
	s_waitcnt lgkmcnt(0)
	v_cmp_lt_f32_e64 s16, v30, v31
	v_cmpx_nlt_f32_e32 v30, v31
; %bb.11:                               ;   in Loop: Header=BB105_10 Depth=1
	v_cmp_eq_f32_e64 s0, v30, v31
	v_cmp_lt_i32_e64 s1, v32, v28
	s_delay_alu instid0(VALU_DEP_1) | instskip(SKIP_2) | instid1(SALU_CYCLE_1)
	s_and_b32 s0, s0, s1
	s_and_not1_b32 s1, s16, exec_lo
	s_and_b32 s0, s0, exec_lo
	s_or_b32 s16, s1, s0
; %bb.12:                               ;   in Loop: Header=BB105_10 Depth=1
	s_or_b32 exec_lo, exec_lo, s17
	s_and_saveexec_b32 s0, s16
; %bb.13:                               ;   in Loop: Header=BB105_10 Depth=1
	v_dual_mov_b32 v29, v33 :: v_dual_mov_b32 v30, v31
	v_mov_b32_e32 v28, v32
; %bb.14:                               ;   in Loop: Header=BB105_10 Depth=1
	s_or_b32 exec_lo, exec_lo, s0
	ds_bpermute_b32 v32, v19, v30
	ds_bpermute_b32 v33, v19, v29
	;; [unrolled: 1-line block ×3, first 2 shown]
	s_mov_b32 s17, exec_lo
	s_waitcnt lgkmcnt(2)
	v_cmp_lt_f32_e64 s16, v30, v32
	v_cmpx_nlt_f32_e32 v30, v32
	s_cbranch_execz .LBB105_16
; %bb.15:                               ;   in Loop: Header=BB105_10 Depth=1
	v_cmp_eq_f32_e64 s0, v30, v32
	s_waitcnt lgkmcnt(0)
	v_cmp_lt_i32_e64 s1, v31, v28
	s_delay_alu instid0(VALU_DEP_1) | instskip(SKIP_2) | instid1(SALU_CYCLE_1)
	s_and_b32 s0, s0, s1
	s_and_not1_b32 s1, s16, exec_lo
	s_and_b32 s0, s0, exec_lo
	s_or_b32 s16, s1, s0
.LBB105_16:                             ;   in Loop: Header=BB105_10 Depth=1
	s_or_b32 exec_lo, exec_lo, s17
	s_delay_alu instid0(VALU_DEP_2)
	s_and_saveexec_b32 s0, s16
	s_cbranch_execz .LBB105_18
; %bb.17:                               ;   in Loop: Header=BB105_10 Depth=1
	s_waitcnt lgkmcnt(1)
	v_dual_mov_b32 v29, v33 :: v_dual_mov_b32 v30, v32
	s_waitcnt lgkmcnt(0)
	v_mov_b32_e32 v28, v31
.LBB105_18:                             ;   in Loop: Header=BB105_10 Depth=1
	s_or_b32 exec_lo, exec_lo, s0
	ds_bpermute_b32 v32, v20, v30
	s_waitcnt lgkmcnt(2)
	ds_bpermute_b32 v33, v20, v29
	s_waitcnt lgkmcnt(2)
	ds_bpermute_b32 v31, v20, v28
	s_mov_b32 s17, exec_lo
	s_waitcnt lgkmcnt(2)
	v_cmp_lt_f32_e64 s16, v30, v32
	v_cmpx_nlt_f32_e32 v30, v32
	s_cbranch_execz .LBB105_20
; %bb.19:                               ;   in Loop: Header=BB105_10 Depth=1
	v_cmp_eq_f32_e64 s0, v30, v32
	s_waitcnt lgkmcnt(0)
	v_cmp_lt_i32_e64 s1, v31, v28
	s_delay_alu instid0(VALU_DEP_1) | instskip(SKIP_2) | instid1(SALU_CYCLE_1)
	s_and_b32 s0, s0, s1
	s_and_not1_b32 s1, s16, exec_lo
	s_and_b32 s0, s0, exec_lo
	s_or_b32 s16, s1, s0
.LBB105_20:                             ;   in Loop: Header=BB105_10 Depth=1
	s_or_b32 exec_lo, exec_lo, s17
	s_delay_alu instid0(VALU_DEP_2)
	s_and_saveexec_b32 s0, s16
	s_cbranch_execz .LBB105_22
; %bb.21:                               ;   in Loop: Header=BB105_10 Depth=1
	s_waitcnt lgkmcnt(1)
	v_dual_mov_b32 v29, v33 :: v_dual_mov_b32 v30, v32
	s_waitcnt lgkmcnt(0)
	v_mov_b32_e32 v28, v31
.LBB105_22:                             ;   in Loop: Header=BB105_10 Depth=1
	s_or_b32 exec_lo, exec_lo, s0
	ds_bpermute_b32 v32, v21, v30
	s_waitcnt lgkmcnt(2)
	ds_bpermute_b32 v33, v21, v29
	s_waitcnt lgkmcnt(2)
	ds_bpermute_b32 v31, v21, v28
	;; [unrolled: 31-line block ×3, first 2 shown]
	s_mov_b32 s17, exec_lo
	s_waitcnt lgkmcnt(2)
	v_cmp_lt_f32_e64 s16, v30, v32
	v_cmpx_nlt_f32_e32 v30, v32
	s_cbranch_execz .LBB105_28
; %bb.27:                               ;   in Loop: Header=BB105_10 Depth=1
	v_cmp_eq_f32_e64 s0, v30, v32
	s_waitcnt lgkmcnt(0)
	v_cmp_lt_i32_e64 s1, v31, v28
	s_delay_alu instid0(VALU_DEP_1) | instskip(SKIP_2) | instid1(SALU_CYCLE_1)
	s_and_b32 s0, s0, s1
	s_and_not1_b32 s1, s16, exec_lo
	s_and_b32 s0, s0, exec_lo
	s_or_b32 s16, s1, s0
.LBB105_28:                             ;   in Loop: Header=BB105_10 Depth=1
	s_or_b32 exec_lo, exec_lo, s17
	s_delay_alu instid0(VALU_DEP_2)
	s_and_saveexec_b32 s0, s16
	s_cbranch_execz .LBB105_30
; %bb.29:                               ;   in Loop: Header=BB105_10 Depth=1
	s_waitcnt lgkmcnt(1)
	v_dual_mov_b32 v29, v33 :: v_dual_mov_b32 v30, v32
	s_waitcnt lgkmcnt(0)
	v_mov_b32_e32 v28, v31
.LBB105_30:                             ;   in Loop: Header=BB105_10 Depth=1
	s_or_b32 exec_lo, exec_lo, s0
	s_waitcnt lgkmcnt(1)
	ds_bpermute_b32 v33, v23, v30
	ds_bpermute_b32 v32, v23, v29
	s_waitcnt lgkmcnt(2)
	ds_bpermute_b32 v31, v23, v28
	s_mov_b32 s17, exec_lo
	s_waitcnt lgkmcnt(2)
	v_cmp_lt_f32_e64 s16, v30, v33
	v_cmpx_nlt_f32_e32 v30, v33
	s_cbranch_execnz .LBB105_34
; %bb.31:                               ;   in Loop: Header=BB105_10 Depth=1
	s_or_b32 exec_lo, exec_lo, s17
	s_delay_alu instid0(VALU_DEP_2)
	s_and_saveexec_b32 s0, s16
	s_cbranch_execnz .LBB105_35
.LBB105_32:                             ;   in Loop: Header=BB105_10 Depth=1
	s_or_b32 exec_lo, exec_lo, s0
	s_and_saveexec_b32 s16, s2
	s_cbranch_execnz .LBB105_36
.LBB105_33:                             ;   in Loop: Header=BB105_10 Depth=1
	s_or_b32 exec_lo, exec_lo, s16
	s_add_i32 s7, s7, 1
	s_delay_alu instid0(SALU_CYCLE_1)
	s_cmp_ge_i32 s7, s4
	s_cbranch_scc1 .LBB105_9
	s_branch .LBB105_37
.LBB105_34:                             ;   in Loop: Header=BB105_10 Depth=1
	v_cmp_eq_f32_e64 s0, v30, v33
	s_waitcnt lgkmcnt(0)
	v_cmp_lt_i32_e64 s1, v31, v28
	s_delay_alu instid0(VALU_DEP_1) | instskip(SKIP_2) | instid1(SALU_CYCLE_1)
	s_and_b32 s0, s0, s1
	s_and_not1_b32 s1, s16, exec_lo
	s_and_b32 s0, s0, exec_lo
	s_or_b32 s16, s1, s0
	s_or_b32 exec_lo, exec_lo, s17
	s_and_saveexec_b32 s0, s16
	s_cbranch_execz .LBB105_32
.LBB105_35:                             ;   in Loop: Header=BB105_10 Depth=1
	s_waitcnt lgkmcnt(0)
	v_dual_mov_b32 v29, v32 :: v_dual_mov_b32 v28, v31
	s_or_b32 exec_lo, exec_lo, s0
	s_and_saveexec_b32 s16, s2
	s_cbranch_execz .LBB105_33
.LBB105_36:                             ;   in Loop: Header=BB105_10 Depth=1
	s_delay_alu instid0(VALU_DEP_1)
	v_dual_add_f32 v37, v25, v29 :: v_dual_add_nc_u32 v30, s7, v26
	v_cmp_le_i32_e64 s0, s5, v28
	v_cmp_gt_i32_e64 s1, s6, v28
	s_waitcnt lgkmcnt(1)
	v_subrev_nc_u32_e32 v32, s5, v28
	s_waitcnt lgkmcnt(0)
	v_ashrrev_i32_e32 v31, 31, v30
	v_cndmask_b32_e32 v25, v25, v37, vcc_lo
	s_and_b32 s0, s0, s1
	s_delay_alu instid0(SALU_CYCLE_1) | instskip(NEXT) | instid1(VALU_DEP_2)
	s_and_b32 s0, s15, s0
	v_lshlrev_b64 v[30:31], 2, v[30:31]
	v_cndmask_b32_e64 v36, 0x200, v32, s0
	s_delay_alu instid0(VALU_DEP_2) | instskip(NEXT) | instid1(VALU_DEP_1)
	v_add_co_u32 v32, s0, s12, v30
	v_add_co_ci_u32_e64 v33, s0, s13, v31, s0
	v_add_co_u32 v34, s0, s8, v30
	s_delay_alu instid0(VALU_DEP_1) | instskip(SKIP_1) | instid1(VALU_DEP_1)
	v_add_co_ci_u32_e64 v35, s0, s9, v31, s0
	v_add_co_u32 v30, s0, s10, v30
	v_add_co_ci_u32_e64 v31, s0, s11, v31, s0
	global_store_b32 v[32:33], v29, off
	global_store_b32 v[34:35], v36, off
	;; [unrolled: 1-line block ×3, first 2 shown]
	s_or_b32 exec_lo, exec_lo, s16
	s_add_i32 s7, s7, 1
	s_delay_alu instid0(SALU_CYCLE_1)
	s_cmp_ge_i32 s7, s4
	s_cbranch_scc1 .LBB105_9
.LBB105_37:                             ;   in Loop: Header=BB105_10 Depth=1
	v_ashrrev_i32_e32 v29, 31, v28
	s_mov_b32 s1, exec_lo
	s_delay_alu instid0(VALU_DEP_1) | instskip(NEXT) | instid1(VALU_DEP_1)
	v_lshrrev_b32_e32 v30, 29, v29
	v_add_nc_u32_e32 v30, v28, v30
	s_waitcnt lgkmcnt(0)
	s_delay_alu instid0(VALU_DEP_1) | instskip(SKIP_1) | instid1(VALU_DEP_2)
	v_ashrrev_i32_e32 v31, 31, v30
	v_ashrrev_i32_e32 v30, 3, v30
	v_lshrrev_b32_e32 v31, 26, v31
	s_delay_alu instid0(VALU_DEP_1) | instskip(NEXT) | instid1(VALU_DEP_1)
	v_add_nc_u32_e32 v31, v30, v31
	v_and_b32_e32 v31, 0xffffffc0, v31
	s_delay_alu instid0(VALU_DEP_1) | instskip(NEXT) | instid1(VALU_DEP_1)
	v_sub_nc_u32_e32 v31, v30, v31
	v_cmpx_eq_u32_e64 v17, v31
	s_cbranch_execz .LBB105_8
; %bb.38:                               ;   in Loop: Header=BB105_10 Depth=1
	v_lshrrev_b32_e32 v29, 23, v29
	v_lshlrev_b32_e32 v30, 3, v30
	s_delay_alu instid0(VALU_DEP_2) | instskip(NEXT) | instid1(VALU_DEP_2)
	v_add_nc_u32_e32 v29, v28, v29
	v_sub_nc_u32_e32 v28, v28, v30
	s_delay_alu instid0(VALU_DEP_2) | instskip(NEXT) | instid1(VALU_DEP_1)
	v_ashrrev_i32_e32 v29, 9, v29
	v_lshl_add_u32 v28, v29, 3, v28
	s_delay_alu instid0(VALU_DEP_1) | instskip(NEXT) | instid1(VALU_DEP_1)
	v_cmp_ne_u32_e64 s0, 7, v28
	v_cndmask_b32_e64 v15, 0xc61c4000, v15, s0
	v_cmp_ne_u32_e64 s0, 6, v28
	s_delay_alu instid0(VALU_DEP_1) | instskip(SKIP_1) | instid1(VALU_DEP_1)
	v_cndmask_b32_e64 v14, 0xc61c4000, v14, s0
	v_cmp_ne_u32_e64 s0, 5, v28
	v_cndmask_b32_e64 v13, 0xc61c4000, v13, s0
	v_cmp_ne_u32_e64 s0, 4, v28
	s_delay_alu instid0(VALU_DEP_1) | instskip(SKIP_1) | instid1(VALU_DEP_1)
	v_cndmask_b32_e64 v12, 0xc61c4000, v12, s0
	;; [unrolled: 5-line block ×3, first 2 shown]
	v_cmp_ne_u32_e64 s0, 1, v28
	v_cndmask_b32_e64 v9, 0xc61c4000, v9, s0
	v_cmp_ne_u32_e64 s0, 0, v28
	s_delay_alu instid0(VALU_DEP_1)
	v_cndmask_b32_e64 v8, 0xc61c4000, v8, s0
	s_branch .LBB105_8
.LBB105_39:
                                        ; implicit-def: $vgpr8_vgpr9_vgpr10_vgpr11_vgpr12_vgpr13_vgpr14_vgpr15
	s_and_not1_b32 vcc_lo, exec_lo, s8
	s_cbranch_vccz .LBB105_5
	s_branch .LBB105_6
.LBB105_40:
	v_mov_b32_e32 v25, 0
.LBB105_41:
	v_cmp_eq_u32_e64 s0, 0, v17
	s_delay_alu instid0(VALU_DEP_1) | instskip(NEXT) | instid1(SALU_CYCLE_1)
	s_and_b32 s0, s0, vcc_lo
	s_and_b32 exec_lo, exec_lo, s0
	s_cbranch_execz .LBB105_45
; %bb.42:
	s_and_not1_b32 vcc_lo, exec_lo, s3
	s_cbranch_vccnz .LBB105_45
; %bb.43:
	v_mul_lo_u32 v0, v16, s4
	v_cmp_lt_f32_e32 vcc_lo, 0, v25
	v_cndmask_b32_e32 v2, 1.0, v25, vcc_lo
	s_delay_alu instid0(VALU_DEP_3) | instskip(NEXT) | instid1(VALU_DEP_1)
	v_ashrrev_i32_e32 v1, 31, v0
	v_lshlrev_b64 v[0:1], 2, v[0:1]
	s_delay_alu instid0(VALU_DEP_1) | instskip(NEXT) | instid1(VALU_DEP_2)
	v_add_co_u32 v0, vcc_lo, s12, v0
	v_add_co_ci_u32_e32 v1, vcc_lo, s13, v1, vcc_lo
	.p2align	6
.LBB105_44:                             ; =>This Inner Loop Header: Depth=1
	global_load_b32 v3, v[0:1], off
	s_add_i32 s4, s4, -1
	s_delay_alu instid0(SALU_CYCLE_1) | instskip(SKIP_3) | instid1(VALU_DEP_2)
	s_cmp_lg_u32 s4, 0
	s_waitcnt vmcnt(0)
	v_div_scale_f32 v4, null, v2, v2, v3
	v_div_scale_f32 v7, vcc_lo, v3, v2, v3
	v_rcp_f32_e32 v5, v4
	s_waitcnt_depctr 0xfff
	v_fma_f32 v6, -v4, v5, 1.0
	s_delay_alu instid0(VALU_DEP_1) | instskip(NEXT) | instid1(VALU_DEP_1)
	v_fmac_f32_e32 v5, v6, v5
	v_mul_f32_e32 v6, v7, v5
	s_delay_alu instid0(VALU_DEP_1) | instskip(NEXT) | instid1(VALU_DEP_1)
	v_fma_f32 v8, -v4, v6, v7
	v_fmac_f32_e32 v6, v8, v5
	s_delay_alu instid0(VALU_DEP_1) | instskip(NEXT) | instid1(VALU_DEP_1)
	v_fma_f32 v4, -v4, v6, v7
	v_div_fmas_f32 v4, v4, v5, v6
	s_delay_alu instid0(VALU_DEP_1)
	v_div_fixup_f32 v3, v4, v2, v3
	global_store_b32 v[0:1], v3, off
	v_add_co_u32 v0, vcc_lo, v0, 4
	v_add_co_ci_u32_e32 v1, vcc_lo, 0, v1, vcc_lo
	s_cbranch_scc1 .LBB105_44
.LBB105_45:
	s_nop 0
	s_sendmsg sendmsg(MSG_DEALLOC_VGPRS)
	s_endpgm
	.section	.rodata,"a",@progbits
	.p2align	6, 0x0
	.amdhsa_kernel _ZN4vllm3moe10topkGatingILi8ELi512ELi4ELi16ELi64Ej6__halfLNS0_11ScoringFuncE0EEEvPKT5_PKbPfiPT4_PiiiibPKf
		.amdhsa_group_segment_fixed_size 0
		.amdhsa_private_segment_fixed_size 0
		.amdhsa_kernarg_size 72
		.amdhsa_user_sgpr_count 15
		.amdhsa_user_sgpr_dispatch_ptr 0
		.amdhsa_user_sgpr_queue_ptr 0
		.amdhsa_user_sgpr_kernarg_segment_ptr 1
		.amdhsa_user_sgpr_dispatch_id 0
		.amdhsa_user_sgpr_private_segment_size 0
		.amdhsa_wavefront_size32 1
		.amdhsa_uses_dynamic_stack 0
		.amdhsa_enable_private_segment 0
		.amdhsa_system_sgpr_workgroup_id_x 1
		.amdhsa_system_sgpr_workgroup_id_y 0
		.amdhsa_system_sgpr_workgroup_id_z 0
		.amdhsa_system_sgpr_workgroup_info 0
		.amdhsa_system_vgpr_workitem_id 1
		.amdhsa_next_free_vgpr 40
		.amdhsa_next_free_sgpr 18
		.amdhsa_reserve_vcc 1
		.amdhsa_float_round_mode_32 0
		.amdhsa_float_round_mode_16_64 0
		.amdhsa_float_denorm_mode_32 3
		.amdhsa_float_denorm_mode_16_64 3
		.amdhsa_dx10_clamp 1
		.amdhsa_ieee_mode 1
		.amdhsa_fp16_overflow 0
		.amdhsa_workgroup_processor_mode 1
		.amdhsa_memory_ordered 1
		.amdhsa_forward_progress 0
		.amdhsa_shared_vgpr_count 0
		.amdhsa_exception_fp_ieee_invalid_op 0
		.amdhsa_exception_fp_denorm_src 0
		.amdhsa_exception_fp_ieee_div_zero 0
		.amdhsa_exception_fp_ieee_overflow 0
		.amdhsa_exception_fp_ieee_underflow 0
		.amdhsa_exception_fp_ieee_inexact 0
		.amdhsa_exception_int_div_zero 0
	.end_amdhsa_kernel
	.section	.text._ZN4vllm3moe10topkGatingILi8ELi512ELi4ELi16ELi64Ej6__halfLNS0_11ScoringFuncE0EEEvPKT5_PKbPfiPT4_PiiiibPKf,"axG",@progbits,_ZN4vllm3moe10topkGatingILi8ELi512ELi4ELi16ELi64Ej6__halfLNS0_11ScoringFuncE0EEEvPKT5_PKbPfiPT4_PiiiibPKf,comdat
.Lfunc_end105:
	.size	_ZN4vllm3moe10topkGatingILi8ELi512ELi4ELi16ELi64Ej6__halfLNS0_11ScoringFuncE0EEEvPKT5_PKbPfiPT4_PiiiibPKf, .Lfunc_end105-_ZN4vllm3moe10topkGatingILi8ELi512ELi4ELi16ELi64Ej6__halfLNS0_11ScoringFuncE0EEEvPKT5_PKbPfiPT4_PiiiibPKf
                                        ; -- End function
	.section	.AMDGPU.csdata,"",@progbits
; Kernel info:
; codeLenInByte = 3760
; NumSgprs: 20
; NumVgprs: 40
; ScratchSize: 0
; MemoryBound: 0
; FloatMode: 240
; IeeeMode: 1
; LDSByteSize: 0 bytes/workgroup (compile time only)
; SGPRBlocks: 2
; VGPRBlocks: 4
; NumSGPRsForWavesPerEU: 20
; NumVGPRsForWavesPerEU: 40
; Occupancy: 16
; WaveLimiterHint : 0
; COMPUTE_PGM_RSRC2:SCRATCH_EN: 0
; COMPUTE_PGM_RSRC2:USER_SGPR: 15
; COMPUTE_PGM_RSRC2:TRAP_HANDLER: 0
; COMPUTE_PGM_RSRC2:TGID_X_EN: 1
; COMPUTE_PGM_RSRC2:TGID_Y_EN: 0
; COMPUTE_PGM_RSRC2:TGID_Z_EN: 0
; COMPUTE_PGM_RSRC2:TIDIG_COMP_CNT: 1
	.section	.text._ZN4vllm3moe10topkGatingILi16ELi512ELi4ELi16ELi32Ej6__halfLNS0_11ScoringFuncE0EEEvPKT5_PKbPfiPT4_PiiiibPKf,"axG",@progbits,_ZN4vllm3moe10topkGatingILi16ELi512ELi4ELi16ELi32Ej6__halfLNS0_11ScoringFuncE0EEEvPKT5_PKbPfiPT4_PiiiibPKf,comdat
	.protected	_ZN4vllm3moe10topkGatingILi16ELi512ELi4ELi16ELi32Ej6__halfLNS0_11ScoringFuncE0EEEvPKT5_PKbPfiPT4_PiiiibPKf ; -- Begin function _ZN4vllm3moe10topkGatingILi16ELi512ELi4ELi16ELi32Ej6__halfLNS0_11ScoringFuncE0EEEvPKT5_PKbPfiPT4_PiiiibPKf
	.globl	_ZN4vllm3moe10topkGatingILi16ELi512ELi4ELi16ELi32Ej6__halfLNS0_11ScoringFuncE0EEEvPKT5_PKbPfiPT4_PiiiibPKf
	.p2align	8
	.type	_ZN4vllm3moe10topkGatingILi16ELi512ELi4ELi16ELi32Ej6__halfLNS0_11ScoringFuncE0EEEvPKT5_PKbPfiPT4_PiiiibPKf,@function
_ZN4vllm3moe10topkGatingILi16ELi512ELi4ELi16ELi32Ej6__halfLNS0_11ScoringFuncE0EEEvPKT5_PKbPfiPT4_PiiiibPKf: ; @_ZN4vllm3moe10topkGatingILi16ELi512ELi4ELi16ELi32Ej6__halfLNS0_11ScoringFuncE0EEEvPKT5_PKbPfiPT4_PiiiibPKf
; %bb.0:
	s_load_b32 s14, s[0:1], 0x18
	v_and_b32_e32 v1, 0x3ff, v0
	v_bfe_u32 v0, v0, 10, 10
	s_lshl_b32 s2, s15, 2
	s_delay_alu instid0(VALU_DEP_2) | instskip(NEXT) | instid1(VALU_DEP_1)
	v_lshrrev_b32_e32 v2, 5, v1
	v_add3_u32 v32, s2, v0, v2
	s_mov_b32 s2, exec_lo
	s_waitcnt lgkmcnt(0)
	s_delay_alu instid0(VALU_DEP_1)
	v_cmpx_gt_i32_e64 s14, v32
	s_cbranch_execz .LBB106_41
; %bb.1:
	s_clause 0x1
	s_load_b128 s[4:7], s[0:1], 0x0
	s_load_b64 s[12:13], s[0:1], 0x10
	s_mov_b32 s8, -1
	s_mov_b32 s15, -1
	s_waitcnt lgkmcnt(0)
	s_cmp_eq_u64 s[6:7], 0
	s_cbranch_scc1 .LBB106_3
; %bb.2:
	v_ashrrev_i32_e32 v0, 31, v32
	v_add_co_u32 v2, vcc_lo, s6, v32
	s_delay_alu instid0(VALU_DEP_2) | instskip(SKIP_3) | instid1(VALU_DEP_1)
	v_add_co_ci_u32_e32 v3, vcc_lo, s7, v0, vcc_lo
	global_load_u8 v0, v[2:3], off
	s_waitcnt vmcnt(0)
	v_and_b32_e32 v0, 1, v0
	v_cmp_eq_u32_e32 vcc_lo, 1, v0
	s_xor_b32 s2, vcc_lo, -1
	s_delay_alu instid0(SALU_CYCLE_1)
	s_or_not1_b32 s15, s2, exec_lo
.LBB106_3:
	v_mbcnt_lo_u32_b32 v15, -1, 0
	v_and_b32_e32 v33, 31, v1
	s_load_b64 s[2:3], s[0:1], 0x40
	s_delay_alu instid0(VALU_DEP_2) | instskip(SKIP_2) | instid1(VALU_DEP_2)
	v_xor_b32_e32 v17, 16, v15
	v_lshlrev_b32_e32 v2, 9, v32
	v_xor_b32_e32 v19, 8, v15
	v_ashrrev_i32_e32 v3, 31, v2
	s_delay_alu instid0(VALU_DEP_1) | instskip(SKIP_3) | instid1(VALU_DEP_2)
	v_lshlrev_b64 v[0:1], 1, v[2:3]
	v_lshlrev_b32_e32 v2, 4, v33
	s_waitcnt lgkmcnt(0)
	s_cmp_eq_u64 s[2:3], 0
	v_add_co_u32 v0, vcc_lo, s4, v0
	s_delay_alu instid0(VALU_DEP_3) | instskip(NEXT) | instid1(VALU_DEP_2)
	v_add_co_ci_u32_e32 v1, vcc_lo, s5, v1, vcc_lo
	v_add_co_u32 v4, vcc_lo, v0, v2
	s_delay_alu instid0(VALU_DEP_2)
	v_add_co_ci_u32_e32 v5, vcc_lo, 0, v1, vcc_lo
	v_cmp_gt_i32_e32 vcc_lo, 32, v17
	s_clause 0x1
	global_load_b128 v[0:3], v[4:5], off
	global_load_b128 v[4:7], v[4:5], off offset:512
	v_cndmask_b32_e32 v17, v15, v17, vcc_lo
	v_cmp_gt_i32_e32 vcc_lo, 32, v19
	s_delay_alu instid0(VALU_DEP_2) | instskip(NEXT) | instid1(VALU_DEP_1)
	v_dual_cndmask_b32 v19, v15, v19 :: v_dual_lshlrev_b32 v34, 2, v17
	v_lshlrev_b32_e32 v35, 2, v19
	v_xor_b32_e32 v19, 4, v15
	s_delay_alu instid0(VALU_DEP_1) | instskip(SKIP_1) | instid1(VALU_DEP_1)
	v_cmp_gt_i32_e32 vcc_lo, 32, v19
	v_cndmask_b32_e32 v19, v15, v19, vcc_lo
	v_lshlrev_b32_e32 v36, 2, v19
	v_xor_b32_e32 v19, 2, v15
	s_delay_alu instid0(VALU_DEP_1) | instskip(SKIP_1) | instid1(VALU_DEP_1)
	v_cmp_gt_i32_e32 vcc_lo, 32, v19
	v_cndmask_b32_e32 v19, v15, v19, vcc_lo
	;; [unrolled: 5-line block ×3, first 2 shown]
	v_lshlrev_b32_e32 v38, 2, v15
	s_waitcnt vmcnt(1)
	v_lshrrev_b32_e32 v8, 16, v0
	v_cvt_f32_f16_e32 v0, v0
	v_lshrrev_b32_e32 v9, 16, v1
	v_cvt_f32_f16_e32 v1, v1
	;; [unrolled: 2-line block ×3, first 2 shown]
	v_cvt_f32_f16_e32 v2, v2
	v_cvt_f32_f16_e32 v9, v9
	v_lshrrev_b32_e32 v12, 16, v3
	v_cvt_f32_f16_e32 v10, v10
	v_max_f32_e32 v11, v0, v8
	v_cvt_f32_f16_e32 v3, v3
	s_waitcnt vmcnt(0)
	v_lshrrev_b32_e32 v13, 16, v4
	v_cvt_f32_f16_e32 v12, v12
	v_cvt_f32_f16_e32 v4, v4
	v_max3_f32 v11, v11, v1, v9
	v_lshrrev_b32_e32 v14, 16, v5
	v_cvt_f32_f16_e32 v13, v13
	v_cvt_f32_f16_e32 v5, v5
	v_lshrrev_b32_e32 v16, 16, v6
	v_max3_f32 v11, v11, v2, v10
	v_cvt_f32_f16_e32 v14, v14
	v_cvt_f32_f16_e32 v6, v6
	v_lshrrev_b32_e32 v18, 16, v7
	v_cvt_f32_f16_e32 v16, v16
	v_max3_f32 v11, v11, v3, v12
	v_cvt_f32_f16_e32 v7, v7
	s_delay_alu instid0(VALU_DEP_4) | instskip(NEXT) | instid1(VALU_DEP_3)
	v_cvt_f32_f16_e32 v18, v18
	v_max3_f32 v11, v11, v4, v13
	s_delay_alu instid0(VALU_DEP_1) | instskip(NEXT) | instid1(VALU_DEP_1)
	v_max3_f32 v11, v11, v5, v14
	v_max3_f32 v11, v11, v6, v16
	s_delay_alu instid0(VALU_DEP_1) | instskip(SKIP_3) | instid1(VALU_DEP_1)
	v_max3_f32 v11, v11, v7, v18
	ds_bpermute_b32 v17, v34, v11
	s_waitcnt lgkmcnt(0)
	v_max_f32_e32 v17, v17, v17
	v_max_f32_e32 v11, v11, v17
	ds_bpermute_b32 v17, v35, v11
	s_waitcnt lgkmcnt(0)
	v_max_f32_e32 v17, v17, v17
	s_delay_alu instid0(VALU_DEP_1) | instskip(SKIP_3) | instid1(VALU_DEP_1)
	v_max_f32_e32 v11, v11, v17
	ds_bpermute_b32 v17, v36, v11
	s_waitcnt lgkmcnt(0)
	v_max_f32_e32 v17, v17, v17
	v_max_f32_e32 v11, v11, v17
	ds_bpermute_b32 v17, v37, v11
	s_waitcnt lgkmcnt(0)
	v_max_f32_e32 v17, v17, v17
	s_delay_alu instid0(VALU_DEP_1) | instskip(SKIP_3) | instid1(VALU_DEP_1)
	v_max_f32_e32 v11, v11, v17
	ds_bpermute_b32 v15, v38, v11
	s_waitcnt lgkmcnt(0)
	v_max_f32_e32 v15, v15, v15
	v_max_f32_e32 v11, v11, v15
	s_delay_alu instid0(VALU_DEP_1)
	v_sub_f32_e32 v0, v0, v11
	v_sub_f32_e32 v8, v8, v11
	;; [unrolled: 1-line block ×6, first 2 shown]
	v_dual_sub_f32 v14, v14, v11 :: v_dual_mul_f32 v17, 0x3fb8aa3b, v8
	v_dual_sub_f32 v6, v6, v11 :: v_dual_mul_f32 v23, 0x3fb8aa3b, v12
	v_cmp_ngt_f32_e32 vcc_lo, 0xc2ce8ed0, v0
	v_dual_sub_f32 v7, v7, v11 :: v_dual_mul_f32 v24, 0x3fb8aa3b, v4
	v_mul_f32_e32 v20, 0x3fb8aa3b, v2
	v_mul_f32_e32 v21, 0x3fb8aa3b, v10
	;; [unrolled: 1-line block ×3, first 2 shown]
	s_delay_alu instid0(VALU_DEP_4)
	v_mul_f32_e32 v30, 0x3fb8aa3b, v7
	v_rndne_f32_e32 v56, v24
	v_sub_f32_e32 v3, v3, v11
	v_fma_f32 v47, 0x3fb8aa3b, v2, -v20
	v_rndne_f32_e32 v48, v20
	v_fma_f32 v55, 0x3fb8aa3b, v4, -v24
	v_sub_f32_e32 v24, v24, v56
	v_rndne_f32_e32 v64, v28
	v_sub_f32_e32 v5, v5, v11
	v_rndne_f32_e32 v68, v30
	v_dual_sub_f32 v15, v16, v11 :: v_dual_mul_f32 v16, 0x3fb8aa3b, v0
	v_mul_f32_e32 v22, 0x3fb8aa3b, v3
	v_fma_f32 v63, 0x3fb8aa3b, v6, -v28
	v_dual_sub_f32 v1, v1, v11 :: v_dual_sub_f32 v20, v20, v48
	v_fma_f32 v41, 0x3fb8aa3b, v8, -v17
	v_rndne_f32_e32 v42, v17
	v_fmac_f32_e32 v47, 0x32a5705f, v2
	v_rndne_f32_e32 v50, v21
	v_fma_f32 v49, 0x3fb8aa3b, v10, -v21
	v_rndne_f32_e32 v54, v23
	v_fma_f32 v39, 0x3fb8aa3b, v0, -v16
	v_rndne_f32_e32 v40, v16
	v_sub_f32_e32 v28, v28, v64
	v_mul_f32_e32 v26, 0x3fb8aa3b, v5
	v_fma_f32 v51, 0x3fb8aa3b, v3, -v22
	v_rndne_f32_e32 v52, v22
	v_sub_f32_e32 v9, v9, v11
	v_dual_fmac_f32 v39, 0x32a5705f, v0 :: v_dual_add_f32 v20, v20, v47
	v_rndne_f32_e32 v60, v26
	v_dual_sub_f32 v13, v13, v11 :: v_dual_sub_f32 v16, v16, v40
	v_fma_f32 v59, 0x3fb8aa3b, v5, -v26
	v_dual_fmac_f32 v51, 0x32a5705f, v3 :: v_dual_sub_f32 v22, v22, v52
	v_mul_f32_e32 v19, 0x3fb8aa3b, v9
	v_fmac_f32_e32 v41, 0x32a5705f, v8
	v_fmac_f32_e32 v55, 0x32a5705f, v4
	v_dual_sub_f32 v17, v17, v42 :: v_dual_sub_f32 v26, v26, v60
	v_dual_mul_f32 v25, 0x3fb8aa3b, v13 :: v_dual_add_f32 v16, v16, v39
	v_add_f32_e32 v22, v22, v51
	s_delay_alu instid0(VALU_DEP_3) | instskip(SKIP_1) | instid1(VALU_DEP_4)
	v_dual_add_f32 v24, v24, v55 :: v_dual_add_f32 v17, v17, v41
	v_cvt_i32_f32_e32 v40, v40
	v_exp_f32_e32 v16, v16
	v_cvt_i32_f32_e32 v42, v42
	v_fma_f32 v45, 0x3fb8aa3b, v9, -v19
	v_exp_f32_e32 v17, v17
	v_fmac_f32_e32 v63, 0x32a5705f, v6
	v_fmac_f32_e32 v59, 0x32a5705f, v5
	v_rndne_f32_e32 v46, v19
	v_fmac_f32_e32 v45, 0x32a5705f, v9
	v_cvt_i32_f32_e32 v64, v64
	v_add_f32_e32 v28, v28, v63
	v_ldexp_f32 v16, v16, v40
	v_fma_f32 v53, 0x3fb8aa3b, v12, -v23
	v_exp_f32_e32 v20, v20
	v_ldexp_f32 v17, v17, v42
	v_exp_f32_e32 v28, v28
	v_cndmask_b32_e32 v16, 0, v16, vcc_lo
	v_cmp_ngt_f32_e32 vcc_lo, 0xc2ce8ed0, v8
	v_fma_f32 v67, 0x3fb8aa3b, v7, -v30
	v_sub_f32_e32 v30, v30, v68
	v_add_f32_e32 v26, v26, v59
	v_cvt_i32_f32_e32 v48, v48
	v_cndmask_b32_e32 v17, 0, v17, vcc_lo
	v_cmp_ngt_f32_e32 vcc_lo, 0xc2ce8ed0, v1
	v_dual_sub_f32 v11, v18, v11 :: v_dual_mul_f32 v18, 0x3fb8aa3b, v1
	v_ldexp_f32 v28, v28, v64
	v_fmac_f32_e32 v67, 0x32a5705f, v7
	v_sub_f32_e32 v19, v19, v46
	v_cvt_i32_f32_e32 v46, v46
	v_fma_f32 v43, 0x3fb8aa3b, v1, -v18
	v_rndne_f32_e32 v44, v18
	s_delay_alu instid0(VALU_DEP_4) | instskip(SKIP_1) | instid1(VALU_DEP_3)
	v_dual_add_f32 v30, v30, v67 :: v_dual_add_f32 v19, v19, v45
	v_ldexp_f32 v20, v20, v48
	v_dual_fmac_f32 v43, 0x32a5705f, v1 :: v_dual_sub_f32 v18, v18, v44
	v_mul_f32_e32 v27, 0x3fb8aa3b, v14
	v_cvt_i32_f32_e32 v44, v44
	v_exp_f32_e32 v19, v19
	v_exp_f32_e32 v22, v22
	v_add_f32_e32 v18, v18, v43
	v_cvt_i32_f32_e32 v52, v52
	v_rndne_f32_e32 v58, v25
	v_fma_f32 v57, 0x3fb8aa3b, v13, -v25
	v_exp_f32_e32 v24, v24
	v_exp_f32_e32 v18, v18
	v_cvt_i32_f32_e32 v56, v56
	v_exp_f32_e32 v30, v30
	v_ldexp_f32 v19, v19, v46
	v_ldexp_f32 v22, v22, v52
	v_cvt_i32_f32_e32 v68, v68
	v_fma_f32 v61, 0x3fb8aa3b, v14, -v27
	v_rndne_f32_e32 v62, v27
	v_exp_f32_e32 v26, v26
	v_ldexp_f32 v24, v24, v56
	v_ldexp_f32 v18, v18, v44
	v_cvt_i32_f32_e32 v60, v60
	v_ldexp_f32 v30, v30, v68
	s_delay_alu instid0(VALU_DEP_3) | instskip(SKIP_3) | instid1(TRANS32_DEP_1)
	v_cndmask_b32_e32 v18, 0, v18, vcc_lo
	v_cmp_nlt_f32_e32 vcc_lo, 0x42b17218, v0
	v_sub_f32_e32 v21, v21, v50
	v_cvt_i32_f32_e32 v50, v50
	v_ldexp_f32 v26, v26, v60
	v_cndmask_b32_e32 v0, 0x7f800000, v16, vcc_lo
	v_cmp_nlt_f32_e32 vcc_lo, 0x42b17218, v8
	v_sub_f32_e32 v23, v23, v54
	v_cvt_i32_f32_e32 v54, v54
	v_cndmask_b32_e32 v8, 0x7f800000, v17, vcc_lo
	v_cmp_ngt_f32_e32 vcc_lo, 0xc2ce8ed0, v9
	s_delay_alu instid0(VALU_DEP_2)
	v_dual_add_f32 v17, v0, v8 :: v_dual_cndmask_b32 v16, 0, v19
	v_cmp_nlt_f32_e32 vcc_lo, 0x42b17218, v1
	v_cndmask_b32_e32 v1, 0x7f800000, v18, vcc_lo
	v_cmp_ngt_f32_e32 vcc_lo, 0xc2ce8ed0, v2
	v_mul_f32_e32 v29, 0x3fb8aa3b, v15
	v_dual_mul_f32 v31, 0x3fb8aa3b, v11 :: v_dual_cndmask_b32 v18, 0, v20
	v_cmp_nlt_f32_e32 vcc_lo, 0x42b17218, v9
	s_delay_alu instid0(VALU_DEP_3)
	v_fma_f32 v65, 0x3fb8aa3b, v15, -v29
	v_rndne_f32_e32 v66, v29
	v_dual_cndmask_b32 v9, 0x7f800000, v16 :: v_dual_add_f32 v16, v17, v1
	v_fmac_f32_e32 v49, 0x32a5705f, v10
	v_cmp_ngt_f32_e32 vcc_lo, 0xc2ce8ed0, v10
	v_rndne_f32_e32 v70, v31
	v_fma_f32 v69, 0x3fb8aa3b, v11, -v31
	v_add_f32_e32 v16, v16, v9
	v_add_f32_e32 v21, v21, v49
	s_delay_alu instid0(VALU_DEP_1) | instskip(SKIP_2) | instid1(VALU_DEP_1)
	v_exp_f32_e32 v21, v21
	s_waitcnt_depctr 0xfff
	v_ldexp_f32 v21, v21, v50
	v_cndmask_b32_e32 v17, 0, v21, vcc_lo
	v_cmp_nlt_f32_e32 vcc_lo, 0x42b17218, v2
	v_cndmask_b32_e32 v2, 0x7f800000, v18, vcc_lo
	v_fmac_f32_e32 v53, 0x32a5705f, v12
	v_cmp_ngt_f32_e32 vcc_lo, 0xc2ce8ed0, v3
	s_delay_alu instid0(VALU_DEP_2)
	v_dual_add_f32 v16, v16, v2 :: v_dual_add_f32 v23, v23, v53
	v_cndmask_b32_e32 v18, 0, v22, vcc_lo
	v_cmp_nlt_f32_e32 vcc_lo, 0x42b17218, v10
	v_sub_f32_e32 v25, v25, v58
	v_cvt_i32_f32_e32 v58, v58
	v_exp_f32_e32 v23, v23
	v_cndmask_b32_e32 v10, 0x7f800000, v17, vcc_lo
	v_cmp_ngt_f32_e32 vcc_lo, 0xc2ce8ed0, v12
	s_delay_alu instid0(VALU_DEP_2) | instskip(SKIP_2) | instid1(VALU_DEP_1)
	v_add_f32_e32 v16, v16, v10
	s_waitcnt_depctr 0xfff
	v_ldexp_f32 v23, v23, v54
	v_cndmask_b32_e32 v17, 0, v23, vcc_lo
	v_cmp_nlt_f32_e32 vcc_lo, 0x42b17218, v3
	v_cndmask_b32_e32 v3, 0x7f800000, v18, vcc_lo
	v_cmp_ngt_f32_e32 vcc_lo, 0xc2ce8ed0, v4
	s_delay_alu instid0(VALU_DEP_2) | instskip(NEXT) | instid1(VALU_DEP_1)
	v_dual_fmac_f32 v57, 0x32a5705f, v13 :: v_dual_add_f32 v16, v16, v3
	v_dual_cndmask_b32 v18, 0, v24 :: v_dual_add_f32 v25, v25, v57
	v_cmp_nlt_f32_e32 vcc_lo, 0x42b17218, v12
	v_sub_f32_e32 v27, v27, v62
	v_cvt_i32_f32_e32 v62, v62
	s_delay_alu instid0(VALU_DEP_4) | instskip(SKIP_3) | instid1(VALU_DEP_2)
	v_exp_f32_e32 v25, v25
	v_cndmask_b32_e32 v12, 0x7f800000, v17, vcc_lo
	v_fmac_f32_e32 v61, 0x32a5705f, v14
	v_cmp_ngt_f32_e32 vcc_lo, 0xc2ce8ed0, v13
	v_dual_add_f32 v16, v16, v12 :: v_dual_add_f32 v27, v27, v61
	s_waitcnt_depctr 0xfff
	v_ldexp_f32 v25, v25, v58
	v_exp_f32_e32 v27, v27
	s_delay_alu instid0(VALU_DEP_1)
	v_cndmask_b32_e32 v17, 0, v25, vcc_lo
	v_cmp_nlt_f32_e32 vcc_lo, 0x42b17218, v4
	v_cndmask_b32_e32 v4, 0x7f800000, v18, vcc_lo
	v_cmp_ngt_f32_e32 vcc_lo, 0xc2ce8ed0, v5
	v_fmac_f32_e32 v65, 0x32a5705f, v15
	s_waitcnt_depctr 0xfff
	v_ldexp_f32 v27, v27, v62
	v_add_f32_e32 v16, v16, v4
	v_cndmask_b32_e32 v18, 0, v26, vcc_lo
	v_cmp_nlt_f32_e32 vcc_lo, 0x42b17218, v13
	v_cndmask_b32_e32 v13, 0x7f800000, v17, vcc_lo
	v_sub_f32_e32 v29, v29, v66
	v_cmp_ngt_f32_e32 vcc_lo, 0xc2ce8ed0, v14
	v_cvt_i32_f32_e32 v66, v66
	s_delay_alu instid0(VALU_DEP_4) | instskip(NEXT) | instid1(VALU_DEP_4)
	v_add_f32_e32 v16, v16, v13
	v_add_f32_e32 v29, v29, v65
	v_cndmask_b32_e32 v17, 0, v27, vcc_lo
	v_cmp_nlt_f32_e32 vcc_lo, 0x42b17218, v5
	s_delay_alu instid0(VALU_DEP_3) | instskip(SKIP_2) | instid1(VALU_DEP_2)
	v_exp_f32_e32 v29, v29
	v_cndmask_b32_e32 v5, 0x7f800000, v18, vcc_lo
	v_cmp_ngt_f32_e32 vcc_lo, 0xc2ce8ed0, v6
	v_dual_fmac_f32 v69, 0x32a5705f, v11 :: v_dual_add_f32 v16, v16, v5
	v_cndmask_b32_e32 v18, 0, v28, vcc_lo
	v_cmp_nlt_f32_e32 vcc_lo, 0x42b17218, v14
	v_sub_f32_e32 v31, v31, v70
	s_delay_alu instid0(TRANS32_DEP_1) | instskip(SKIP_3) | instid1(VALU_DEP_2)
	v_ldexp_f32 v29, v29, v66
	v_cvt_i32_f32_e32 v70, v70
	v_cndmask_b32_e32 v14, 0x7f800000, v17, vcc_lo
	v_cmp_ngt_f32_e32 vcc_lo, 0xc2ce8ed0, v15
	v_dual_add_f32 v16, v16, v14 :: v_dual_cndmask_b32 v17, 0, v29
	v_cmp_nlt_f32_e32 vcc_lo, 0x42b17218, v6
	v_cndmask_b32_e32 v6, 0x7f800000, v18, vcc_lo
	v_cmp_ngt_f32_e32 vcc_lo, 0xc2ce8ed0, v7
	s_delay_alu instid0(VALU_DEP_2) | instskip(SKIP_4) | instid1(VALU_DEP_2)
	v_add_f32_e32 v16, v16, v6
	v_cndmask_b32_e32 v18, 0, v30, vcc_lo
	v_cmp_nlt_f32_e32 vcc_lo, 0x42b17218, v15
	v_cndmask_b32_e32 v15, 0x7f800000, v17, vcc_lo
	v_cmp_ngt_f32_e32 vcc_lo, 0xc2ce8ed0, v11
	v_dual_add_f32 v16, v16, v15 :: v_dual_add_f32 v31, v31, v69
	s_delay_alu instid0(VALU_DEP_1) | instskip(SKIP_2) | instid1(VALU_DEP_1)
	v_exp_f32_e32 v31, v31
	s_waitcnt_depctr 0xfff
	v_ldexp_f32 v31, v31, v70
	v_cndmask_b32_e32 v17, 0, v31, vcc_lo
	v_cmp_nlt_f32_e32 vcc_lo, 0x42b17218, v7
	v_cndmask_b32_e32 v7, 0x7f800000, v18, vcc_lo
	v_cmp_nlt_f32_e32 vcc_lo, 0x42b17218, v11
	s_delay_alu instid0(VALU_DEP_2) | instskip(NEXT) | instid1(VALU_DEP_1)
	v_dual_add_f32 v16, v16, v7 :: v_dual_cndmask_b32 v11, 0x7f800000, v17
	v_add_f32_e32 v16, v16, v11
	ds_bpermute_b32 v17, v34, v16
	s_waitcnt lgkmcnt(0)
	v_add_f32_e32 v16, v16, v17
	ds_bpermute_b32 v17, v35, v16
	s_waitcnt lgkmcnt(0)
	;; [unrolled: 3-line block ×5, first 2 shown]
	v_add_f32_e32 v16, v16, v17
	s_delay_alu instid0(VALU_DEP_1) | instskip(SKIP_1) | instid1(VALU_DEP_2)
	v_div_scale_f32 v17, null, v16, v16, 1.0
	v_div_scale_f32 v20, vcc_lo, 1.0, v16, 1.0
	v_rcp_f32_e32 v18, v17
	s_waitcnt_depctr 0xfff
	v_fma_f32 v19, -v17, v18, 1.0
	s_delay_alu instid0(VALU_DEP_1) | instskip(NEXT) | instid1(VALU_DEP_1)
	v_fmac_f32_e32 v18, v19, v18
	v_mul_f32_e32 v19, v20, v18
	s_delay_alu instid0(VALU_DEP_1) | instskip(NEXT) | instid1(VALU_DEP_1)
	v_fma_f32 v21, -v17, v19, v20
	v_fmac_f32_e32 v19, v21, v18
	s_delay_alu instid0(VALU_DEP_1) | instskip(NEXT) | instid1(VALU_DEP_1)
	v_fma_f32 v17, -v17, v19, v20
	v_div_fmas_f32 v17, v17, v18, v19
	s_delay_alu instid0(VALU_DEP_1) | instskip(NEXT) | instid1(VALU_DEP_1)
	v_div_fixup_f32 v16, v17, v16, 1.0
	v_mul_f32_e32 v0, v16, v0
	v_mul_f32_e32 v8, v16, v8
	;; [unrolled: 1-line block ×5, first 2 shown]
	v_cmp_class_f32_e64 vcc_lo, v0, 0x1f8
	v_mul_f32_e32 v9, v16, v9
	v_mul_f32_e32 v18, v16, v2
	;; [unrolled: 1-line block ×4, first 2 shown]
	v_cndmask_b32_e32 v0, 0, v0, vcc_lo
	v_cmp_class_f32_e64 vcc_lo, v8, 0x1f8
	v_mul_f32_e32 v23, v16, v7
	v_mul_f32_e32 v21, v16, v5
	;; [unrolled: 1-line block ×4, first 2 shown]
	v_cndmask_b32_e32 v1, 0, v8, vcc_lo
	v_cmp_class_f32_e64 vcc_lo, v17, 0x1f8
	v_mul_f32_e32 v14, v16, v14
	v_cndmask_b32_e32 v2, 0, v17, vcc_lo
	v_cmp_class_f32_e64 vcc_lo, v9, 0x1f8
	v_cndmask_b32_e32 v3, 0, v9, vcc_lo
	v_cmp_class_f32_e64 vcc_lo, v18, 0x1f8
	v_dual_cndmask_b32 v4, 0, v18 :: v_dual_lshlrev_b32 v39, 3, v33
	v_cmp_class_f32_e64 vcc_lo, v10, 0x1f8
	v_cndmask_b32_e32 v5, 0, v10, vcc_lo
	v_cmp_class_f32_e64 vcc_lo, v19, 0x1f8
	v_cndmask_b32_e32 v6, 0, v19, vcc_lo
	;; [unrolled: 2-line block ×5, first 2 shown]
	v_cmp_class_f32_e64 vcc_lo, v21, 0x1f8
	v_mul_f32_e32 v15, v16, v15
	v_mul_f32_e32 v16, v16, v11
	v_cndmask_b32_e32 v10, 0, v21, vcc_lo
	v_cmp_class_f32_e64 vcc_lo, v14, 0x1f8
	v_cndmask_b32_e32 v11, 0, v14, vcc_lo
	v_cmp_class_f32_e64 vcc_lo, v22, 0x1f8
	;; [unrolled: 2-line block ×5, first 2 shown]
	v_cndmask_b32_e32 v15, 0, v16, vcc_lo
	s_cbranch_scc1 .LBB106_35
; %bb.4:
	v_lshlrev_b32_e32 v28, 2, v39
	s_clause 0x3
	global_load_b128 v[16:19], v28, s[2:3]
	global_load_b128 v[20:23], v28, s[2:3] offset:16
	global_load_b128 v[24:27], v28, s[2:3] offset:1024
	;; [unrolled: 1-line block ×3, first 2 shown]
	s_waitcnt vmcnt(3)
	v_dual_add_f32 v17, v17, v1 :: v_dual_add_f32 v16, v16, v0
	v_dual_add_f32 v19, v19, v3 :: v_dual_add_f32 v18, v18, v2
	s_waitcnt vmcnt(2)
	v_dual_add_f32 v21, v21, v5 :: v_dual_add_f32 v20, v20, v4
	v_dual_add_f32 v23, v23, v7 :: v_dual_add_f32 v22, v22, v6
	;; [unrolled: 3-line block ×4, first 2 shown]
	s_cbranch_execnz .LBB106_6
.LBB106_5:
	v_dual_mov_b32 v31, v15 :: v_dual_mov_b32 v30, v14
	v_dual_mov_b32 v29, v13 :: v_dual_mov_b32 v28, v12
	;; [unrolled: 1-line block ×8, first 2 shown]
.LBB106_6:
	s_load_b128 s[4:7], s[0:1], 0x30
	v_cmp_eq_u32_e64 s2, 0, v33
	s_waitcnt lgkmcnt(0)
	s_bitcmp1_b32 s7, 0
	s_mov_b32 s7, 0
	s_cselect_b32 vcc_lo, -1, 0
	s_cmp_gt_i32 s4, 0
	s_cselect_b32 s3, -1, 0
	s_cmp_lt_i32 s4, 1
	s_cbranch_scc1 .LBB106_36
; %bb.7:
	s_load_b128 s[8:11], s[0:1], 0x20
	v_mul_lo_u32 v41, v32, s4
	v_mov_b32_e32 v40, 0
	v_mov_b32_e32 v42, v32
	s_branch .LBB106_10
.LBB106_8:                              ;   in Loop: Header=BB106_10 Depth=1
	s_or_b32 exec_lo, exec_lo, s1
.LBB106_9:                              ;   in Loop: Header=BB106_10 Depth=1
	v_add_nc_u32_e32 v42, s14, v42
	s_cmp_eq_u32 s4, s7
	s_cbranch_scc1 .LBB106_37
.LBB106_10:                             ; =>This Inner Loop Header: Depth=1
	v_cmp_gt_f32_e64 s0, v17, v16
	s_mov_b32 s17, exec_lo
	s_delay_alu instid0(VALU_DEP_1) | instskip(SKIP_2) | instid1(VALU_DEP_3)
	v_cndmask_b32_e64 v43, v16, v17, s0
	v_cndmask_b32_e64 v44, 0, 1, s0
	;; [unrolled: 1-line block ×3, first 2 shown]
	v_cmp_gt_f32_e64 s1, v18, v43
	s_delay_alu instid0(VALU_DEP_1) | instskip(NEXT) | instid1(VALU_DEP_4)
	v_cndmask_b32_e64 v43, v43, v18, s1
	v_cndmask_b32_e64 v44, v44, 2, s1
	s_delay_alu instid0(VALU_DEP_4) | instskip(NEXT) | instid1(VALU_DEP_3)
	v_cndmask_b32_e64 v45, v45, v2, s1
	v_cmp_gt_f32_e64 s0, v19, v43
	s_delay_alu instid0(VALU_DEP_1) | instskip(NEXT) | instid1(VALU_DEP_4)
	v_cndmask_b32_e64 v43, v43, v19, s0
	v_cndmask_b32_e64 v44, v44, 3, s0
	s_delay_alu instid0(VALU_DEP_4) | instskip(NEXT) | instid1(VALU_DEP_3)
	v_cndmask_b32_e64 v45, v45, v3, s0
	;; [unrolled: 6-line block ×12, first 2 shown]
	v_cmp_gt_f32_e64 s1, v30, v43
	s_delay_alu instid0(VALU_DEP_1) | instskip(NEXT) | instid1(VALU_DEP_4)
	v_cndmask_b32_e64 v43, v43, v30, s1
	v_cndmask_b32_e64 v44, v44, 0x106, s1
	s_waitcnt lgkmcnt(0)
	v_cndmask_b32_e64 v46, v45, v14, s1
	s_delay_alu instid0(VALU_DEP_3) | instskip(NEXT) | instid1(VALU_DEP_1)
	v_cmp_gt_f32_e64 s0, v31, v43
	v_cndmask_b32_e64 v45, v43, v31, s0
	v_cndmask_b32_e64 v43, v44, 0x107, s0
	s_delay_alu instid0(VALU_DEP_4)
	v_cndmask_b32_e64 v44, v46, v15, s0
	ds_bpermute_b32 v46, v34, v45
	v_or_b32_e32 v43, v39, v43
	ds_bpermute_b32 v48, v34, v44
	ds_bpermute_b32 v47, v34, v43
	s_waitcnt lgkmcnt(0)
	v_cmp_lt_f32_e64 s16, v45, v46
	v_cmpx_nlt_f32_e32 v45, v46
; %bb.11:                               ;   in Loop: Header=BB106_10 Depth=1
	v_cmp_eq_f32_e64 s0, v45, v46
	v_cmp_lt_i32_e64 s1, v47, v43
	s_delay_alu instid0(VALU_DEP_1) | instskip(SKIP_2) | instid1(SALU_CYCLE_1)
	s_and_b32 s0, s0, s1
	s_and_not1_b32 s1, s16, exec_lo
	s_and_b32 s0, s0, exec_lo
	s_or_b32 s16, s1, s0
; %bb.12:                               ;   in Loop: Header=BB106_10 Depth=1
	s_or_b32 exec_lo, exec_lo, s17
	s_and_saveexec_b32 s0, s16
; %bb.13:                               ;   in Loop: Header=BB106_10 Depth=1
	v_dual_mov_b32 v44, v48 :: v_dual_mov_b32 v45, v46
	v_mov_b32_e32 v43, v47
; %bb.14:                               ;   in Loop: Header=BB106_10 Depth=1
	s_or_b32 exec_lo, exec_lo, s0
	ds_bpermute_b32 v47, v35, v45
	ds_bpermute_b32 v48, v35, v44
	ds_bpermute_b32 v46, v35, v43
	s_mov_b32 s17, exec_lo
	s_waitcnt lgkmcnt(2)
	v_cmp_lt_f32_e64 s16, v45, v47
	v_cmpx_nlt_f32_e32 v45, v47
	s_cbranch_execz .LBB106_16
; %bb.15:                               ;   in Loop: Header=BB106_10 Depth=1
	v_cmp_eq_f32_e64 s0, v45, v47
	s_waitcnt lgkmcnt(0)
	v_cmp_lt_i32_e64 s1, v46, v43
	s_delay_alu instid0(VALU_DEP_1) | instskip(SKIP_2) | instid1(SALU_CYCLE_1)
	s_and_b32 s0, s0, s1
	s_and_not1_b32 s1, s16, exec_lo
	s_and_b32 s0, s0, exec_lo
	s_or_b32 s16, s1, s0
.LBB106_16:                             ;   in Loop: Header=BB106_10 Depth=1
	s_or_b32 exec_lo, exec_lo, s17
	s_delay_alu instid0(VALU_DEP_2)
	s_and_saveexec_b32 s0, s16
	s_cbranch_execz .LBB106_18
; %bb.17:                               ;   in Loop: Header=BB106_10 Depth=1
	s_waitcnt lgkmcnt(1)
	v_dual_mov_b32 v44, v48 :: v_dual_mov_b32 v45, v47
	s_waitcnt lgkmcnt(0)
	v_mov_b32_e32 v43, v46
.LBB106_18:                             ;   in Loop: Header=BB106_10 Depth=1
	s_or_b32 exec_lo, exec_lo, s0
	ds_bpermute_b32 v47, v36, v45
	s_waitcnt lgkmcnt(2)
	ds_bpermute_b32 v48, v36, v44
	s_waitcnt lgkmcnt(2)
	ds_bpermute_b32 v46, v36, v43
	s_mov_b32 s17, exec_lo
	s_waitcnt lgkmcnt(2)
	v_cmp_lt_f32_e64 s16, v45, v47
	v_cmpx_nlt_f32_e32 v45, v47
	s_cbranch_execz .LBB106_20
; %bb.19:                               ;   in Loop: Header=BB106_10 Depth=1
	v_cmp_eq_f32_e64 s0, v45, v47
	s_waitcnt lgkmcnt(0)
	v_cmp_lt_i32_e64 s1, v46, v43
	s_delay_alu instid0(VALU_DEP_1) | instskip(SKIP_2) | instid1(SALU_CYCLE_1)
	s_and_b32 s0, s0, s1
	s_and_not1_b32 s1, s16, exec_lo
	s_and_b32 s0, s0, exec_lo
	s_or_b32 s16, s1, s0
.LBB106_20:                             ;   in Loop: Header=BB106_10 Depth=1
	s_or_b32 exec_lo, exec_lo, s17
	s_delay_alu instid0(VALU_DEP_2)
	s_and_saveexec_b32 s0, s16
	s_cbranch_execz .LBB106_22
; %bb.21:                               ;   in Loop: Header=BB106_10 Depth=1
	s_waitcnt lgkmcnt(1)
	v_dual_mov_b32 v44, v48 :: v_dual_mov_b32 v45, v47
	s_waitcnt lgkmcnt(0)
	v_mov_b32_e32 v43, v46
.LBB106_22:                             ;   in Loop: Header=BB106_10 Depth=1
	s_or_b32 exec_lo, exec_lo, s0
	ds_bpermute_b32 v47, v37, v45
	s_waitcnt lgkmcnt(2)
	ds_bpermute_b32 v48, v37, v44
	s_waitcnt lgkmcnt(2)
	ds_bpermute_b32 v46, v37, v43
	s_mov_b32 s17, exec_lo
	s_waitcnt lgkmcnt(2)
	v_cmp_lt_f32_e64 s16, v45, v47
	v_cmpx_nlt_f32_e32 v45, v47
	s_cbranch_execz .LBB106_24
; %bb.23:                               ;   in Loop: Header=BB106_10 Depth=1
	v_cmp_eq_f32_e64 s0, v45, v47
	s_waitcnt lgkmcnt(0)
	v_cmp_lt_i32_e64 s1, v46, v43
	s_delay_alu instid0(VALU_DEP_1) | instskip(SKIP_2) | instid1(SALU_CYCLE_1)
	s_and_b32 s0, s0, s1
	s_and_not1_b32 s1, s16, exec_lo
	s_and_b32 s0, s0, exec_lo
	s_or_b32 s16, s1, s0
.LBB106_24:                             ;   in Loop: Header=BB106_10 Depth=1
	s_or_b32 exec_lo, exec_lo, s17
	s_delay_alu instid0(VALU_DEP_2)
	s_and_saveexec_b32 s0, s16
	s_cbranch_execz .LBB106_26
; %bb.25:                               ;   in Loop: Header=BB106_10 Depth=1
	s_waitcnt lgkmcnt(1)
	v_dual_mov_b32 v44, v48 :: v_dual_mov_b32 v45, v47
	s_waitcnt lgkmcnt(0)
	v_mov_b32_e32 v43, v46
.LBB106_26:                             ;   in Loop: Header=BB106_10 Depth=1
	s_or_b32 exec_lo, exec_lo, s0
	s_waitcnt lgkmcnt(1)
	ds_bpermute_b32 v48, v38, v45
	ds_bpermute_b32 v47, v38, v44
	s_waitcnt lgkmcnt(2)
	ds_bpermute_b32 v46, v38, v43
	s_mov_b32 s17, exec_lo
	s_waitcnt lgkmcnt(2)
	v_cmp_lt_f32_e64 s16, v45, v48
	v_cmpx_nlt_f32_e32 v45, v48
	s_cbranch_execnz .LBB106_30
; %bb.27:                               ;   in Loop: Header=BB106_10 Depth=1
	s_or_b32 exec_lo, exec_lo, s17
	s_delay_alu instid0(VALU_DEP_2)
	s_and_saveexec_b32 s0, s16
	s_cbranch_execnz .LBB106_31
.LBB106_28:                             ;   in Loop: Header=BB106_10 Depth=1
	s_or_b32 exec_lo, exec_lo, s0
	s_and_saveexec_b32 s16, s2
	s_cbranch_execnz .LBB106_32
.LBB106_29:                             ;   in Loop: Header=BB106_10 Depth=1
	s_or_b32 exec_lo, exec_lo, s16
	s_add_i32 s7, s7, 1
	s_delay_alu instid0(SALU_CYCLE_1)
	s_cmp_ge_i32 s7, s4
	s_cbranch_scc1 .LBB106_9
	s_branch .LBB106_33
.LBB106_30:                             ;   in Loop: Header=BB106_10 Depth=1
	v_cmp_eq_f32_e64 s0, v45, v48
	s_waitcnt lgkmcnt(0)
	v_cmp_lt_i32_e64 s1, v46, v43
	s_delay_alu instid0(VALU_DEP_1) | instskip(SKIP_2) | instid1(SALU_CYCLE_1)
	s_and_b32 s0, s0, s1
	s_and_not1_b32 s1, s16, exec_lo
	s_and_b32 s0, s0, exec_lo
	s_or_b32 s16, s1, s0
	s_or_b32 exec_lo, exec_lo, s17
	s_and_saveexec_b32 s0, s16
	s_cbranch_execz .LBB106_28
.LBB106_31:                             ;   in Loop: Header=BB106_10 Depth=1
	s_waitcnt lgkmcnt(0)
	v_dual_mov_b32 v44, v47 :: v_dual_mov_b32 v43, v46
	s_or_b32 exec_lo, exec_lo, s0
	s_and_saveexec_b32 s16, s2
	s_cbranch_execz .LBB106_29
.LBB106_32:                             ;   in Loop: Header=BB106_10 Depth=1
	s_delay_alu instid0(VALU_DEP_1)
	v_dual_add_f32 v52, v40, v44 :: v_dual_add_nc_u32 v45, s7, v41
	v_cmp_le_i32_e64 s0, s5, v43
	v_cmp_gt_i32_e64 s1, s6, v43
	s_waitcnt lgkmcnt(1)
	v_subrev_nc_u32_e32 v47, s5, v43
	s_waitcnt lgkmcnt(0)
	v_ashrrev_i32_e32 v46, 31, v45
	v_cndmask_b32_e32 v40, v40, v52, vcc_lo
	s_and_b32 s0, s0, s1
	s_delay_alu instid0(SALU_CYCLE_1) | instskip(NEXT) | instid1(VALU_DEP_2)
	s_and_b32 s0, s15, s0
	v_lshlrev_b64 v[45:46], 2, v[45:46]
	v_cndmask_b32_e64 v51, 0x200, v47, s0
	s_delay_alu instid0(VALU_DEP_2) | instskip(NEXT) | instid1(VALU_DEP_1)
	v_add_co_u32 v47, s0, s12, v45
	v_add_co_ci_u32_e64 v48, s0, s13, v46, s0
	v_add_co_u32 v49, s0, s8, v45
	s_delay_alu instid0(VALU_DEP_1) | instskip(SKIP_1) | instid1(VALU_DEP_1)
	v_add_co_ci_u32_e64 v50, s0, s9, v46, s0
	v_add_co_u32 v45, s0, s10, v45
	v_add_co_ci_u32_e64 v46, s0, s11, v46, s0
	global_store_b32 v[47:48], v44, off
	global_store_b32 v[49:50], v51, off
	;; [unrolled: 1-line block ×3, first 2 shown]
	s_or_b32 exec_lo, exec_lo, s16
	s_add_i32 s7, s7, 1
	s_delay_alu instid0(SALU_CYCLE_1)
	s_cmp_ge_i32 s7, s4
	s_cbranch_scc1 .LBB106_9
.LBB106_33:                             ;   in Loop: Header=BB106_10 Depth=1
	v_ashrrev_i32_e32 v44, 31, v43
	s_mov_b32 s1, exec_lo
	s_delay_alu instid0(VALU_DEP_1) | instskip(NEXT) | instid1(VALU_DEP_1)
	v_lshrrev_b32_e32 v45, 29, v44
	v_add_nc_u32_e32 v45, v43, v45
	s_waitcnt lgkmcnt(0)
	s_delay_alu instid0(VALU_DEP_1) | instskip(SKIP_1) | instid1(VALU_DEP_2)
	v_ashrrev_i32_e32 v46, 31, v45
	v_ashrrev_i32_e32 v45, 3, v45
	v_lshrrev_b32_e32 v46, 27, v46
	s_delay_alu instid0(VALU_DEP_1) | instskip(NEXT) | instid1(VALU_DEP_1)
	v_add_nc_u32_e32 v46, v45, v46
	v_and_b32_e32 v46, 0xffffffe0, v46
	s_delay_alu instid0(VALU_DEP_1) | instskip(NEXT) | instid1(VALU_DEP_1)
	v_sub_nc_u32_e32 v46, v45, v46
	v_cmpx_eq_u32_e64 v33, v46
	s_cbranch_execz .LBB106_8
; %bb.34:                               ;   in Loop: Header=BB106_10 Depth=1
	v_lshrrev_b32_e32 v44, 24, v44
	v_lshlrev_b32_e32 v45, 3, v45
	s_delay_alu instid0(VALU_DEP_2) | instskip(NEXT) | instid1(VALU_DEP_2)
	v_add_nc_u32_e32 v44, v43, v44
	v_sub_nc_u32_e32 v43, v43, v45
	s_delay_alu instid0(VALU_DEP_2) | instskip(NEXT) | instid1(VALU_DEP_1)
	v_ashrrev_i32_e32 v44, 8, v44
	v_lshl_add_u32 v43, v44, 3, v43
	s_delay_alu instid0(VALU_DEP_1) | instskip(NEXT) | instid1(VALU_DEP_1)
	v_cmp_ne_u32_e64 s0, 15, v43
	v_cndmask_b32_e64 v31, 0xc61c4000, v31, s0
	v_cmp_ne_u32_e64 s0, 14, v43
	s_delay_alu instid0(VALU_DEP_1) | instskip(SKIP_1) | instid1(VALU_DEP_1)
	v_cndmask_b32_e64 v30, 0xc61c4000, v30, s0
	v_cmp_ne_u32_e64 s0, 13, v43
	v_cndmask_b32_e64 v29, 0xc61c4000, v29, s0
	v_cmp_ne_u32_e64 s0, 12, v43
	s_delay_alu instid0(VALU_DEP_1) | instskip(SKIP_1) | instid1(VALU_DEP_1)
	v_cndmask_b32_e64 v28, 0xc61c4000, v28, s0
	;; [unrolled: 5-line block ×7, first 2 shown]
	v_cmp_ne_u32_e64 s0, 1, v43
	v_cndmask_b32_e64 v17, 0xc61c4000, v17, s0
	v_cmp_ne_u32_e64 s0, 0, v43
	s_delay_alu instid0(VALU_DEP_1)
	v_cndmask_b32_e64 v16, 0xc61c4000, v16, s0
	s_branch .LBB106_8
.LBB106_35:
                                        ; implicit-def: $vgpr16_vgpr17_vgpr18_vgpr19_vgpr20_vgpr21_vgpr22_vgpr23_vgpr24_vgpr25_vgpr26_vgpr27_vgpr28_vgpr29_vgpr30_vgpr31
	s_and_not1_b32 vcc_lo, exec_lo, s8
	s_cbranch_vccz .LBB106_5
	s_branch .LBB106_6
.LBB106_36:
	v_mov_b32_e32 v40, 0
.LBB106_37:
	v_cmp_eq_u32_e64 s0, 0, v33
	s_delay_alu instid0(VALU_DEP_1) | instskip(NEXT) | instid1(SALU_CYCLE_1)
	s_and_b32 s0, s0, vcc_lo
	s_and_b32 exec_lo, exec_lo, s0
	s_cbranch_execz .LBB106_41
; %bb.38:
	s_and_not1_b32 vcc_lo, exec_lo, s3
	s_cbranch_vccnz .LBB106_41
; %bb.39:
	v_mul_lo_u32 v0, v32, s4
	v_cmp_lt_f32_e32 vcc_lo, 0, v40
	v_cndmask_b32_e32 v2, 1.0, v40, vcc_lo
	s_delay_alu instid0(VALU_DEP_3) | instskip(NEXT) | instid1(VALU_DEP_1)
	v_ashrrev_i32_e32 v1, 31, v0
	v_lshlrev_b64 v[0:1], 2, v[0:1]
	s_delay_alu instid0(VALU_DEP_1) | instskip(NEXT) | instid1(VALU_DEP_2)
	v_add_co_u32 v0, vcc_lo, s12, v0
	v_add_co_ci_u32_e32 v1, vcc_lo, s13, v1, vcc_lo
	.p2align	6
.LBB106_40:                             ; =>This Inner Loop Header: Depth=1
	global_load_b32 v3, v[0:1], off
	s_add_i32 s4, s4, -1
	s_delay_alu instid0(SALU_CYCLE_1) | instskip(SKIP_3) | instid1(VALU_DEP_2)
	s_cmp_lg_u32 s4, 0
	s_waitcnt vmcnt(0)
	v_div_scale_f32 v4, null, v2, v2, v3
	v_div_scale_f32 v7, vcc_lo, v3, v2, v3
	v_rcp_f32_e32 v5, v4
	s_waitcnt_depctr 0xfff
	v_fma_f32 v6, -v4, v5, 1.0
	s_delay_alu instid0(VALU_DEP_1) | instskip(NEXT) | instid1(VALU_DEP_1)
	v_fmac_f32_e32 v5, v6, v5
	v_mul_f32_e32 v6, v7, v5
	s_delay_alu instid0(VALU_DEP_1) | instskip(NEXT) | instid1(VALU_DEP_1)
	v_fma_f32 v8, -v4, v6, v7
	v_fmac_f32_e32 v6, v8, v5
	s_delay_alu instid0(VALU_DEP_1) | instskip(NEXT) | instid1(VALU_DEP_1)
	v_fma_f32 v4, -v4, v6, v7
	v_div_fmas_f32 v4, v4, v5, v6
	s_delay_alu instid0(VALU_DEP_1)
	v_div_fixup_f32 v3, v4, v2, v3
	global_store_b32 v[0:1], v3, off
	v_add_co_u32 v0, vcc_lo, v0, 4
	v_add_co_ci_u32_e32 v1, vcc_lo, 0, v1, vcc_lo
	s_cbranch_scc1 .LBB106_40
.LBB106_41:
	s_nop 0
	s_sendmsg sendmsg(MSG_DEALLOC_VGPRS)
	s_endpgm
	.section	.rodata,"a",@progbits
	.p2align	6, 0x0
	.amdhsa_kernel _ZN4vllm3moe10topkGatingILi16ELi512ELi4ELi16ELi32Ej6__halfLNS0_11ScoringFuncE0EEEvPKT5_PKbPfiPT4_PiiiibPKf
		.amdhsa_group_segment_fixed_size 0
		.amdhsa_private_segment_fixed_size 0
		.amdhsa_kernarg_size 72
		.amdhsa_user_sgpr_count 15
		.amdhsa_user_sgpr_dispatch_ptr 0
		.amdhsa_user_sgpr_queue_ptr 0
		.amdhsa_user_sgpr_kernarg_segment_ptr 1
		.amdhsa_user_sgpr_dispatch_id 0
		.amdhsa_user_sgpr_private_segment_size 0
		.amdhsa_wavefront_size32 1
		.amdhsa_uses_dynamic_stack 0
		.amdhsa_enable_private_segment 0
		.amdhsa_system_sgpr_workgroup_id_x 1
		.amdhsa_system_sgpr_workgroup_id_y 0
		.amdhsa_system_sgpr_workgroup_id_z 0
		.amdhsa_system_sgpr_workgroup_info 0
		.amdhsa_system_vgpr_workitem_id 1
		.amdhsa_next_free_vgpr 71
		.amdhsa_next_free_sgpr 18
		.amdhsa_reserve_vcc 1
		.amdhsa_float_round_mode_32 0
		.amdhsa_float_round_mode_16_64 0
		.amdhsa_float_denorm_mode_32 3
		.amdhsa_float_denorm_mode_16_64 3
		.amdhsa_dx10_clamp 1
		.amdhsa_ieee_mode 1
		.amdhsa_fp16_overflow 0
		.amdhsa_workgroup_processor_mode 1
		.amdhsa_memory_ordered 1
		.amdhsa_forward_progress 0
		.amdhsa_shared_vgpr_count 0
		.amdhsa_exception_fp_ieee_invalid_op 0
		.amdhsa_exception_fp_denorm_src 0
		.amdhsa_exception_fp_ieee_div_zero 0
		.amdhsa_exception_fp_ieee_overflow 0
		.amdhsa_exception_fp_ieee_underflow 0
		.amdhsa_exception_fp_ieee_inexact 0
		.amdhsa_exception_int_div_zero 0
	.end_amdhsa_kernel
	.section	.text._ZN4vllm3moe10topkGatingILi16ELi512ELi4ELi16ELi32Ej6__halfLNS0_11ScoringFuncE0EEEvPKT5_PKbPfiPT4_PiiiibPKf,"axG",@progbits,_ZN4vllm3moe10topkGatingILi16ELi512ELi4ELi16ELi32Ej6__halfLNS0_11ScoringFuncE0EEEvPKT5_PKbPfiPT4_PiiiibPKf,comdat
.Lfunc_end106:
	.size	_ZN4vllm3moe10topkGatingILi16ELi512ELi4ELi16ELi32Ej6__halfLNS0_11ScoringFuncE0EEEvPKT5_PKbPfiPT4_PiiiibPKf, .Lfunc_end106-_ZN4vllm3moe10topkGatingILi16ELi512ELi4ELi16ELi32Ej6__halfLNS0_11ScoringFuncE0EEEvPKT5_PKbPfiPT4_PiiiibPKf
                                        ; -- End function
	.section	.AMDGPU.csdata,"",@progbits
; Kernel info:
; codeLenInByte = 5216
; NumSgprs: 20
; NumVgprs: 71
; ScratchSize: 0
; MemoryBound: 0
; FloatMode: 240
; IeeeMode: 1
; LDSByteSize: 0 bytes/workgroup (compile time only)
; SGPRBlocks: 2
; VGPRBlocks: 8
; NumSGPRsForWavesPerEU: 20
; NumVGPRsForWavesPerEU: 71
; Occupancy: 16
; WaveLimiterHint : 1
; COMPUTE_PGM_RSRC2:SCRATCH_EN: 0
; COMPUTE_PGM_RSRC2:USER_SGPR: 15
; COMPUTE_PGM_RSRC2:TRAP_HANDLER: 0
; COMPUTE_PGM_RSRC2:TGID_X_EN: 1
; COMPUTE_PGM_RSRC2:TGID_Y_EN: 0
; COMPUTE_PGM_RSRC2:TGID_Z_EN: 0
; COMPUTE_PGM_RSRC2:TIDIG_COMP_CNT: 1
	.section	.text._ZN4vllm3moe10topkGatingILi1ELi1ELi4ELi2ELi64El6__halfLNS0_11ScoringFuncE0EEEvPKT5_PKbPfiPT4_PiiiibPKf,"axG",@progbits,_ZN4vllm3moe10topkGatingILi1ELi1ELi4ELi2ELi64El6__halfLNS0_11ScoringFuncE0EEEvPKT5_PKbPfiPT4_PiiiibPKf,comdat
	.protected	_ZN4vllm3moe10topkGatingILi1ELi1ELi4ELi2ELi64El6__halfLNS0_11ScoringFuncE0EEEvPKT5_PKbPfiPT4_PiiiibPKf ; -- Begin function _ZN4vllm3moe10topkGatingILi1ELi1ELi4ELi2ELi64El6__halfLNS0_11ScoringFuncE0EEEvPKT5_PKbPfiPT4_PiiiibPKf
	.globl	_ZN4vllm3moe10topkGatingILi1ELi1ELi4ELi2ELi64El6__halfLNS0_11ScoringFuncE0EEEvPKT5_PKbPfiPT4_PiiiibPKf
	.p2align	8
	.type	_ZN4vllm3moe10topkGatingILi1ELi1ELi4ELi2ELi64El6__halfLNS0_11ScoringFuncE0EEEvPKT5_PKbPfiPT4_PiiiibPKf,@function
_ZN4vllm3moe10topkGatingILi1ELi1ELi4ELi2ELi64El6__halfLNS0_11ScoringFuncE0EEEvPKT5_PKbPfiPT4_PiiiibPKf: ; @_ZN4vllm3moe10topkGatingILi1ELi1ELi4ELi2ELi64El6__halfLNS0_11ScoringFuncE0EEEvPKT5_PKbPfiPT4_PiiiibPKf
; %bb.0:
	s_load_b32 s3, s[0:1], 0x18
	v_bfe_u32 v1, v0, 10, 10
	v_and_b32_e32 v0, 0x3ff, v0
	s_lshl_b32 s2, s15, 8
	s_delay_alu instid0(VALU_DEP_2) | instskip(NEXT) | instid1(VALU_DEP_1)
	v_lshlrev_b32_e32 v1, 6, v1
	v_add3_u32 v0, v1, v0, s2
	s_mov_b32 s2, exec_lo
	s_waitcnt lgkmcnt(0)
	s_delay_alu instid0(VALU_DEP_1)
	v_cmpx_gt_i32_e64 s3, v0
	s_cbranch_execz .LBB107_12
; %bb.1:
	s_clause 0x1
	s_load_b128 s[8:11], s[0:1], 0x0
	s_load_b64 s[12:13], s[0:1], 0x10
	v_ashrrev_i32_e32 v1, 31, v0
	s_waitcnt lgkmcnt(0)
	s_cmp_eq_u64 s[10:11], 0
	s_cbranch_scc1 .LBB107_3
; %bb.2:
	v_add_co_u32 v2, vcc_lo, s10, v0
	v_add_co_ci_u32_e32 v3, vcc_lo, s11, v1, vcc_lo
	global_load_u8 v2, v[2:3], off
	s_waitcnt vmcnt(0)
	v_and_b32_e32 v2, 1, v2
	s_delay_alu instid0(VALU_DEP_1) | instskip(SKIP_1) | instid1(SALU_CYCLE_1)
	v_cmp_eq_u32_e32 vcc_lo, 1, v2
	s_xor_b32 s2, vcc_lo, -1
	s_or_not1_b32 s14, s2, exec_lo
	s_branch .LBB107_4
.LBB107_3:
	s_mov_b32 s14, -1
.LBB107_4:
	s_load_b128 s[4:7], s[0:1], 0x30
	s_waitcnt lgkmcnt(0)
	s_bitcmp1_b32 s7, 0
	s_cselect_b32 s2, -1, 0
	s_cmp_gt_i32 s4, 0
	s_cselect_b32 s7, -1, 0
	s_cmp_lt_i32 s4, 1
	s_cbranch_scc1 .LBB107_8
; %bb.5:
	v_lshlrev_b64 v[1:2], 1, v[0:1]
	s_cmp_lt_i32 s5, 1
	v_mov_b32_e32 v9, 0
	s_delay_alu instid0(VALU_DEP_2) | instskip(NEXT) | instid1(VALU_DEP_3)
	v_add_co_u32 v1, vcc_lo, s8, v1
	v_add_co_ci_u32_e32 v2, vcc_lo, s9, v2, vcc_lo
	s_load_b128 s[8:11], s[0:1], 0x20
	s_cselect_b32 s0, -1, 0
	s_cmp_gt_i32 s6, 0
	global_load_u16 v1, v[1:2], off
	s_cselect_b32 s1, -1, 0
	s_sub_i32 s5, 0, s5
	s_and_b32 s0, s0, s1
	s_ashr_i32 s1, s5, 31
	s_and_b32 s0, s14, s0
	s_waitcnt vmcnt(0)
	v_cvt_f32_f16_e32 v1, v1
	s_delay_alu instid0(VALU_DEP_1) | instskip(NEXT) | instid1(VALU_DEP_1)
	v_sub_f32_e32 v1, v1, v1
	v_mul_f32_e32 v2, 0x3fb8aa3b, v1
	s_delay_alu instid0(VALU_DEP_1) | instskip(SKIP_1) | instid1(VALU_DEP_1)
	v_fma_f32 v3, 0x3fb8aa3b, v1, -v2
	v_rndne_f32_e32 v4, v2
	v_sub_f32_e32 v2, v2, v4
	v_cmp_ngt_f32_e32 vcc_lo, 0xc2ce8ed0, v1
	s_delay_alu instid0(VALU_DEP_4) | instskip(NEXT) | instid1(VALU_DEP_1)
	v_fmamk_f32 v3, v1, 0x32a5705f, v3
	v_add_f32_e32 v2, v2, v3
	v_cvt_i32_f32_e32 v3, v4
	s_delay_alu instid0(VALU_DEP_2) | instskip(SKIP_3) | instid1(VALU_DEP_2)
	v_exp_f32_e32 v2, v2
	s_waitcnt_depctr 0xfff
	v_ldexp_f32 v2, v2, v3
	v_mul_lo_u32 v3, v0, s4
	v_cndmask_b32_e32 v2, 0, v2, vcc_lo
	v_cmp_nlt_f32_e32 vcc_lo, 0x42b17218, v1
	s_delay_alu instid0(VALU_DEP_3) | instskip(NEXT) | instid1(VALU_DEP_3)
	v_ashrrev_i32_e32 v4, 31, v3
	v_cndmask_b32_e32 v10, 0x7f800000, v2, vcc_lo
	v_cndmask_b32_e64 v2, 0, s1, s0
	s_delay_alu instid0(VALU_DEP_3) | instskip(NEXT) | instid1(VALU_DEP_3)
	v_lshlrev_b64 v[7:8], 2, v[3:4]
	v_div_scale_f32 v5, null, v10, v10, 1.0
	v_div_scale_f32 v6, vcc_lo, 1.0, v10, 1.0
	s_delay_alu instid0(VALU_DEP_2) | instskip(SKIP_2) | instid1(VALU_DEP_1)
	v_rcp_f32_e32 v11, v5
	s_waitcnt_depctr 0xfff
	v_fma_f32 v1, -v5, v11, 1.0
	v_fmac_f32_e32 v11, v1, v11
	s_delay_alu instid0(VALU_DEP_1) | instskip(NEXT) | instid1(VALU_DEP_1)
	v_mul_f32_e32 v12, v6, v11
	v_fma_f32 v1, -v5, v12, v6
	s_delay_alu instid0(VALU_DEP_1) | instskip(SKIP_2) | instid1(VALU_DEP_2)
	v_fmac_f32_e32 v12, v1, v11
	v_cndmask_b32_e64 v1, 1, s5, s0
	s_mov_b32 s0, s4
	v_fma_f32 v13, -v5, v12, v6
	v_lshlrev_b64 v[5:6], 3, v[3:4]
	s_delay_alu instid0(VALU_DEP_2) | instskip(SKIP_2) | instid1(VALU_DEP_3)
	v_div_fmas_f32 v11, v13, v11, v12
	v_add_co_u32 v3, vcc_lo, s12, v7
	v_add_co_ci_u32_e32 v4, vcc_lo, s13, v8, vcc_lo
	v_div_fixup_f32 v11, v11, v10, 1.0
	s_waitcnt lgkmcnt(0)
	v_add_co_u32 v5, vcc_lo, s8, v5
	v_add_co_ci_u32_e32 v6, vcc_lo, s9, v6, vcc_lo
	s_delay_alu instid0(VALU_DEP_3) | instskip(SKIP_2) | instid1(VALU_DEP_3)
	v_dual_mul_f32 v10, v10, v11 :: v_dual_mov_b32 v11, v0
	v_add_co_u32 v7, vcc_lo, s10, v7
	v_add_co_ci_u32_e32 v8, vcc_lo, s11, v8, vcc_lo
	v_cmp_class_f32_e64 vcc_lo, v10, 0x1f8
	v_cndmask_b32_e32 v10, 0, v10, vcc_lo
	.p2align	6
.LBB107_6:                              ; =>This Inner Loop Header: Depth=1
	global_store_b32 v[3:4], v10, off
	global_store_b64 v[5:6], v[1:2], off
	global_store_b32 v[7:8], v11, off
	v_add_co_u32 v3, vcc_lo, v3, 4
	v_add_co_ci_u32_e32 v4, vcc_lo, 0, v4, vcc_lo
	v_dual_add_f32 v12, v9, v10 :: v_dual_add_nc_u32 v11, s3, v11
	v_add_co_u32 v5, vcc_lo, v5, 8
	v_add_co_ci_u32_e32 v6, vcc_lo, 0, v6, vcc_lo
	v_add_co_u32 v7, vcc_lo, v7, 4
	s_delay_alu instid0(VALU_DEP_4) | instskip(SKIP_2) | instid1(SALU_CYCLE_1)
	v_cndmask_b32_e64 v9, v9, v12, s2
	v_add_co_ci_u32_e32 v8, vcc_lo, 0, v8, vcc_lo
	s_add_i32 s0, s0, -1
	s_cmp_lg_u32 s0, 0
	s_cbranch_scc1 .LBB107_6
; %bb.7:
	s_and_not1_b32 vcc_lo, exec_lo, s2
	s_cbranch_vccz .LBB107_9
	s_branch .LBB107_12
.LBB107_8:
	v_mov_b32_e32 v9, 0
	s_and_not1_b32 vcc_lo, exec_lo, s2
	s_cbranch_vccnz .LBB107_12
.LBB107_9:
	s_and_not1_b32 vcc_lo, exec_lo, s7
	s_cbranch_vccnz .LBB107_12
; %bb.10:
	v_mul_lo_u32 v0, v0, s4
	v_cmp_lt_f32_e32 vcc_lo, 0, v9
	v_cndmask_b32_e32 v2, 1.0, v9, vcc_lo
	s_delay_alu instid0(VALU_DEP_3) | instskip(NEXT) | instid1(VALU_DEP_1)
	v_ashrrev_i32_e32 v1, 31, v0
	v_lshlrev_b64 v[0:1], 2, v[0:1]
	s_delay_alu instid0(VALU_DEP_1) | instskip(NEXT) | instid1(VALU_DEP_2)
	v_add_co_u32 v0, vcc_lo, s12, v0
	v_add_co_ci_u32_e32 v1, vcc_lo, s13, v1, vcc_lo
	.p2align	6
.LBB107_11:                             ; =>This Inner Loop Header: Depth=1
	global_load_b32 v3, v[0:1], off
	s_add_i32 s4, s4, -1
	s_delay_alu instid0(SALU_CYCLE_1) | instskip(SKIP_3) | instid1(VALU_DEP_2)
	s_cmp_lg_u32 s4, 0
	s_waitcnt vmcnt(0)
	v_div_scale_f32 v4, null, v2, v2, v3
	v_div_scale_f32 v7, vcc_lo, v3, v2, v3
	v_rcp_f32_e32 v5, v4
	s_waitcnt_depctr 0xfff
	v_fma_f32 v6, -v4, v5, 1.0
	s_delay_alu instid0(VALU_DEP_1) | instskip(NEXT) | instid1(VALU_DEP_1)
	v_fmac_f32_e32 v5, v6, v5
	v_mul_f32_e32 v6, v7, v5
	s_delay_alu instid0(VALU_DEP_1) | instskip(NEXT) | instid1(VALU_DEP_1)
	v_fma_f32 v8, -v4, v6, v7
	v_fmac_f32_e32 v6, v8, v5
	s_delay_alu instid0(VALU_DEP_1) | instskip(NEXT) | instid1(VALU_DEP_1)
	v_fma_f32 v4, -v4, v6, v7
	v_div_fmas_f32 v4, v4, v5, v6
	s_delay_alu instid0(VALU_DEP_1)
	v_div_fixup_f32 v3, v4, v2, v3
	global_store_b32 v[0:1], v3, off
	v_add_co_u32 v0, vcc_lo, v0, 4
	v_add_co_ci_u32_e32 v1, vcc_lo, 0, v1, vcc_lo
	s_cbranch_scc1 .LBB107_11
.LBB107_12:
	s_nop 0
	s_sendmsg sendmsg(MSG_DEALLOC_VGPRS)
	s_endpgm
	.section	.rodata,"a",@progbits
	.p2align	6, 0x0
	.amdhsa_kernel _ZN4vllm3moe10topkGatingILi1ELi1ELi4ELi2ELi64El6__halfLNS0_11ScoringFuncE0EEEvPKT5_PKbPfiPT4_PiiiibPKf
		.amdhsa_group_segment_fixed_size 0
		.amdhsa_private_segment_fixed_size 0
		.amdhsa_kernarg_size 72
		.amdhsa_user_sgpr_count 15
		.amdhsa_user_sgpr_dispatch_ptr 0
		.amdhsa_user_sgpr_queue_ptr 0
		.amdhsa_user_sgpr_kernarg_segment_ptr 1
		.amdhsa_user_sgpr_dispatch_id 0
		.amdhsa_user_sgpr_private_segment_size 0
		.amdhsa_wavefront_size32 1
		.amdhsa_uses_dynamic_stack 0
		.amdhsa_enable_private_segment 0
		.amdhsa_system_sgpr_workgroup_id_x 1
		.amdhsa_system_sgpr_workgroup_id_y 0
		.amdhsa_system_sgpr_workgroup_id_z 0
		.amdhsa_system_sgpr_workgroup_info 0
		.amdhsa_system_vgpr_workitem_id 1
		.amdhsa_next_free_vgpr 14
		.amdhsa_next_free_sgpr 16
		.amdhsa_reserve_vcc 1
		.amdhsa_float_round_mode_32 0
		.amdhsa_float_round_mode_16_64 0
		.amdhsa_float_denorm_mode_32 3
		.amdhsa_float_denorm_mode_16_64 3
		.amdhsa_dx10_clamp 1
		.amdhsa_ieee_mode 1
		.amdhsa_fp16_overflow 0
		.amdhsa_workgroup_processor_mode 1
		.amdhsa_memory_ordered 1
		.amdhsa_forward_progress 0
		.amdhsa_shared_vgpr_count 0
		.amdhsa_exception_fp_ieee_invalid_op 0
		.amdhsa_exception_fp_denorm_src 0
		.amdhsa_exception_fp_ieee_div_zero 0
		.amdhsa_exception_fp_ieee_overflow 0
		.amdhsa_exception_fp_ieee_underflow 0
		.amdhsa_exception_fp_ieee_inexact 0
		.amdhsa_exception_int_div_zero 0
	.end_amdhsa_kernel
	.section	.text._ZN4vllm3moe10topkGatingILi1ELi1ELi4ELi2ELi64El6__halfLNS0_11ScoringFuncE0EEEvPKT5_PKbPfiPT4_PiiiibPKf,"axG",@progbits,_ZN4vllm3moe10topkGatingILi1ELi1ELi4ELi2ELi64El6__halfLNS0_11ScoringFuncE0EEEvPKT5_PKbPfiPT4_PiiiibPKf,comdat
.Lfunc_end107:
	.size	_ZN4vllm3moe10topkGatingILi1ELi1ELi4ELi2ELi64El6__halfLNS0_11ScoringFuncE0EEEvPKT5_PKbPfiPT4_PiiiibPKf, .Lfunc_end107-_ZN4vllm3moe10topkGatingILi1ELi1ELi4ELi2ELi64El6__halfLNS0_11ScoringFuncE0EEEvPKT5_PKbPfiPT4_PiiiibPKf
                                        ; -- End function
	.section	.AMDGPU.csdata,"",@progbits
; Kernel info:
; codeLenInByte = 924
; NumSgprs: 18
; NumVgprs: 14
; ScratchSize: 0
; MemoryBound: 0
; FloatMode: 240
; IeeeMode: 1
; LDSByteSize: 0 bytes/workgroup (compile time only)
; SGPRBlocks: 2
; VGPRBlocks: 1
; NumSGPRsForWavesPerEU: 18
; NumVGPRsForWavesPerEU: 14
; Occupancy: 16
; WaveLimiterHint : 0
; COMPUTE_PGM_RSRC2:SCRATCH_EN: 0
; COMPUTE_PGM_RSRC2:USER_SGPR: 15
; COMPUTE_PGM_RSRC2:TRAP_HANDLER: 0
; COMPUTE_PGM_RSRC2:TGID_X_EN: 1
; COMPUTE_PGM_RSRC2:TGID_Y_EN: 0
; COMPUTE_PGM_RSRC2:TGID_Z_EN: 0
; COMPUTE_PGM_RSRC2:TIDIG_COMP_CNT: 1
	.section	.text._ZN4vllm3moe10topkGatingILi1ELi1ELi4ELi2ELi32El6__halfLNS0_11ScoringFuncE0EEEvPKT5_PKbPfiPT4_PiiiibPKf,"axG",@progbits,_ZN4vllm3moe10topkGatingILi1ELi1ELi4ELi2ELi32El6__halfLNS0_11ScoringFuncE0EEEvPKT5_PKbPfiPT4_PiiiibPKf,comdat
	.protected	_ZN4vllm3moe10topkGatingILi1ELi1ELi4ELi2ELi32El6__halfLNS0_11ScoringFuncE0EEEvPKT5_PKbPfiPT4_PiiiibPKf ; -- Begin function _ZN4vllm3moe10topkGatingILi1ELi1ELi4ELi2ELi32El6__halfLNS0_11ScoringFuncE0EEEvPKT5_PKbPfiPT4_PiiiibPKf
	.globl	_ZN4vllm3moe10topkGatingILi1ELi1ELi4ELi2ELi32El6__halfLNS0_11ScoringFuncE0EEEvPKT5_PKbPfiPT4_PiiiibPKf
	.p2align	8
	.type	_ZN4vllm3moe10topkGatingILi1ELi1ELi4ELi2ELi32El6__halfLNS0_11ScoringFuncE0EEEvPKT5_PKbPfiPT4_PiiiibPKf,@function
_ZN4vllm3moe10topkGatingILi1ELi1ELi4ELi2ELi32El6__halfLNS0_11ScoringFuncE0EEEvPKT5_PKbPfiPT4_PiiiibPKf: ; @_ZN4vllm3moe10topkGatingILi1ELi1ELi4ELi2ELi32El6__halfLNS0_11ScoringFuncE0EEEvPKT5_PKbPfiPT4_PiiiibPKf
; %bb.0:
	s_load_b32 s3, s[0:1], 0x18
	v_bfe_u32 v1, v0, 10, 10
	v_and_b32_e32 v0, 0x3ff, v0
	s_lshl_b32 s2, s15, 7
	s_delay_alu instid0(VALU_DEP_2) | instskip(NEXT) | instid1(VALU_DEP_1)
	v_lshlrev_b32_e32 v1, 5, v1
	v_add3_u32 v0, v1, v0, s2
	s_mov_b32 s2, exec_lo
	s_waitcnt lgkmcnt(0)
	s_delay_alu instid0(VALU_DEP_1)
	v_cmpx_gt_i32_e64 s3, v0
	s_cbranch_execz .LBB108_12
; %bb.1:
	s_clause 0x1
	s_load_b128 s[8:11], s[0:1], 0x0
	s_load_b64 s[12:13], s[0:1], 0x10
	v_ashrrev_i32_e32 v1, 31, v0
	s_waitcnt lgkmcnt(0)
	s_cmp_eq_u64 s[10:11], 0
	s_cbranch_scc1 .LBB108_3
; %bb.2:
	v_add_co_u32 v2, vcc_lo, s10, v0
	v_add_co_ci_u32_e32 v3, vcc_lo, s11, v1, vcc_lo
	global_load_u8 v2, v[2:3], off
	s_waitcnt vmcnt(0)
	v_and_b32_e32 v2, 1, v2
	s_delay_alu instid0(VALU_DEP_1) | instskip(SKIP_1) | instid1(SALU_CYCLE_1)
	v_cmp_eq_u32_e32 vcc_lo, 1, v2
	s_xor_b32 s2, vcc_lo, -1
	s_or_not1_b32 s14, s2, exec_lo
	s_branch .LBB108_4
.LBB108_3:
	s_mov_b32 s14, -1
.LBB108_4:
	s_load_b128 s[4:7], s[0:1], 0x30
	s_waitcnt lgkmcnt(0)
	s_bitcmp1_b32 s7, 0
	s_cselect_b32 s2, -1, 0
	s_cmp_gt_i32 s4, 0
	s_cselect_b32 s7, -1, 0
	s_cmp_lt_i32 s4, 1
	s_cbranch_scc1 .LBB108_8
; %bb.5:
	v_lshlrev_b64 v[1:2], 1, v[0:1]
	s_cmp_lt_i32 s5, 1
	v_mov_b32_e32 v9, 0
	s_delay_alu instid0(VALU_DEP_2) | instskip(NEXT) | instid1(VALU_DEP_3)
	v_add_co_u32 v1, vcc_lo, s8, v1
	v_add_co_ci_u32_e32 v2, vcc_lo, s9, v2, vcc_lo
	s_load_b128 s[8:11], s[0:1], 0x20
	s_cselect_b32 s0, -1, 0
	s_cmp_gt_i32 s6, 0
	global_load_u16 v1, v[1:2], off
	s_cselect_b32 s1, -1, 0
	s_sub_i32 s5, 0, s5
	s_and_b32 s0, s0, s1
	s_ashr_i32 s1, s5, 31
	s_and_b32 s0, s14, s0
	s_waitcnt vmcnt(0)
	v_cvt_f32_f16_e32 v1, v1
	s_delay_alu instid0(VALU_DEP_1) | instskip(NEXT) | instid1(VALU_DEP_1)
	v_sub_f32_e32 v1, v1, v1
	v_mul_f32_e32 v2, 0x3fb8aa3b, v1
	s_delay_alu instid0(VALU_DEP_1) | instskip(SKIP_1) | instid1(VALU_DEP_1)
	v_fma_f32 v3, 0x3fb8aa3b, v1, -v2
	v_rndne_f32_e32 v4, v2
	v_sub_f32_e32 v2, v2, v4
	v_cmp_ngt_f32_e32 vcc_lo, 0xc2ce8ed0, v1
	s_delay_alu instid0(VALU_DEP_4) | instskip(NEXT) | instid1(VALU_DEP_1)
	v_fmamk_f32 v3, v1, 0x32a5705f, v3
	v_add_f32_e32 v2, v2, v3
	v_cvt_i32_f32_e32 v3, v4
	s_delay_alu instid0(VALU_DEP_2) | instskip(SKIP_3) | instid1(VALU_DEP_2)
	v_exp_f32_e32 v2, v2
	s_waitcnt_depctr 0xfff
	v_ldexp_f32 v2, v2, v3
	v_mul_lo_u32 v3, v0, s4
	v_cndmask_b32_e32 v2, 0, v2, vcc_lo
	v_cmp_nlt_f32_e32 vcc_lo, 0x42b17218, v1
	s_delay_alu instid0(VALU_DEP_3) | instskip(NEXT) | instid1(VALU_DEP_3)
	v_ashrrev_i32_e32 v4, 31, v3
	v_cndmask_b32_e32 v10, 0x7f800000, v2, vcc_lo
	v_cndmask_b32_e64 v2, 0, s1, s0
	s_delay_alu instid0(VALU_DEP_3) | instskip(NEXT) | instid1(VALU_DEP_3)
	v_lshlrev_b64 v[7:8], 2, v[3:4]
	v_div_scale_f32 v5, null, v10, v10, 1.0
	v_div_scale_f32 v6, vcc_lo, 1.0, v10, 1.0
	s_delay_alu instid0(VALU_DEP_2) | instskip(SKIP_2) | instid1(VALU_DEP_1)
	v_rcp_f32_e32 v11, v5
	s_waitcnt_depctr 0xfff
	v_fma_f32 v1, -v5, v11, 1.0
	v_fmac_f32_e32 v11, v1, v11
	s_delay_alu instid0(VALU_DEP_1) | instskip(NEXT) | instid1(VALU_DEP_1)
	v_mul_f32_e32 v12, v6, v11
	v_fma_f32 v1, -v5, v12, v6
	s_delay_alu instid0(VALU_DEP_1) | instskip(SKIP_2) | instid1(VALU_DEP_2)
	v_fmac_f32_e32 v12, v1, v11
	v_cndmask_b32_e64 v1, 1, s5, s0
	s_mov_b32 s0, s4
	v_fma_f32 v13, -v5, v12, v6
	v_lshlrev_b64 v[5:6], 3, v[3:4]
	s_delay_alu instid0(VALU_DEP_2) | instskip(SKIP_2) | instid1(VALU_DEP_3)
	v_div_fmas_f32 v11, v13, v11, v12
	v_add_co_u32 v3, vcc_lo, s12, v7
	v_add_co_ci_u32_e32 v4, vcc_lo, s13, v8, vcc_lo
	v_div_fixup_f32 v11, v11, v10, 1.0
	s_waitcnt lgkmcnt(0)
	v_add_co_u32 v5, vcc_lo, s8, v5
	v_add_co_ci_u32_e32 v6, vcc_lo, s9, v6, vcc_lo
	s_delay_alu instid0(VALU_DEP_3) | instskip(SKIP_2) | instid1(VALU_DEP_3)
	v_dual_mul_f32 v10, v10, v11 :: v_dual_mov_b32 v11, v0
	v_add_co_u32 v7, vcc_lo, s10, v7
	v_add_co_ci_u32_e32 v8, vcc_lo, s11, v8, vcc_lo
	v_cmp_class_f32_e64 vcc_lo, v10, 0x1f8
	v_cndmask_b32_e32 v10, 0, v10, vcc_lo
	.p2align	6
.LBB108_6:                              ; =>This Inner Loop Header: Depth=1
	global_store_b32 v[3:4], v10, off
	global_store_b64 v[5:6], v[1:2], off
	global_store_b32 v[7:8], v11, off
	v_add_co_u32 v3, vcc_lo, v3, 4
	v_add_co_ci_u32_e32 v4, vcc_lo, 0, v4, vcc_lo
	v_dual_add_f32 v12, v9, v10 :: v_dual_add_nc_u32 v11, s3, v11
	v_add_co_u32 v5, vcc_lo, v5, 8
	v_add_co_ci_u32_e32 v6, vcc_lo, 0, v6, vcc_lo
	v_add_co_u32 v7, vcc_lo, v7, 4
	s_delay_alu instid0(VALU_DEP_4) | instskip(SKIP_2) | instid1(SALU_CYCLE_1)
	v_cndmask_b32_e64 v9, v9, v12, s2
	v_add_co_ci_u32_e32 v8, vcc_lo, 0, v8, vcc_lo
	s_add_i32 s0, s0, -1
	s_cmp_lg_u32 s0, 0
	s_cbranch_scc1 .LBB108_6
; %bb.7:
	s_and_not1_b32 vcc_lo, exec_lo, s2
	s_cbranch_vccz .LBB108_9
	s_branch .LBB108_12
.LBB108_8:
	v_mov_b32_e32 v9, 0
	s_and_not1_b32 vcc_lo, exec_lo, s2
	s_cbranch_vccnz .LBB108_12
.LBB108_9:
	s_and_not1_b32 vcc_lo, exec_lo, s7
	s_cbranch_vccnz .LBB108_12
; %bb.10:
	v_mul_lo_u32 v0, v0, s4
	v_cmp_lt_f32_e32 vcc_lo, 0, v9
	v_cndmask_b32_e32 v2, 1.0, v9, vcc_lo
	s_delay_alu instid0(VALU_DEP_3) | instskip(NEXT) | instid1(VALU_DEP_1)
	v_ashrrev_i32_e32 v1, 31, v0
	v_lshlrev_b64 v[0:1], 2, v[0:1]
	s_delay_alu instid0(VALU_DEP_1) | instskip(NEXT) | instid1(VALU_DEP_2)
	v_add_co_u32 v0, vcc_lo, s12, v0
	v_add_co_ci_u32_e32 v1, vcc_lo, s13, v1, vcc_lo
	.p2align	6
.LBB108_11:                             ; =>This Inner Loop Header: Depth=1
	global_load_b32 v3, v[0:1], off
	s_add_i32 s4, s4, -1
	s_delay_alu instid0(SALU_CYCLE_1) | instskip(SKIP_3) | instid1(VALU_DEP_2)
	s_cmp_lg_u32 s4, 0
	s_waitcnt vmcnt(0)
	v_div_scale_f32 v4, null, v2, v2, v3
	v_div_scale_f32 v7, vcc_lo, v3, v2, v3
	v_rcp_f32_e32 v5, v4
	s_waitcnt_depctr 0xfff
	v_fma_f32 v6, -v4, v5, 1.0
	s_delay_alu instid0(VALU_DEP_1) | instskip(NEXT) | instid1(VALU_DEP_1)
	v_fmac_f32_e32 v5, v6, v5
	v_mul_f32_e32 v6, v7, v5
	s_delay_alu instid0(VALU_DEP_1) | instskip(NEXT) | instid1(VALU_DEP_1)
	v_fma_f32 v8, -v4, v6, v7
	v_fmac_f32_e32 v6, v8, v5
	s_delay_alu instid0(VALU_DEP_1) | instskip(NEXT) | instid1(VALU_DEP_1)
	v_fma_f32 v4, -v4, v6, v7
	v_div_fmas_f32 v4, v4, v5, v6
	s_delay_alu instid0(VALU_DEP_1)
	v_div_fixup_f32 v3, v4, v2, v3
	global_store_b32 v[0:1], v3, off
	v_add_co_u32 v0, vcc_lo, v0, 4
	v_add_co_ci_u32_e32 v1, vcc_lo, 0, v1, vcc_lo
	s_cbranch_scc1 .LBB108_11
.LBB108_12:
	s_nop 0
	s_sendmsg sendmsg(MSG_DEALLOC_VGPRS)
	s_endpgm
	.section	.rodata,"a",@progbits
	.p2align	6, 0x0
	.amdhsa_kernel _ZN4vllm3moe10topkGatingILi1ELi1ELi4ELi2ELi32El6__halfLNS0_11ScoringFuncE0EEEvPKT5_PKbPfiPT4_PiiiibPKf
		.amdhsa_group_segment_fixed_size 0
		.amdhsa_private_segment_fixed_size 0
		.amdhsa_kernarg_size 72
		.amdhsa_user_sgpr_count 15
		.amdhsa_user_sgpr_dispatch_ptr 0
		.amdhsa_user_sgpr_queue_ptr 0
		.amdhsa_user_sgpr_kernarg_segment_ptr 1
		.amdhsa_user_sgpr_dispatch_id 0
		.amdhsa_user_sgpr_private_segment_size 0
		.amdhsa_wavefront_size32 1
		.amdhsa_uses_dynamic_stack 0
		.amdhsa_enable_private_segment 0
		.amdhsa_system_sgpr_workgroup_id_x 1
		.amdhsa_system_sgpr_workgroup_id_y 0
		.amdhsa_system_sgpr_workgroup_id_z 0
		.amdhsa_system_sgpr_workgroup_info 0
		.amdhsa_system_vgpr_workitem_id 1
		.amdhsa_next_free_vgpr 14
		.amdhsa_next_free_sgpr 16
		.amdhsa_reserve_vcc 1
		.amdhsa_float_round_mode_32 0
		.amdhsa_float_round_mode_16_64 0
		.amdhsa_float_denorm_mode_32 3
		.amdhsa_float_denorm_mode_16_64 3
		.amdhsa_dx10_clamp 1
		.amdhsa_ieee_mode 1
		.amdhsa_fp16_overflow 0
		.amdhsa_workgroup_processor_mode 1
		.amdhsa_memory_ordered 1
		.amdhsa_forward_progress 0
		.amdhsa_shared_vgpr_count 0
		.amdhsa_exception_fp_ieee_invalid_op 0
		.amdhsa_exception_fp_denorm_src 0
		.amdhsa_exception_fp_ieee_div_zero 0
		.amdhsa_exception_fp_ieee_overflow 0
		.amdhsa_exception_fp_ieee_underflow 0
		.amdhsa_exception_fp_ieee_inexact 0
		.amdhsa_exception_int_div_zero 0
	.end_amdhsa_kernel
	.section	.text._ZN4vllm3moe10topkGatingILi1ELi1ELi4ELi2ELi32El6__halfLNS0_11ScoringFuncE0EEEvPKT5_PKbPfiPT4_PiiiibPKf,"axG",@progbits,_ZN4vllm3moe10topkGatingILi1ELi1ELi4ELi2ELi32El6__halfLNS0_11ScoringFuncE0EEEvPKT5_PKbPfiPT4_PiiiibPKf,comdat
.Lfunc_end108:
	.size	_ZN4vllm3moe10topkGatingILi1ELi1ELi4ELi2ELi32El6__halfLNS0_11ScoringFuncE0EEEvPKT5_PKbPfiPT4_PiiiibPKf, .Lfunc_end108-_ZN4vllm3moe10topkGatingILi1ELi1ELi4ELi2ELi32El6__halfLNS0_11ScoringFuncE0EEEvPKT5_PKbPfiPT4_PiiiibPKf
                                        ; -- End function
	.section	.AMDGPU.csdata,"",@progbits
; Kernel info:
; codeLenInByte = 924
; NumSgprs: 18
; NumVgprs: 14
; ScratchSize: 0
; MemoryBound: 0
; FloatMode: 240
; IeeeMode: 1
; LDSByteSize: 0 bytes/workgroup (compile time only)
; SGPRBlocks: 2
; VGPRBlocks: 1
; NumSGPRsForWavesPerEU: 18
; NumVGPRsForWavesPerEU: 14
; Occupancy: 16
; WaveLimiterHint : 0
; COMPUTE_PGM_RSRC2:SCRATCH_EN: 0
; COMPUTE_PGM_RSRC2:USER_SGPR: 15
; COMPUTE_PGM_RSRC2:TRAP_HANDLER: 0
; COMPUTE_PGM_RSRC2:TGID_X_EN: 1
; COMPUTE_PGM_RSRC2:TGID_Y_EN: 0
; COMPUTE_PGM_RSRC2:TGID_Z_EN: 0
; COMPUTE_PGM_RSRC2:TIDIG_COMP_CNT: 1
	.section	.text._ZN4vllm3moe10topkGatingILi2ELi2ELi4ELi4ELi64El6__halfLNS0_11ScoringFuncE0EEEvPKT5_PKbPfiPT4_PiiiibPKf,"axG",@progbits,_ZN4vllm3moe10topkGatingILi2ELi2ELi4ELi4ELi64El6__halfLNS0_11ScoringFuncE0EEEvPKT5_PKbPfiPT4_PiiiibPKf,comdat
	.protected	_ZN4vllm3moe10topkGatingILi2ELi2ELi4ELi4ELi64El6__halfLNS0_11ScoringFuncE0EEEvPKT5_PKbPfiPT4_PiiiibPKf ; -- Begin function _ZN4vllm3moe10topkGatingILi2ELi2ELi4ELi4ELi64El6__halfLNS0_11ScoringFuncE0EEEvPKT5_PKbPfiPT4_PiiiibPKf
	.globl	_ZN4vllm3moe10topkGatingILi2ELi2ELi4ELi4ELi64El6__halfLNS0_11ScoringFuncE0EEEvPKT5_PKbPfiPT4_PiiiibPKf
	.p2align	8
	.type	_ZN4vllm3moe10topkGatingILi2ELi2ELi4ELi4ELi64El6__halfLNS0_11ScoringFuncE0EEEvPKT5_PKbPfiPT4_PiiiibPKf,@function
_ZN4vllm3moe10topkGatingILi2ELi2ELi4ELi4ELi64El6__halfLNS0_11ScoringFuncE0EEEvPKT5_PKbPfiPT4_PiiiibPKf: ; @_ZN4vllm3moe10topkGatingILi2ELi2ELi4ELi4ELi64El6__halfLNS0_11ScoringFuncE0EEEvPKT5_PKbPfiPT4_PiiiibPKf
; %bb.0:
	s_load_b32 s8, s[0:1], 0x18
	v_bfe_u32 v1, v0, 10, 10
	v_and_b32_e32 v0, 0x3ff, v0
	s_lshl_b32 s2, s15, 8
	s_delay_alu instid0(VALU_DEP_2) | instskip(NEXT) | instid1(VALU_DEP_1)
	v_lshlrev_b32_e32 v1, 6, v1
	v_add3_u32 v10, v1, v0, s2
	s_mov_b32 s2, exec_lo
	s_waitcnt lgkmcnt(0)
	s_delay_alu instid0(VALU_DEP_1)
	v_cmpx_gt_i32_e64 s8, v10
	s_cbranch_execz .LBB109_14
; %bb.1:
	s_clause 0x1
	s_load_b128 s[4:7], s[0:1], 0x0
	s_load_b64 s[2:3], s[0:1], 0x10
	s_waitcnt lgkmcnt(0)
	s_cmp_eq_u64 s[6:7], 0
	s_cbranch_scc1 .LBB109_3
; %bb.2:
	v_ashrrev_i32_e32 v1, 31, v10
	v_add_co_u32 v0, vcc_lo, s6, v10
	s_delay_alu instid0(VALU_DEP_2) | instskip(SKIP_3) | instid1(VALU_DEP_1)
	v_add_co_ci_u32_e32 v1, vcc_lo, s7, v1, vcc_lo
	global_load_u8 v0, v[0:1], off
	s_waitcnt vmcnt(0)
	v_and_b32_e32 v0, 1, v0
	v_cmp_eq_u32_e32 vcc_lo, 1, v0
	s_xor_b32 s6, vcc_lo, -1
	s_delay_alu instid0(SALU_CYCLE_1)
	s_or_not1_b32 s9, s6, exec_lo
	s_branch .LBB109_4
.LBB109_3:
	s_mov_b32 s9, -1
.LBB109_4:
	v_lshlrev_b32_e32 v0, 1, v10
	s_delay_alu instid0(VALU_DEP_1) | instskip(NEXT) | instid1(VALU_DEP_1)
	v_ashrrev_i32_e32 v1, 31, v0
	v_lshlrev_b64 v[0:1], 1, v[0:1]
	s_delay_alu instid0(VALU_DEP_1) | instskip(NEXT) | instid1(VALU_DEP_2)
	v_add_co_u32 v0, vcc_lo, s4, v0
	v_add_co_ci_u32_e32 v1, vcc_lo, s5, v1, vcc_lo
	s_load_b64 s[4:5], s[0:1], 0x40
	global_load_b32 v0, v[0:1], off
	s_waitcnt lgkmcnt(0)
	s_cmp_eq_u64 s[4:5], 0
	s_waitcnt vmcnt(0)
	v_lshrrev_b32_e32 v1, 16, v0
	v_cvt_f32_f16_e32 v0, v0
	s_delay_alu instid0(VALU_DEP_2) | instskip(NEXT) | instid1(VALU_DEP_1)
	v_cvt_f32_f16_e32 v1, v1
	v_max_f32_e32 v2, v0, v1
	s_delay_alu instid0(VALU_DEP_1) | instskip(NEXT) | instid1(VALU_DEP_1)
	v_sub_f32_e32 v1, v1, v2
	v_mul_f32_e32 v3, 0x3fb8aa3b, v1
	s_delay_alu instid0(VALU_DEP_1) | instskip(SKIP_1) | instid1(VALU_DEP_2)
	v_rndne_f32_e32 v7, v3
	v_fma_f32 v6, 0x3fb8aa3b, v1, -v3
	v_dual_sub_f32 v3, v3, v7 :: v_dual_sub_f32 v0, v0, v2
	s_delay_alu instid0(VALU_DEP_1) | instskip(NEXT) | instid1(VALU_DEP_3)
	v_mul_f32_e32 v2, 0x3fb8aa3b, v0
	v_fmac_f32_e32 v6, 0x32a5705f, v1
	v_cmp_ngt_f32_e32 vcc_lo, 0xc2ce8ed0, v0
	s_delay_alu instid0(VALU_DEP_3) | instskip(SKIP_1) | instid1(VALU_DEP_2)
	v_fma_f32 v4, 0x3fb8aa3b, v0, -v2
	v_rndne_f32_e32 v5, v2
	v_dual_add_f32 v3, v3, v6 :: v_dual_fmac_f32 v4, 0x32a5705f, v0
	s_delay_alu instid0(VALU_DEP_2) | instskip(NEXT) | instid1(VALU_DEP_2)
	v_sub_f32_e32 v2, v2, v5
	v_exp_f32_e32 v3, v3
	s_delay_alu instid0(VALU_DEP_1) | instskip(SKIP_2) | instid1(VALU_DEP_3)
	v_add_f32_e32 v2, v2, v4
	v_cvt_i32_f32_e32 v4, v5
	v_cvt_i32_f32_e32 v5, v7
	v_exp_f32_e32 v2, v2
	s_waitcnt_depctr 0xfff
	v_ldexp_f32 v3, v3, v5
	v_ldexp_f32 v2, v2, v4
	s_delay_alu instid0(VALU_DEP_1) | instskip(SKIP_1) | instid1(VALU_DEP_4)
	v_cndmask_b32_e32 v2, 0, v2, vcc_lo
	v_cmp_ngt_f32_e32 vcc_lo, 0xc2ce8ed0, v1
	v_cndmask_b32_e32 v3, 0, v3, vcc_lo
	v_cmp_nlt_f32_e32 vcc_lo, 0x42b17218, v0
	s_delay_alu instid0(VALU_DEP_4) | instskip(SKIP_1) | instid1(VALU_DEP_4)
	v_cndmask_b32_e32 v0, 0x7f800000, v2, vcc_lo
	v_cmp_nlt_f32_e32 vcc_lo, 0x42b17218, v1
	v_cndmask_b32_e32 v1, 0x7f800000, v3, vcc_lo
	s_delay_alu instid0(VALU_DEP_1) | instskip(NEXT) | instid1(VALU_DEP_1)
	v_add_f32_e32 v2, v0, v1
	v_div_scale_f32 v3, null, v2, v2, 1.0
	v_div_scale_f32 v6, vcc_lo, 1.0, v2, 1.0
	s_delay_alu instid0(VALU_DEP_2) | instskip(SKIP_2) | instid1(VALU_DEP_1)
	v_rcp_f32_e32 v4, v3
	s_waitcnt_depctr 0xfff
	v_fma_f32 v5, -v3, v4, 1.0
	v_fmac_f32_e32 v4, v5, v4
	s_delay_alu instid0(VALU_DEP_1) | instskip(NEXT) | instid1(VALU_DEP_1)
	v_mul_f32_e32 v5, v6, v4
	v_fma_f32 v7, -v3, v5, v6
	s_delay_alu instid0(VALU_DEP_1) | instskip(NEXT) | instid1(VALU_DEP_1)
	v_fmac_f32_e32 v5, v7, v4
	v_fma_f32 v3, -v3, v5, v6
	s_delay_alu instid0(VALU_DEP_1) | instskip(NEXT) | instid1(VALU_DEP_1)
	v_div_fmas_f32 v3, v3, v4, v5
	v_div_fixup_f32 v2, v3, v2, 1.0
	s_delay_alu instid0(VALU_DEP_1) | instskip(SKIP_1) | instid1(VALU_DEP_1)
	v_mul_f32_e32 v1, v2, v1
	v_mul_f32_e32 v0, v2, v0
	v_cmp_class_f32_e64 vcc_lo, v0, 0x1f8
	v_cndmask_b32_e32 v0, 0, v0, vcc_lo
	s_delay_alu instid0(VALU_DEP_4) | instskip(SKIP_1) | instid1(VALU_DEP_1)
	v_cmp_class_f32_e64 vcc_lo, v1, 0x1f8
	v_cndmask_b32_e32 v1, 0, v1, vcc_lo
	v_dual_mov_b32 v3, v1 :: v_dual_mov_b32 v2, v0
	s_cbranch_scc1 .LBB109_6
; %bb.5:
	s_load_b64 s[4:5], s[4:5], 0x0
	s_waitcnt lgkmcnt(0)
	v_dual_add_f32 v2, s4, v0 :: v_dual_add_f32 v3, s5, v1
.LBB109_6:
	s_load_b128 s[4:7], s[0:1], 0x30
	s_waitcnt lgkmcnt(0)
	s_bitcmp1_b32 s7, 0
	s_cselect_b32 vcc_lo, -1, 0
	s_cmp_gt_i32 s4, 0
	s_cselect_b32 s7, -1, 0
	s_cmp_lt_i32 s4, 1
	s_cbranch_scc1 .LBB109_10
; %bb.7:
	v_mul_lo_u32 v4, v10, s4
	s_load_b128 s[12:15], s[0:1], 0x20
	v_dual_mov_b32 v11, 0 :: v_dual_mov_b32 v12, v10
	s_mov_b32 s10, 0
	s_delay_alu instid0(VALU_DEP_2) | instskip(NEXT) | instid1(VALU_DEP_1)
	v_ashrrev_i32_e32 v5, 31, v4
	v_lshlrev_b64 v[8:9], 2, v[4:5]
	v_lshlrev_b64 v[6:7], 3, v[4:5]
	s_delay_alu instid0(VALU_DEP_2) | instskip(NEXT) | instid1(VALU_DEP_1)
	v_add_co_u32 v4, s0, s2, v8
	v_add_co_ci_u32_e64 v5, s0, s3, v9, s0
	s_waitcnt lgkmcnt(0)
	s_delay_alu instid0(VALU_DEP_3) | instskip(NEXT) | instid1(VALU_DEP_1)
	v_add_co_u32 v6, s0, s12, v6
	v_add_co_ci_u32_e64 v7, s0, s13, v7, s0
	v_add_co_u32 v8, s0, s14, v8
	s_delay_alu instid0(VALU_DEP_1)
	v_add_co_ci_u32_e64 v9, s0, s15, v9, s0
.LBB109_8:                              ; =>This Inner Loop Header: Depth=1
	v_cmp_gt_f32_e64 s0, v3, v2
	global_store_b32 v[8:9], v12, off
	v_add_co_u32 v8, s1, v8, 4
	s_delay_alu instid0(VALU_DEP_1)
	v_add_co_ci_u32_e64 v9, s1, 0, v9, s1
	v_cndmask_b32_e64 v13, v0, v1, s0
	v_cndmask_b32_e64 v14, 0, 1, s0
	;; [unrolled: 1-line block ×4, first 2 shown]
	v_add_nc_u32_e32 v12, s8, v12
	global_store_b32 v[4:5], v13, off
	v_add_f32_e32 v13, v11, v13
	v_add_co_u32 v4, s0, v4, 4
	s_delay_alu instid0(VALU_DEP_1)
	v_add_co_ci_u32_e64 v5, s0, 0, v5, s0
	v_subrev_nc_u32_e32 v17, s5, v14
	v_cmp_le_i32_e64 s0, s5, v14
	v_cmp_gt_i32_e64 s1, s6, v14
	v_cndmask_b32_e32 v11, v11, v13, vcc_lo
	s_add_i32 s10, s10, 1
	v_ashrrev_i32_e32 v13, 31, v17
	s_delay_alu instid0(VALU_DEP_3) | instskip(NEXT) | instid1(SALU_CYCLE_1)
	s_and_b32 s0, s0, s1
	s_and_b32 s0, s9, s0
	s_cmp_lt_i32 s10, s4
	s_delay_alu instid0(VALU_DEP_1)
	v_cndmask_b32_e64 v14, 0, v13, s0
	v_cndmask_b32_e64 v13, 2, v17, s0
	s_cselect_b32 s0, -1, 0
	s_cmp_eq_u32 s4, s10
	v_cndmask_b32_e64 v3, v3, v16, s0
	v_cndmask_b32_e64 v2, v2, v15, s0
	global_store_b64 v[6:7], v[13:14], off
	v_add_co_u32 v6, s0, v6, 8
	s_delay_alu instid0(VALU_DEP_1)
	v_add_co_ci_u32_e64 v7, s0, 0, v7, s0
	s_cbranch_scc0 .LBB109_8
; %bb.9:
	s_and_b32 vcc_lo, exec_lo, vcc_lo
	s_cbranch_vccnz .LBB109_11
	s_branch .LBB109_14
.LBB109_10:
	v_mov_b32_e32 v11, 0
	s_and_b32 vcc_lo, exec_lo, vcc_lo
	s_cbranch_vccz .LBB109_14
.LBB109_11:
	s_and_not1_b32 vcc_lo, exec_lo, s7
	s_cbranch_vccnz .LBB109_14
; %bb.12:
	v_mul_lo_u32 v0, v10, s4
	v_cmp_lt_f32_e32 vcc_lo, 0, v11
	v_cndmask_b32_e32 v2, 1.0, v11, vcc_lo
	s_delay_alu instid0(VALU_DEP_3) | instskip(NEXT) | instid1(VALU_DEP_1)
	v_ashrrev_i32_e32 v1, 31, v0
	v_lshlrev_b64 v[0:1], 2, v[0:1]
	s_delay_alu instid0(VALU_DEP_1) | instskip(NEXT) | instid1(VALU_DEP_2)
	v_add_co_u32 v0, vcc_lo, s2, v0
	v_add_co_ci_u32_e32 v1, vcc_lo, s3, v1, vcc_lo
	.p2align	6
.LBB109_13:                             ; =>This Inner Loop Header: Depth=1
	global_load_b32 v3, v[0:1], off
	s_add_i32 s4, s4, -1
	s_delay_alu instid0(SALU_CYCLE_1) | instskip(SKIP_3) | instid1(VALU_DEP_2)
	s_cmp_lg_u32 s4, 0
	s_waitcnt vmcnt(0)
	v_div_scale_f32 v4, null, v2, v2, v3
	v_div_scale_f32 v7, vcc_lo, v3, v2, v3
	v_rcp_f32_e32 v5, v4
	s_waitcnt_depctr 0xfff
	v_fma_f32 v6, -v4, v5, 1.0
	s_delay_alu instid0(VALU_DEP_1) | instskip(NEXT) | instid1(VALU_DEP_1)
	v_fmac_f32_e32 v5, v6, v5
	v_mul_f32_e32 v6, v7, v5
	s_delay_alu instid0(VALU_DEP_1) | instskip(NEXT) | instid1(VALU_DEP_1)
	v_fma_f32 v8, -v4, v6, v7
	v_fmac_f32_e32 v6, v8, v5
	s_delay_alu instid0(VALU_DEP_1) | instskip(NEXT) | instid1(VALU_DEP_1)
	v_fma_f32 v4, -v4, v6, v7
	v_div_fmas_f32 v4, v4, v5, v6
	s_delay_alu instid0(VALU_DEP_1)
	v_div_fixup_f32 v3, v4, v2, v3
	global_store_b32 v[0:1], v3, off
	v_add_co_u32 v0, vcc_lo, v0, 4
	v_add_co_ci_u32_e32 v1, vcc_lo, 0, v1, vcc_lo
	s_cbranch_scc1 .LBB109_13
.LBB109_14:
	s_nop 0
	s_sendmsg sendmsg(MSG_DEALLOC_VGPRS)
	s_endpgm
	.section	.rodata,"a",@progbits
	.p2align	6, 0x0
	.amdhsa_kernel _ZN4vllm3moe10topkGatingILi2ELi2ELi4ELi4ELi64El6__halfLNS0_11ScoringFuncE0EEEvPKT5_PKbPfiPT4_PiiiibPKf
		.amdhsa_group_segment_fixed_size 0
		.amdhsa_private_segment_fixed_size 0
		.amdhsa_kernarg_size 72
		.amdhsa_user_sgpr_count 15
		.amdhsa_user_sgpr_dispatch_ptr 0
		.amdhsa_user_sgpr_queue_ptr 0
		.amdhsa_user_sgpr_kernarg_segment_ptr 1
		.amdhsa_user_sgpr_dispatch_id 0
		.amdhsa_user_sgpr_private_segment_size 0
		.amdhsa_wavefront_size32 1
		.amdhsa_uses_dynamic_stack 0
		.amdhsa_enable_private_segment 0
		.amdhsa_system_sgpr_workgroup_id_x 1
		.amdhsa_system_sgpr_workgroup_id_y 0
		.amdhsa_system_sgpr_workgroup_id_z 0
		.amdhsa_system_sgpr_workgroup_info 0
		.amdhsa_system_vgpr_workitem_id 1
		.amdhsa_next_free_vgpr 18
		.amdhsa_next_free_sgpr 16
		.amdhsa_reserve_vcc 1
		.amdhsa_float_round_mode_32 0
		.amdhsa_float_round_mode_16_64 0
		.amdhsa_float_denorm_mode_32 3
		.amdhsa_float_denorm_mode_16_64 3
		.amdhsa_dx10_clamp 1
		.amdhsa_ieee_mode 1
		.amdhsa_fp16_overflow 0
		.amdhsa_workgroup_processor_mode 1
		.amdhsa_memory_ordered 1
		.amdhsa_forward_progress 0
		.amdhsa_shared_vgpr_count 0
		.amdhsa_exception_fp_ieee_invalid_op 0
		.amdhsa_exception_fp_denorm_src 0
		.amdhsa_exception_fp_ieee_div_zero 0
		.amdhsa_exception_fp_ieee_overflow 0
		.amdhsa_exception_fp_ieee_underflow 0
		.amdhsa_exception_fp_ieee_inexact 0
		.amdhsa_exception_int_div_zero 0
	.end_amdhsa_kernel
	.section	.text._ZN4vllm3moe10topkGatingILi2ELi2ELi4ELi4ELi64El6__halfLNS0_11ScoringFuncE0EEEvPKT5_PKbPfiPT4_PiiiibPKf,"axG",@progbits,_ZN4vllm3moe10topkGatingILi2ELi2ELi4ELi4ELi64El6__halfLNS0_11ScoringFuncE0EEEvPKT5_PKbPfiPT4_PiiiibPKf,comdat
.Lfunc_end109:
	.size	_ZN4vllm3moe10topkGatingILi2ELi2ELi4ELi4ELi64El6__halfLNS0_11ScoringFuncE0EEEvPKT5_PKbPfiPT4_PiiiibPKf, .Lfunc_end109-_ZN4vllm3moe10topkGatingILi2ELi2ELi4ELi4ELi64El6__halfLNS0_11ScoringFuncE0EEEvPKT5_PKbPfiPT4_PiiiibPKf
                                        ; -- End function
	.section	.AMDGPU.csdata,"",@progbits
; Kernel info:
; codeLenInByte = 1256
; NumSgprs: 18
; NumVgprs: 18
; ScratchSize: 0
; MemoryBound: 0
; FloatMode: 240
; IeeeMode: 1
; LDSByteSize: 0 bytes/workgroup (compile time only)
; SGPRBlocks: 2
; VGPRBlocks: 2
; NumSGPRsForWavesPerEU: 18
; NumVGPRsForWavesPerEU: 18
; Occupancy: 16
; WaveLimiterHint : 0
; COMPUTE_PGM_RSRC2:SCRATCH_EN: 0
; COMPUTE_PGM_RSRC2:USER_SGPR: 15
; COMPUTE_PGM_RSRC2:TRAP_HANDLER: 0
; COMPUTE_PGM_RSRC2:TGID_X_EN: 1
; COMPUTE_PGM_RSRC2:TGID_Y_EN: 0
; COMPUTE_PGM_RSRC2:TGID_Z_EN: 0
; COMPUTE_PGM_RSRC2:TIDIG_COMP_CNT: 1
	.section	.text._ZN4vllm3moe10topkGatingILi2ELi2ELi4ELi4ELi32El6__halfLNS0_11ScoringFuncE0EEEvPKT5_PKbPfiPT4_PiiiibPKf,"axG",@progbits,_ZN4vllm3moe10topkGatingILi2ELi2ELi4ELi4ELi32El6__halfLNS0_11ScoringFuncE0EEEvPKT5_PKbPfiPT4_PiiiibPKf,comdat
	.protected	_ZN4vllm3moe10topkGatingILi2ELi2ELi4ELi4ELi32El6__halfLNS0_11ScoringFuncE0EEEvPKT5_PKbPfiPT4_PiiiibPKf ; -- Begin function _ZN4vllm3moe10topkGatingILi2ELi2ELi4ELi4ELi32El6__halfLNS0_11ScoringFuncE0EEEvPKT5_PKbPfiPT4_PiiiibPKf
	.globl	_ZN4vllm3moe10topkGatingILi2ELi2ELi4ELi4ELi32El6__halfLNS0_11ScoringFuncE0EEEvPKT5_PKbPfiPT4_PiiiibPKf
	.p2align	8
	.type	_ZN4vllm3moe10topkGatingILi2ELi2ELi4ELi4ELi32El6__halfLNS0_11ScoringFuncE0EEEvPKT5_PKbPfiPT4_PiiiibPKf,@function
_ZN4vllm3moe10topkGatingILi2ELi2ELi4ELi4ELi32El6__halfLNS0_11ScoringFuncE0EEEvPKT5_PKbPfiPT4_PiiiibPKf: ; @_ZN4vllm3moe10topkGatingILi2ELi2ELi4ELi4ELi32El6__halfLNS0_11ScoringFuncE0EEEvPKT5_PKbPfiPT4_PiiiibPKf
; %bb.0:
	s_load_b32 s8, s[0:1], 0x18
	v_bfe_u32 v1, v0, 10, 10
	v_and_b32_e32 v0, 0x3ff, v0
	s_lshl_b32 s2, s15, 7
	s_delay_alu instid0(VALU_DEP_2) | instskip(NEXT) | instid1(VALU_DEP_1)
	v_lshlrev_b32_e32 v1, 5, v1
	v_add3_u32 v10, v1, v0, s2
	s_mov_b32 s2, exec_lo
	s_waitcnt lgkmcnt(0)
	s_delay_alu instid0(VALU_DEP_1)
	v_cmpx_gt_i32_e64 s8, v10
	s_cbranch_execz .LBB110_14
; %bb.1:
	s_clause 0x1
	s_load_b128 s[4:7], s[0:1], 0x0
	s_load_b64 s[2:3], s[0:1], 0x10
	s_waitcnt lgkmcnt(0)
	s_cmp_eq_u64 s[6:7], 0
	s_cbranch_scc1 .LBB110_3
; %bb.2:
	v_ashrrev_i32_e32 v1, 31, v10
	v_add_co_u32 v0, vcc_lo, s6, v10
	s_delay_alu instid0(VALU_DEP_2) | instskip(SKIP_3) | instid1(VALU_DEP_1)
	v_add_co_ci_u32_e32 v1, vcc_lo, s7, v1, vcc_lo
	global_load_u8 v0, v[0:1], off
	s_waitcnt vmcnt(0)
	v_and_b32_e32 v0, 1, v0
	v_cmp_eq_u32_e32 vcc_lo, 1, v0
	s_xor_b32 s6, vcc_lo, -1
	s_delay_alu instid0(SALU_CYCLE_1)
	s_or_not1_b32 s9, s6, exec_lo
	s_branch .LBB110_4
.LBB110_3:
	s_mov_b32 s9, -1
.LBB110_4:
	v_lshlrev_b32_e32 v0, 1, v10
	s_delay_alu instid0(VALU_DEP_1) | instskip(NEXT) | instid1(VALU_DEP_1)
	v_ashrrev_i32_e32 v1, 31, v0
	v_lshlrev_b64 v[0:1], 1, v[0:1]
	s_delay_alu instid0(VALU_DEP_1) | instskip(NEXT) | instid1(VALU_DEP_2)
	v_add_co_u32 v0, vcc_lo, s4, v0
	v_add_co_ci_u32_e32 v1, vcc_lo, s5, v1, vcc_lo
	s_load_b64 s[4:5], s[0:1], 0x40
	global_load_b32 v0, v[0:1], off
	s_waitcnt lgkmcnt(0)
	s_cmp_eq_u64 s[4:5], 0
	s_waitcnt vmcnt(0)
	v_lshrrev_b32_e32 v1, 16, v0
	v_cvt_f32_f16_e32 v0, v0
	s_delay_alu instid0(VALU_DEP_2) | instskip(NEXT) | instid1(VALU_DEP_1)
	v_cvt_f32_f16_e32 v1, v1
	v_max_f32_e32 v2, v0, v1
	s_delay_alu instid0(VALU_DEP_1) | instskip(NEXT) | instid1(VALU_DEP_1)
	v_sub_f32_e32 v1, v1, v2
	v_mul_f32_e32 v3, 0x3fb8aa3b, v1
	s_delay_alu instid0(VALU_DEP_1) | instskip(SKIP_1) | instid1(VALU_DEP_2)
	v_rndne_f32_e32 v7, v3
	v_fma_f32 v6, 0x3fb8aa3b, v1, -v3
	v_dual_sub_f32 v3, v3, v7 :: v_dual_sub_f32 v0, v0, v2
	s_delay_alu instid0(VALU_DEP_1) | instskip(NEXT) | instid1(VALU_DEP_3)
	v_mul_f32_e32 v2, 0x3fb8aa3b, v0
	v_fmac_f32_e32 v6, 0x32a5705f, v1
	v_cmp_ngt_f32_e32 vcc_lo, 0xc2ce8ed0, v0
	s_delay_alu instid0(VALU_DEP_3) | instskip(SKIP_1) | instid1(VALU_DEP_2)
	v_fma_f32 v4, 0x3fb8aa3b, v0, -v2
	v_rndne_f32_e32 v5, v2
	v_dual_add_f32 v3, v3, v6 :: v_dual_fmac_f32 v4, 0x32a5705f, v0
	s_delay_alu instid0(VALU_DEP_2) | instskip(NEXT) | instid1(VALU_DEP_2)
	v_sub_f32_e32 v2, v2, v5
	v_exp_f32_e32 v3, v3
	s_delay_alu instid0(VALU_DEP_1) | instskip(SKIP_2) | instid1(VALU_DEP_3)
	v_add_f32_e32 v2, v2, v4
	v_cvt_i32_f32_e32 v4, v5
	v_cvt_i32_f32_e32 v5, v7
	v_exp_f32_e32 v2, v2
	s_waitcnt_depctr 0xfff
	v_ldexp_f32 v3, v3, v5
	v_ldexp_f32 v2, v2, v4
	s_delay_alu instid0(VALU_DEP_1) | instskip(SKIP_1) | instid1(VALU_DEP_4)
	v_cndmask_b32_e32 v2, 0, v2, vcc_lo
	v_cmp_ngt_f32_e32 vcc_lo, 0xc2ce8ed0, v1
	v_cndmask_b32_e32 v3, 0, v3, vcc_lo
	v_cmp_nlt_f32_e32 vcc_lo, 0x42b17218, v0
	s_delay_alu instid0(VALU_DEP_4) | instskip(SKIP_1) | instid1(VALU_DEP_4)
	v_cndmask_b32_e32 v0, 0x7f800000, v2, vcc_lo
	v_cmp_nlt_f32_e32 vcc_lo, 0x42b17218, v1
	v_cndmask_b32_e32 v1, 0x7f800000, v3, vcc_lo
	s_delay_alu instid0(VALU_DEP_1) | instskip(NEXT) | instid1(VALU_DEP_1)
	v_add_f32_e32 v2, v0, v1
	v_div_scale_f32 v3, null, v2, v2, 1.0
	v_div_scale_f32 v6, vcc_lo, 1.0, v2, 1.0
	s_delay_alu instid0(VALU_DEP_2) | instskip(SKIP_2) | instid1(VALU_DEP_1)
	v_rcp_f32_e32 v4, v3
	s_waitcnt_depctr 0xfff
	v_fma_f32 v5, -v3, v4, 1.0
	v_fmac_f32_e32 v4, v5, v4
	s_delay_alu instid0(VALU_DEP_1) | instskip(NEXT) | instid1(VALU_DEP_1)
	v_mul_f32_e32 v5, v6, v4
	v_fma_f32 v7, -v3, v5, v6
	s_delay_alu instid0(VALU_DEP_1) | instskip(NEXT) | instid1(VALU_DEP_1)
	v_fmac_f32_e32 v5, v7, v4
	v_fma_f32 v3, -v3, v5, v6
	s_delay_alu instid0(VALU_DEP_1) | instskip(NEXT) | instid1(VALU_DEP_1)
	v_div_fmas_f32 v3, v3, v4, v5
	v_div_fixup_f32 v2, v3, v2, 1.0
	s_delay_alu instid0(VALU_DEP_1) | instskip(SKIP_1) | instid1(VALU_DEP_1)
	v_mul_f32_e32 v1, v2, v1
	v_mul_f32_e32 v0, v2, v0
	v_cmp_class_f32_e64 vcc_lo, v0, 0x1f8
	v_cndmask_b32_e32 v0, 0, v0, vcc_lo
	s_delay_alu instid0(VALU_DEP_4) | instskip(SKIP_1) | instid1(VALU_DEP_1)
	v_cmp_class_f32_e64 vcc_lo, v1, 0x1f8
	v_cndmask_b32_e32 v1, 0, v1, vcc_lo
	v_dual_mov_b32 v3, v1 :: v_dual_mov_b32 v2, v0
	s_cbranch_scc1 .LBB110_6
; %bb.5:
	s_load_b64 s[4:5], s[4:5], 0x0
	s_waitcnt lgkmcnt(0)
	v_dual_add_f32 v2, s4, v0 :: v_dual_add_f32 v3, s5, v1
.LBB110_6:
	s_load_b128 s[4:7], s[0:1], 0x30
	s_waitcnt lgkmcnt(0)
	s_bitcmp1_b32 s7, 0
	s_cselect_b32 vcc_lo, -1, 0
	s_cmp_gt_i32 s4, 0
	s_cselect_b32 s7, -1, 0
	s_cmp_lt_i32 s4, 1
	s_cbranch_scc1 .LBB110_10
; %bb.7:
	v_mul_lo_u32 v4, v10, s4
	s_load_b128 s[12:15], s[0:1], 0x20
	v_dual_mov_b32 v11, 0 :: v_dual_mov_b32 v12, v10
	s_mov_b32 s10, 0
	s_delay_alu instid0(VALU_DEP_2) | instskip(NEXT) | instid1(VALU_DEP_1)
	v_ashrrev_i32_e32 v5, 31, v4
	v_lshlrev_b64 v[8:9], 2, v[4:5]
	v_lshlrev_b64 v[6:7], 3, v[4:5]
	s_delay_alu instid0(VALU_DEP_2) | instskip(NEXT) | instid1(VALU_DEP_1)
	v_add_co_u32 v4, s0, s2, v8
	v_add_co_ci_u32_e64 v5, s0, s3, v9, s0
	s_waitcnt lgkmcnt(0)
	s_delay_alu instid0(VALU_DEP_3) | instskip(NEXT) | instid1(VALU_DEP_1)
	v_add_co_u32 v6, s0, s12, v6
	v_add_co_ci_u32_e64 v7, s0, s13, v7, s0
	v_add_co_u32 v8, s0, s14, v8
	s_delay_alu instid0(VALU_DEP_1)
	v_add_co_ci_u32_e64 v9, s0, s15, v9, s0
.LBB110_8:                              ; =>This Inner Loop Header: Depth=1
	v_cmp_gt_f32_e64 s0, v3, v2
	global_store_b32 v[8:9], v12, off
	v_add_co_u32 v8, s1, v8, 4
	s_delay_alu instid0(VALU_DEP_1)
	v_add_co_ci_u32_e64 v9, s1, 0, v9, s1
	v_cndmask_b32_e64 v13, v0, v1, s0
	v_cndmask_b32_e64 v14, 0, 1, s0
	;; [unrolled: 1-line block ×4, first 2 shown]
	v_add_nc_u32_e32 v12, s8, v12
	global_store_b32 v[4:5], v13, off
	v_add_f32_e32 v13, v11, v13
	v_add_co_u32 v4, s0, v4, 4
	s_delay_alu instid0(VALU_DEP_1)
	v_add_co_ci_u32_e64 v5, s0, 0, v5, s0
	v_subrev_nc_u32_e32 v17, s5, v14
	v_cmp_le_i32_e64 s0, s5, v14
	v_cmp_gt_i32_e64 s1, s6, v14
	v_cndmask_b32_e32 v11, v11, v13, vcc_lo
	s_add_i32 s10, s10, 1
	v_ashrrev_i32_e32 v13, 31, v17
	s_delay_alu instid0(VALU_DEP_3) | instskip(NEXT) | instid1(SALU_CYCLE_1)
	s_and_b32 s0, s0, s1
	s_and_b32 s0, s9, s0
	s_cmp_lt_i32 s10, s4
	s_delay_alu instid0(VALU_DEP_1)
	v_cndmask_b32_e64 v14, 0, v13, s0
	v_cndmask_b32_e64 v13, 2, v17, s0
	s_cselect_b32 s0, -1, 0
	s_cmp_eq_u32 s4, s10
	v_cndmask_b32_e64 v3, v3, v16, s0
	v_cndmask_b32_e64 v2, v2, v15, s0
	global_store_b64 v[6:7], v[13:14], off
	v_add_co_u32 v6, s0, v6, 8
	s_delay_alu instid0(VALU_DEP_1)
	v_add_co_ci_u32_e64 v7, s0, 0, v7, s0
	s_cbranch_scc0 .LBB110_8
; %bb.9:
	s_and_b32 vcc_lo, exec_lo, vcc_lo
	s_cbranch_vccnz .LBB110_11
	s_branch .LBB110_14
.LBB110_10:
	v_mov_b32_e32 v11, 0
	s_and_b32 vcc_lo, exec_lo, vcc_lo
	s_cbranch_vccz .LBB110_14
.LBB110_11:
	s_and_not1_b32 vcc_lo, exec_lo, s7
	s_cbranch_vccnz .LBB110_14
; %bb.12:
	v_mul_lo_u32 v0, v10, s4
	v_cmp_lt_f32_e32 vcc_lo, 0, v11
	v_cndmask_b32_e32 v2, 1.0, v11, vcc_lo
	s_delay_alu instid0(VALU_DEP_3) | instskip(NEXT) | instid1(VALU_DEP_1)
	v_ashrrev_i32_e32 v1, 31, v0
	v_lshlrev_b64 v[0:1], 2, v[0:1]
	s_delay_alu instid0(VALU_DEP_1) | instskip(NEXT) | instid1(VALU_DEP_2)
	v_add_co_u32 v0, vcc_lo, s2, v0
	v_add_co_ci_u32_e32 v1, vcc_lo, s3, v1, vcc_lo
	.p2align	6
.LBB110_13:                             ; =>This Inner Loop Header: Depth=1
	global_load_b32 v3, v[0:1], off
	s_add_i32 s4, s4, -1
	s_delay_alu instid0(SALU_CYCLE_1) | instskip(SKIP_3) | instid1(VALU_DEP_2)
	s_cmp_lg_u32 s4, 0
	s_waitcnt vmcnt(0)
	v_div_scale_f32 v4, null, v2, v2, v3
	v_div_scale_f32 v7, vcc_lo, v3, v2, v3
	v_rcp_f32_e32 v5, v4
	s_waitcnt_depctr 0xfff
	v_fma_f32 v6, -v4, v5, 1.0
	s_delay_alu instid0(VALU_DEP_1) | instskip(NEXT) | instid1(VALU_DEP_1)
	v_fmac_f32_e32 v5, v6, v5
	v_mul_f32_e32 v6, v7, v5
	s_delay_alu instid0(VALU_DEP_1) | instskip(NEXT) | instid1(VALU_DEP_1)
	v_fma_f32 v8, -v4, v6, v7
	v_fmac_f32_e32 v6, v8, v5
	s_delay_alu instid0(VALU_DEP_1) | instskip(NEXT) | instid1(VALU_DEP_1)
	v_fma_f32 v4, -v4, v6, v7
	v_div_fmas_f32 v4, v4, v5, v6
	s_delay_alu instid0(VALU_DEP_1)
	v_div_fixup_f32 v3, v4, v2, v3
	global_store_b32 v[0:1], v3, off
	v_add_co_u32 v0, vcc_lo, v0, 4
	v_add_co_ci_u32_e32 v1, vcc_lo, 0, v1, vcc_lo
	s_cbranch_scc1 .LBB110_13
.LBB110_14:
	s_nop 0
	s_sendmsg sendmsg(MSG_DEALLOC_VGPRS)
	s_endpgm
	.section	.rodata,"a",@progbits
	.p2align	6, 0x0
	.amdhsa_kernel _ZN4vllm3moe10topkGatingILi2ELi2ELi4ELi4ELi32El6__halfLNS0_11ScoringFuncE0EEEvPKT5_PKbPfiPT4_PiiiibPKf
		.amdhsa_group_segment_fixed_size 0
		.amdhsa_private_segment_fixed_size 0
		.amdhsa_kernarg_size 72
		.amdhsa_user_sgpr_count 15
		.amdhsa_user_sgpr_dispatch_ptr 0
		.amdhsa_user_sgpr_queue_ptr 0
		.amdhsa_user_sgpr_kernarg_segment_ptr 1
		.amdhsa_user_sgpr_dispatch_id 0
		.amdhsa_user_sgpr_private_segment_size 0
		.amdhsa_wavefront_size32 1
		.amdhsa_uses_dynamic_stack 0
		.amdhsa_enable_private_segment 0
		.amdhsa_system_sgpr_workgroup_id_x 1
		.amdhsa_system_sgpr_workgroup_id_y 0
		.amdhsa_system_sgpr_workgroup_id_z 0
		.amdhsa_system_sgpr_workgroup_info 0
		.amdhsa_system_vgpr_workitem_id 1
		.amdhsa_next_free_vgpr 18
		.amdhsa_next_free_sgpr 16
		.amdhsa_reserve_vcc 1
		.amdhsa_float_round_mode_32 0
		.amdhsa_float_round_mode_16_64 0
		.amdhsa_float_denorm_mode_32 3
		.amdhsa_float_denorm_mode_16_64 3
		.amdhsa_dx10_clamp 1
		.amdhsa_ieee_mode 1
		.amdhsa_fp16_overflow 0
		.amdhsa_workgroup_processor_mode 1
		.amdhsa_memory_ordered 1
		.amdhsa_forward_progress 0
		.amdhsa_shared_vgpr_count 0
		.amdhsa_exception_fp_ieee_invalid_op 0
		.amdhsa_exception_fp_denorm_src 0
		.amdhsa_exception_fp_ieee_div_zero 0
		.amdhsa_exception_fp_ieee_overflow 0
		.amdhsa_exception_fp_ieee_underflow 0
		.amdhsa_exception_fp_ieee_inexact 0
		.amdhsa_exception_int_div_zero 0
	.end_amdhsa_kernel
	.section	.text._ZN4vllm3moe10topkGatingILi2ELi2ELi4ELi4ELi32El6__halfLNS0_11ScoringFuncE0EEEvPKT5_PKbPfiPT4_PiiiibPKf,"axG",@progbits,_ZN4vllm3moe10topkGatingILi2ELi2ELi4ELi4ELi32El6__halfLNS0_11ScoringFuncE0EEEvPKT5_PKbPfiPT4_PiiiibPKf,comdat
.Lfunc_end110:
	.size	_ZN4vllm3moe10topkGatingILi2ELi2ELi4ELi4ELi32El6__halfLNS0_11ScoringFuncE0EEEvPKT5_PKbPfiPT4_PiiiibPKf, .Lfunc_end110-_ZN4vllm3moe10topkGatingILi2ELi2ELi4ELi4ELi32El6__halfLNS0_11ScoringFuncE0EEEvPKT5_PKbPfiPT4_PiiiibPKf
                                        ; -- End function
	.section	.AMDGPU.csdata,"",@progbits
; Kernel info:
; codeLenInByte = 1256
; NumSgprs: 18
; NumVgprs: 18
; ScratchSize: 0
; MemoryBound: 0
; FloatMode: 240
; IeeeMode: 1
; LDSByteSize: 0 bytes/workgroup (compile time only)
; SGPRBlocks: 2
; VGPRBlocks: 2
; NumSGPRsForWavesPerEU: 18
; NumVGPRsForWavesPerEU: 18
; Occupancy: 16
; WaveLimiterHint : 0
; COMPUTE_PGM_RSRC2:SCRATCH_EN: 0
; COMPUTE_PGM_RSRC2:USER_SGPR: 15
; COMPUTE_PGM_RSRC2:TRAP_HANDLER: 0
; COMPUTE_PGM_RSRC2:TGID_X_EN: 1
; COMPUTE_PGM_RSRC2:TGID_Y_EN: 0
; COMPUTE_PGM_RSRC2:TGID_Z_EN: 0
; COMPUTE_PGM_RSRC2:TIDIG_COMP_CNT: 1
	.section	.text._ZN4vllm3moe10topkGatingILi4ELi4ELi4ELi8ELi64El6__halfLNS0_11ScoringFuncE0EEEvPKT5_PKbPfiPT4_PiiiibPKf,"axG",@progbits,_ZN4vllm3moe10topkGatingILi4ELi4ELi4ELi8ELi64El6__halfLNS0_11ScoringFuncE0EEEvPKT5_PKbPfiPT4_PiiiibPKf,comdat
	.protected	_ZN4vllm3moe10topkGatingILi4ELi4ELi4ELi8ELi64El6__halfLNS0_11ScoringFuncE0EEEvPKT5_PKbPfiPT4_PiiiibPKf ; -- Begin function _ZN4vllm3moe10topkGatingILi4ELi4ELi4ELi8ELi64El6__halfLNS0_11ScoringFuncE0EEEvPKT5_PKbPfiPT4_PiiiibPKf
	.globl	_ZN4vllm3moe10topkGatingILi4ELi4ELi4ELi8ELi64El6__halfLNS0_11ScoringFuncE0EEEvPKT5_PKbPfiPT4_PiiiibPKf
	.p2align	8
	.type	_ZN4vllm3moe10topkGatingILi4ELi4ELi4ELi8ELi64El6__halfLNS0_11ScoringFuncE0EEEvPKT5_PKbPfiPT4_PiiiibPKf,@function
_ZN4vllm3moe10topkGatingILi4ELi4ELi4ELi8ELi64El6__halfLNS0_11ScoringFuncE0EEEvPKT5_PKbPfiPT4_PiiiibPKf: ; @_ZN4vllm3moe10topkGatingILi4ELi4ELi4ELi8ELi64El6__halfLNS0_11ScoringFuncE0EEEvPKT5_PKbPfiPT4_PiiiibPKf
; %bb.0:
	s_load_b32 s10, s[0:1], 0x18
	v_bfe_u32 v1, v0, 10, 10
	v_and_b32_e32 v0, 0x3ff, v0
	s_lshl_b32 s2, s15, 8
	s_delay_alu instid0(VALU_DEP_2) | instskip(NEXT) | instid1(VALU_DEP_1)
	v_lshlrev_b32_e32 v1, 6, v1
	v_add3_u32 v14, v1, v0, s2
	s_mov_b32 s2, exec_lo
	s_waitcnt lgkmcnt(0)
	s_delay_alu instid0(VALU_DEP_1)
	v_cmpx_gt_i32_e64 s10, v14
	s_cbranch_execz .LBB111_15
; %bb.1:
	s_clause 0x1
	s_load_b128 s[4:7], s[0:1], 0x0
	s_load_b64 s[8:9], s[0:1], 0x10
	s_mov_b32 s12, -1
	s_mov_b32 s11, -1
	s_waitcnt lgkmcnt(0)
	s_cmp_eq_u64 s[6:7], 0
	s_cbranch_scc1 .LBB111_3
; %bb.2:
	v_ashrrev_i32_e32 v1, 31, v14
	v_add_co_u32 v0, vcc_lo, s6, v14
	s_delay_alu instid0(VALU_DEP_2) | instskip(SKIP_3) | instid1(VALU_DEP_1)
	v_add_co_ci_u32_e32 v1, vcc_lo, s7, v1, vcc_lo
	global_load_u8 v0, v[0:1], off
	s_waitcnt vmcnt(0)
	v_and_b32_e32 v0, 1, v0
	v_cmp_eq_u32_e32 vcc_lo, 1, v0
	s_xor_b32 s2, vcc_lo, -1
	s_delay_alu instid0(SALU_CYCLE_1)
	s_or_not1_b32 s11, s2, exec_lo
.LBB111_3:
	v_lshlrev_b32_e32 v0, 2, v14
	s_load_b64 s[2:3], s[0:1], 0x40
	s_delay_alu instid0(VALU_DEP_1) | instskip(NEXT) | instid1(VALU_DEP_1)
	v_ashrrev_i32_e32 v1, 31, v0
	v_lshlrev_b64 v[0:1], 1, v[0:1]
	s_delay_alu instid0(VALU_DEP_1) | instskip(NEXT) | instid1(VALU_DEP_2)
	v_add_co_u32 v0, vcc_lo, s4, v0
	v_add_co_ci_u32_e32 v1, vcc_lo, s5, v1, vcc_lo
	s_waitcnt lgkmcnt(0)
	s_cmp_eq_u64 s[2:3], 0
	global_load_b64 v[0:1], v[0:1], off
	s_waitcnt vmcnt(0)
	v_lshrrev_b32_e32 v2, 16, v0
	v_cvt_f32_f16_e32 v0, v0
	v_lshrrev_b32_e32 v3, 16, v1
	v_cvt_f32_f16_e32 v1, v1
	s_delay_alu instid0(VALU_DEP_4) | instskip(NEXT) | instid1(VALU_DEP_3)
	v_cvt_f32_f16_e32 v2, v2
	v_cvt_f32_f16_e32 v3, v3
	s_delay_alu instid0(VALU_DEP_2) | instskip(NEXT) | instid1(VALU_DEP_1)
	v_max_f32_e32 v4, v0, v2
	v_max3_f32 v4, v4, v1, v3
	s_delay_alu instid0(VALU_DEP_1) | instskip(SKIP_3) | instid1(VALU_DEP_4)
	v_sub_f32_e32 v2, v2, v4
	v_sub_f32_e32 v0, v0, v4
	v_sub_f32_e32 v1, v1, v4
	v_sub_f32_e32 v3, v3, v4
	v_mul_f32_e32 v5, 0x3fb8aa3b, v2
	s_delay_alu instid0(VALU_DEP_4) | instskip(NEXT) | instid1(VALU_DEP_3)
	v_cmp_ngt_f32_e32 vcc_lo, 0xc2ce8ed0, v0
	v_dual_mul_f32 v6, 0x3fb8aa3b, v1 :: v_dual_mul_f32 v7, 0x3fb8aa3b, v3
	s_delay_alu instid0(VALU_DEP_3) | instskip(SKIP_1) | instid1(VALU_DEP_3)
	v_fma_f32 v10, 0x3fb8aa3b, v2, -v5
	v_rndne_f32_e32 v11, v5
	v_fma_f32 v12, 0x3fb8aa3b, v1, -v6
	s_delay_alu instid0(VALU_DEP_4)
	v_fma_f32 v15, 0x3fb8aa3b, v3, -v7
	v_rndne_f32_e32 v16, v7
	v_rndne_f32_e32 v13, v6
	v_dual_sub_f32 v5, v5, v11 :: v_dual_fmac_f32 v10, 0x32a5705f, v2
	v_mul_f32_e32 v4, 0x3fb8aa3b, v0
	v_fmac_f32_e32 v12, 0x32a5705f, v1
	s_delay_alu instid0(VALU_DEP_4) | instskip(NEXT) | instid1(VALU_DEP_4)
	v_dual_sub_f32 v6, v6, v13 :: v_dual_fmac_f32 v15, 0x32a5705f, v3
	v_add_f32_e32 v5, v5, v10
	s_delay_alu instid0(VALU_DEP_4)
	v_fma_f32 v8, 0x3fb8aa3b, v0, -v4
	v_rndne_f32_e32 v9, v4
	v_sub_f32_e32 v7, v7, v16
	v_add_f32_e32 v6, v6, v12
	v_exp_f32_e32 v5, v5
	v_fmac_f32_e32 v8, 0x32a5705f, v0
	v_sub_f32_e32 v4, v4, v9
	v_cvt_i32_f32_e32 v10, v13
	v_exp_f32_e32 v6, v6
	s_delay_alu instid0(VALU_DEP_2) | instskip(SKIP_2) | instid1(VALU_DEP_3)
	v_dual_add_f32 v7, v7, v15 :: v_dual_add_f32 v4, v4, v8
	v_cvt_i32_f32_e32 v8, v9
	v_cvt_i32_f32_e32 v9, v11
	v_exp_f32_e32 v7, v7
	v_cvt_i32_f32_e32 v11, v16
	v_exp_f32_e32 v4, v4
	s_delay_alu instid0(VALU_DEP_2) | instskip(NEXT) | instid1(TRANS32_DEP_3)
	v_ldexp_f32 v5, v5, v9
	v_ldexp_f32 v6, v6, v10
	s_waitcnt_depctr 0xfff
	v_ldexp_f32 v7, v7, v11
	v_ldexp_f32 v4, v4, v8
	s_delay_alu instid0(VALU_DEP_1)
	v_cndmask_b32_e32 v4, 0, v4, vcc_lo
	v_cmp_ngt_f32_e32 vcc_lo, 0xc2ce8ed0, v2
	v_cndmask_b32_e32 v5, 0, v5, vcc_lo
	v_cmp_ngt_f32_e32 vcc_lo, 0xc2ce8ed0, v1
	v_cndmask_b32_e32 v6, 0, v6, vcc_lo
	v_cmp_nlt_f32_e32 vcc_lo, 0x42b17218, v0
	v_cndmask_b32_e32 v0, 0x7f800000, v4, vcc_lo
	v_cmp_nlt_f32_e32 vcc_lo, 0x42b17218, v2
	v_cndmask_b32_e32 v2, 0x7f800000, v5, vcc_lo
	v_cmp_ngt_f32_e32 vcc_lo, 0xc2ce8ed0, v3
	s_delay_alu instid0(VALU_DEP_2) | instskip(SKIP_3) | instid1(VALU_DEP_2)
	v_dual_add_f32 v5, v0, v2 :: v_dual_cndmask_b32 v4, 0, v7
	v_cmp_nlt_f32_e32 vcc_lo, 0x42b17218, v1
	v_cndmask_b32_e32 v1, 0x7f800000, v6, vcc_lo
	v_cmp_nlt_f32_e32 vcc_lo, 0x42b17218, v3
	v_dual_cndmask_b32 v3, 0x7f800000, v4 :: v_dual_add_f32 v4, v5, v1
	s_delay_alu instid0(VALU_DEP_1) | instskip(NEXT) | instid1(VALU_DEP_1)
	v_add_f32_e32 v4, v4, v3
	v_div_scale_f32 v5, null, v4, v4, 1.0
	v_div_scale_f32 v8, vcc_lo, 1.0, v4, 1.0
	s_delay_alu instid0(VALU_DEP_2) | instskip(SKIP_2) | instid1(VALU_DEP_1)
	v_rcp_f32_e32 v6, v5
	s_waitcnt_depctr 0xfff
	v_fma_f32 v7, -v5, v6, 1.0
	v_fmac_f32_e32 v6, v7, v6
	s_delay_alu instid0(VALU_DEP_1) | instskip(NEXT) | instid1(VALU_DEP_1)
	v_mul_f32_e32 v7, v8, v6
	v_fma_f32 v9, -v5, v7, v8
	s_delay_alu instid0(VALU_DEP_1) | instskip(NEXT) | instid1(VALU_DEP_1)
	v_fmac_f32_e32 v7, v9, v6
	v_fma_f32 v5, -v5, v7, v8
	s_delay_alu instid0(VALU_DEP_1) | instskip(NEXT) | instid1(VALU_DEP_1)
	v_div_fmas_f32 v5, v5, v6, v7
	v_div_fixup_f32 v4, v5, v4, 1.0
	s_delay_alu instid0(VALU_DEP_1) | instskip(SKIP_3) | instid1(VALU_DEP_4)
	v_mul_f32_e32 v0, v4, v0
	v_mul_f32_e32 v2, v4, v2
	v_mul_f32_e32 v5, v4, v1
	v_mul_f32_e32 v3, v4, v3
	v_cmp_class_f32_e64 vcc_lo, v0, 0x1f8
	v_cndmask_b32_e32 v0, 0, v0, vcc_lo
	v_cmp_class_f32_e64 vcc_lo, v2, 0x1f8
	v_cndmask_b32_e32 v1, 0, v2, vcc_lo
	;; [unrolled: 2-line block ×4, first 2 shown]
	s_cbranch_scc1 .LBB111_10
; %bb.4:
	s_load_b128 s[4:7], s[2:3], 0x0
	s_waitcnt lgkmcnt(0)
	v_dual_add_f32 v4, s4, v0 :: v_dual_add_f32 v5, s5, v1
	v_dual_add_f32 v6, s6, v2 :: v_dual_add_f32 v7, s7, v3
	s_cbranch_execnz .LBB111_6
.LBB111_5:
	v_dual_mov_b32 v7, v3 :: v_dual_mov_b32 v6, v2
	v_dual_mov_b32 v5, v1 :: v_dual_mov_b32 v4, v0
.LBB111_6:
	s_load_b128 s[4:7], s[0:1], 0x30
	s_waitcnt lgkmcnt(0)
	s_bitcmp1_b32 s7, 0
	s_mov_b32 s7, 0
	s_cselect_b32 vcc_lo, -1, 0
	s_cmp_gt_i32 s4, 0
	s_cselect_b32 s3, -1, 0
	s_cmp_lt_i32 s4, 1
	s_cbranch_scc1 .LBB111_11
; %bb.7:
	v_mul_lo_u32 v8, v14, s4
	s_load_b128 s[12:15], s[0:1], 0x20
	v_dual_mov_b32 v15, 0 :: v_dual_mov_b32 v16, v14
	s_delay_alu instid0(VALU_DEP_2) | instskip(NEXT) | instid1(VALU_DEP_1)
	v_ashrrev_i32_e32 v9, 31, v8
	v_lshlrev_b64 v[12:13], 2, v[8:9]
	v_lshlrev_b64 v[10:11], 3, v[8:9]
	s_delay_alu instid0(VALU_DEP_2) | instskip(NEXT) | instid1(VALU_DEP_1)
	v_add_co_u32 v8, s0, s8, v12
	v_add_co_ci_u32_e64 v9, s0, s9, v13, s0
	s_waitcnt lgkmcnt(0)
	s_delay_alu instid0(VALU_DEP_3) | instskip(NEXT) | instid1(VALU_DEP_1)
	v_add_co_u32 v10, s0, s12, v10
	v_add_co_ci_u32_e64 v11, s0, s13, v11, s0
	v_add_co_u32 v12, s0, s14, v12
	s_delay_alu instid0(VALU_DEP_1)
	v_add_co_ci_u32_e64 v13, s0, s15, v13, s0
.LBB111_8:                              ; =>This Inner Loop Header: Depth=1
	v_cmp_gt_f32_e64 s0, v5, v4
	global_store_b32 v[12:13], v16, off
	v_add_co_u32 v12, s1, v12, 4
	s_delay_alu instid0(VALU_DEP_1) | instskip(SKIP_4) | instid1(VALU_DEP_3)
	v_add_co_ci_u32_e64 v13, s1, 0, v13, s1
	v_cndmask_b32_e64 v17, v4, v5, s0
	v_cndmask_b32_e64 v18, v0, v1, s0
	v_cndmask_b32_e64 v19, 0, 1, s0
	s_add_i32 s7, s7, 1
	v_cmp_gt_f32_e64 s1, v6, v17
	s_delay_alu instid0(VALU_DEP_1) | instskip(SKIP_2) | instid1(VALU_DEP_3)
	v_cndmask_b32_e64 v17, v17, v6, s1
	v_cndmask_b32_e64 v18, v18, v2, s1
	;; [unrolled: 1-line block ×3, first 2 shown]
	v_cmp_gt_f32_e64 s0, v7, v17
	s_delay_alu instid0(VALU_DEP_1) | instskip(NEXT) | instid1(VALU_DEP_3)
	v_cndmask_b32_e64 v17, v18, v3, s0
	v_cndmask_b32_e64 v18, v19, 3, s0
	v_add_nc_u32_e32 v16, s10, v16
	global_store_b32 v[8:9], v17, off
	v_add_f32_e32 v17, v15, v17
	v_cmp_ne_u32_e64 s2, 0, v18
	v_subrev_nc_u32_e32 v19, s5, v18
	v_cmp_le_i32_e64 s0, s5, v18
	v_cmp_gt_i32_e64 s1, s6, v18
	v_cndmask_b32_e32 v15, v15, v17, vcc_lo
	v_cndmask_b32_e64 v20, 0xc61c4000, v4, s2
	v_cmp_ne_u32_e64 s2, 1, v18
	s_delay_alu instid0(VALU_DEP_4) | instskip(NEXT) | instid1(SALU_CYCLE_1)
	s_and_b32 s0, s0, s1
	s_and_b32 s0, s11, s0
	s_delay_alu instid0(VALU_DEP_1) | instskip(SKIP_3) | instid1(VALU_DEP_2)
	v_cndmask_b32_e64 v21, 0xc61c4000, v5, s2
	v_cmp_ne_u32_e64 s2, 2, v18
	v_cndmask_b32_e64 v17, 4, v19, s0
	s_cmp_lt_i32 s7, s4
	v_cndmask_b32_e64 v22, 0xc61c4000, v6, s2
	v_cmp_ne_u32_e64 s2, 3, v18
	v_ashrrev_i32_e32 v18, 31, v19
	s_delay_alu instid0(VALU_DEP_2) | instskip(NEXT) | instid1(VALU_DEP_2)
	v_cndmask_b32_e64 v23, 0xc61c4000, v7, s2
	v_cndmask_b32_e64 v18, 0, v18, s0
	s_cselect_b32 s0, -1, 0
	v_add_co_u32 v8, s2, v8, 4
	s_delay_alu instid0(VALU_DEP_3)
	v_cndmask_b32_e64 v7, v7, v23, s0
	v_cndmask_b32_e64 v6, v6, v22, s0
	;; [unrolled: 1-line block ×4, first 2 shown]
	global_store_b64 v[10:11], v[17:18], off
	v_add_co_u32 v10, s0, v10, 8
	v_add_co_ci_u32_e64 v9, s2, 0, v9, s2
	v_add_co_ci_u32_e64 v11, s0, 0, v11, s0
	s_cmp_eq_u32 s4, s7
	s_cbranch_scc0 .LBB111_8
; %bb.9:
	s_and_b32 vcc_lo, exec_lo, vcc_lo
	s_cbranch_vccnz .LBB111_12
	s_branch .LBB111_15
.LBB111_10:
                                        ; implicit-def: $vgpr4_vgpr5_vgpr6_vgpr7
	s_and_not1_b32 vcc_lo, exec_lo, s12
	s_cbranch_vccz .LBB111_5
	s_branch .LBB111_6
.LBB111_11:
	v_mov_b32_e32 v15, 0
	s_and_b32 vcc_lo, exec_lo, vcc_lo
	s_cbranch_vccz .LBB111_15
.LBB111_12:
	s_and_not1_b32 vcc_lo, exec_lo, s3
	s_cbranch_vccnz .LBB111_15
; %bb.13:
	v_mul_lo_u32 v0, v14, s4
	v_cmp_lt_f32_e32 vcc_lo, 0, v15
	v_cndmask_b32_e32 v2, 1.0, v15, vcc_lo
	s_delay_alu instid0(VALU_DEP_3) | instskip(NEXT) | instid1(VALU_DEP_1)
	v_ashrrev_i32_e32 v1, 31, v0
	v_lshlrev_b64 v[0:1], 2, v[0:1]
	s_delay_alu instid0(VALU_DEP_1) | instskip(NEXT) | instid1(VALU_DEP_2)
	v_add_co_u32 v0, vcc_lo, s8, v0
	v_add_co_ci_u32_e32 v1, vcc_lo, s9, v1, vcc_lo
	.p2align	6
.LBB111_14:                             ; =>This Inner Loop Header: Depth=1
	global_load_b32 v3, v[0:1], off
	s_add_i32 s4, s4, -1
	s_delay_alu instid0(SALU_CYCLE_1) | instskip(SKIP_3) | instid1(VALU_DEP_2)
	s_cmp_lg_u32 s4, 0
	s_waitcnt vmcnt(0)
	v_div_scale_f32 v4, null, v2, v2, v3
	v_div_scale_f32 v7, vcc_lo, v3, v2, v3
	v_rcp_f32_e32 v5, v4
	s_waitcnt_depctr 0xfff
	v_fma_f32 v6, -v4, v5, 1.0
	s_delay_alu instid0(VALU_DEP_1) | instskip(NEXT) | instid1(VALU_DEP_1)
	v_fmac_f32_e32 v5, v6, v5
	v_mul_f32_e32 v6, v7, v5
	s_delay_alu instid0(VALU_DEP_1) | instskip(NEXT) | instid1(VALU_DEP_1)
	v_fma_f32 v8, -v4, v6, v7
	v_fmac_f32_e32 v6, v8, v5
	s_delay_alu instid0(VALU_DEP_1) | instskip(NEXT) | instid1(VALU_DEP_1)
	v_fma_f32 v4, -v4, v6, v7
	v_div_fmas_f32 v4, v4, v5, v6
	s_delay_alu instid0(VALU_DEP_1)
	v_div_fixup_f32 v3, v4, v2, v3
	global_store_b32 v[0:1], v3, off
	v_add_co_u32 v0, vcc_lo, v0, 4
	v_add_co_ci_u32_e32 v1, vcc_lo, 0, v1, vcc_lo
	s_cbranch_scc1 .LBB111_14
.LBB111_15:
	s_nop 0
	s_sendmsg sendmsg(MSG_DEALLOC_VGPRS)
	s_endpgm
	.section	.rodata,"a",@progbits
	.p2align	6, 0x0
	.amdhsa_kernel _ZN4vllm3moe10topkGatingILi4ELi4ELi4ELi8ELi64El6__halfLNS0_11ScoringFuncE0EEEvPKT5_PKbPfiPT4_PiiiibPKf
		.amdhsa_group_segment_fixed_size 0
		.amdhsa_private_segment_fixed_size 0
		.amdhsa_kernarg_size 72
		.amdhsa_user_sgpr_count 15
		.amdhsa_user_sgpr_dispatch_ptr 0
		.amdhsa_user_sgpr_queue_ptr 0
		.amdhsa_user_sgpr_kernarg_segment_ptr 1
		.amdhsa_user_sgpr_dispatch_id 0
		.amdhsa_user_sgpr_private_segment_size 0
		.amdhsa_wavefront_size32 1
		.amdhsa_uses_dynamic_stack 0
		.amdhsa_enable_private_segment 0
		.amdhsa_system_sgpr_workgroup_id_x 1
		.amdhsa_system_sgpr_workgroup_id_y 0
		.amdhsa_system_sgpr_workgroup_id_z 0
		.amdhsa_system_sgpr_workgroup_info 0
		.amdhsa_system_vgpr_workitem_id 1
		.amdhsa_next_free_vgpr 24
		.amdhsa_next_free_sgpr 16
		.amdhsa_reserve_vcc 1
		.amdhsa_float_round_mode_32 0
		.amdhsa_float_round_mode_16_64 0
		.amdhsa_float_denorm_mode_32 3
		.amdhsa_float_denorm_mode_16_64 3
		.amdhsa_dx10_clamp 1
		.amdhsa_ieee_mode 1
		.amdhsa_fp16_overflow 0
		.amdhsa_workgroup_processor_mode 1
		.amdhsa_memory_ordered 1
		.amdhsa_forward_progress 0
		.amdhsa_shared_vgpr_count 0
		.amdhsa_exception_fp_ieee_invalid_op 0
		.amdhsa_exception_fp_denorm_src 0
		.amdhsa_exception_fp_ieee_div_zero 0
		.amdhsa_exception_fp_ieee_overflow 0
		.amdhsa_exception_fp_ieee_underflow 0
		.amdhsa_exception_fp_ieee_inexact 0
		.amdhsa_exception_int_div_zero 0
	.end_amdhsa_kernel
	.section	.text._ZN4vllm3moe10topkGatingILi4ELi4ELi4ELi8ELi64El6__halfLNS0_11ScoringFuncE0EEEvPKT5_PKbPfiPT4_PiiiibPKf,"axG",@progbits,_ZN4vllm3moe10topkGatingILi4ELi4ELi4ELi8ELi64El6__halfLNS0_11ScoringFuncE0EEEvPKT5_PKbPfiPT4_PiiiibPKf,comdat
.Lfunc_end111:
	.size	_ZN4vllm3moe10topkGatingILi4ELi4ELi4ELi8ELi64El6__halfLNS0_11ScoringFuncE0EEEvPKT5_PKbPfiPT4_PiiiibPKf, .Lfunc_end111-_ZN4vllm3moe10topkGatingILi4ELi4ELi4ELi8ELi64El6__halfLNS0_11ScoringFuncE0EEEvPKT5_PKbPfiPT4_PiiiibPKf
                                        ; -- End function
	.section	.AMDGPU.csdata,"",@progbits
; Kernel info:
; codeLenInByte = 1680
; NumSgprs: 18
; NumVgprs: 24
; ScratchSize: 0
; MemoryBound: 0
; FloatMode: 240
; IeeeMode: 1
; LDSByteSize: 0 bytes/workgroup (compile time only)
; SGPRBlocks: 2
; VGPRBlocks: 2
; NumSGPRsForWavesPerEU: 18
; NumVGPRsForWavesPerEU: 24
; Occupancy: 16
; WaveLimiterHint : 0
; COMPUTE_PGM_RSRC2:SCRATCH_EN: 0
; COMPUTE_PGM_RSRC2:USER_SGPR: 15
; COMPUTE_PGM_RSRC2:TRAP_HANDLER: 0
; COMPUTE_PGM_RSRC2:TGID_X_EN: 1
; COMPUTE_PGM_RSRC2:TGID_Y_EN: 0
; COMPUTE_PGM_RSRC2:TGID_Z_EN: 0
; COMPUTE_PGM_RSRC2:TIDIG_COMP_CNT: 1
	.section	.text._ZN4vllm3moe10topkGatingILi4ELi4ELi4ELi8ELi32El6__halfLNS0_11ScoringFuncE0EEEvPKT5_PKbPfiPT4_PiiiibPKf,"axG",@progbits,_ZN4vllm3moe10topkGatingILi4ELi4ELi4ELi8ELi32El6__halfLNS0_11ScoringFuncE0EEEvPKT5_PKbPfiPT4_PiiiibPKf,comdat
	.protected	_ZN4vllm3moe10topkGatingILi4ELi4ELi4ELi8ELi32El6__halfLNS0_11ScoringFuncE0EEEvPKT5_PKbPfiPT4_PiiiibPKf ; -- Begin function _ZN4vllm3moe10topkGatingILi4ELi4ELi4ELi8ELi32El6__halfLNS0_11ScoringFuncE0EEEvPKT5_PKbPfiPT4_PiiiibPKf
	.globl	_ZN4vllm3moe10topkGatingILi4ELi4ELi4ELi8ELi32El6__halfLNS0_11ScoringFuncE0EEEvPKT5_PKbPfiPT4_PiiiibPKf
	.p2align	8
	.type	_ZN4vllm3moe10topkGatingILi4ELi4ELi4ELi8ELi32El6__halfLNS0_11ScoringFuncE0EEEvPKT5_PKbPfiPT4_PiiiibPKf,@function
_ZN4vllm3moe10topkGatingILi4ELi4ELi4ELi8ELi32El6__halfLNS0_11ScoringFuncE0EEEvPKT5_PKbPfiPT4_PiiiibPKf: ; @_ZN4vllm3moe10topkGatingILi4ELi4ELi4ELi8ELi32El6__halfLNS0_11ScoringFuncE0EEEvPKT5_PKbPfiPT4_PiiiibPKf
; %bb.0:
	s_load_b32 s10, s[0:1], 0x18
	v_bfe_u32 v1, v0, 10, 10
	v_and_b32_e32 v0, 0x3ff, v0
	s_lshl_b32 s2, s15, 7
	s_delay_alu instid0(VALU_DEP_2) | instskip(NEXT) | instid1(VALU_DEP_1)
	v_lshlrev_b32_e32 v1, 5, v1
	v_add3_u32 v14, v1, v0, s2
	s_mov_b32 s2, exec_lo
	s_waitcnt lgkmcnt(0)
	s_delay_alu instid0(VALU_DEP_1)
	v_cmpx_gt_i32_e64 s10, v14
	s_cbranch_execz .LBB112_15
; %bb.1:
	s_clause 0x1
	s_load_b128 s[4:7], s[0:1], 0x0
	s_load_b64 s[8:9], s[0:1], 0x10
	s_mov_b32 s12, -1
	s_mov_b32 s11, -1
	s_waitcnt lgkmcnt(0)
	s_cmp_eq_u64 s[6:7], 0
	s_cbranch_scc1 .LBB112_3
; %bb.2:
	v_ashrrev_i32_e32 v1, 31, v14
	v_add_co_u32 v0, vcc_lo, s6, v14
	s_delay_alu instid0(VALU_DEP_2) | instskip(SKIP_3) | instid1(VALU_DEP_1)
	v_add_co_ci_u32_e32 v1, vcc_lo, s7, v1, vcc_lo
	global_load_u8 v0, v[0:1], off
	s_waitcnt vmcnt(0)
	v_and_b32_e32 v0, 1, v0
	v_cmp_eq_u32_e32 vcc_lo, 1, v0
	s_xor_b32 s2, vcc_lo, -1
	s_delay_alu instid0(SALU_CYCLE_1)
	s_or_not1_b32 s11, s2, exec_lo
.LBB112_3:
	v_lshlrev_b32_e32 v0, 2, v14
	s_load_b64 s[2:3], s[0:1], 0x40
	s_delay_alu instid0(VALU_DEP_1) | instskip(NEXT) | instid1(VALU_DEP_1)
	v_ashrrev_i32_e32 v1, 31, v0
	v_lshlrev_b64 v[0:1], 1, v[0:1]
	s_delay_alu instid0(VALU_DEP_1) | instskip(NEXT) | instid1(VALU_DEP_2)
	v_add_co_u32 v0, vcc_lo, s4, v0
	v_add_co_ci_u32_e32 v1, vcc_lo, s5, v1, vcc_lo
	s_waitcnt lgkmcnt(0)
	s_cmp_eq_u64 s[2:3], 0
	global_load_b64 v[0:1], v[0:1], off
	s_waitcnt vmcnt(0)
	v_lshrrev_b32_e32 v2, 16, v0
	v_cvt_f32_f16_e32 v0, v0
	v_lshrrev_b32_e32 v3, 16, v1
	v_cvt_f32_f16_e32 v1, v1
	s_delay_alu instid0(VALU_DEP_4) | instskip(NEXT) | instid1(VALU_DEP_3)
	v_cvt_f32_f16_e32 v2, v2
	v_cvt_f32_f16_e32 v3, v3
	s_delay_alu instid0(VALU_DEP_2) | instskip(NEXT) | instid1(VALU_DEP_1)
	v_max_f32_e32 v4, v0, v2
	v_max3_f32 v4, v4, v1, v3
	s_delay_alu instid0(VALU_DEP_1) | instskip(SKIP_3) | instid1(VALU_DEP_4)
	v_sub_f32_e32 v2, v2, v4
	v_sub_f32_e32 v0, v0, v4
	;; [unrolled: 1-line block ×4, first 2 shown]
	v_mul_f32_e32 v5, 0x3fb8aa3b, v2
	s_delay_alu instid0(VALU_DEP_4) | instskip(NEXT) | instid1(VALU_DEP_3)
	v_cmp_ngt_f32_e32 vcc_lo, 0xc2ce8ed0, v0
	v_dual_mul_f32 v6, 0x3fb8aa3b, v1 :: v_dual_mul_f32 v7, 0x3fb8aa3b, v3
	s_delay_alu instid0(VALU_DEP_3) | instskip(SKIP_1) | instid1(VALU_DEP_3)
	v_fma_f32 v10, 0x3fb8aa3b, v2, -v5
	v_rndne_f32_e32 v11, v5
	v_fma_f32 v12, 0x3fb8aa3b, v1, -v6
	s_delay_alu instid0(VALU_DEP_4)
	v_fma_f32 v15, 0x3fb8aa3b, v3, -v7
	v_rndne_f32_e32 v16, v7
	v_rndne_f32_e32 v13, v6
	v_dual_sub_f32 v5, v5, v11 :: v_dual_fmac_f32 v10, 0x32a5705f, v2
	v_mul_f32_e32 v4, 0x3fb8aa3b, v0
	v_fmac_f32_e32 v12, 0x32a5705f, v1
	s_delay_alu instid0(VALU_DEP_4) | instskip(NEXT) | instid1(VALU_DEP_4)
	v_dual_sub_f32 v6, v6, v13 :: v_dual_fmac_f32 v15, 0x32a5705f, v3
	v_add_f32_e32 v5, v5, v10
	s_delay_alu instid0(VALU_DEP_4)
	v_fma_f32 v8, 0x3fb8aa3b, v0, -v4
	v_rndne_f32_e32 v9, v4
	v_sub_f32_e32 v7, v7, v16
	v_add_f32_e32 v6, v6, v12
	v_exp_f32_e32 v5, v5
	v_fmac_f32_e32 v8, 0x32a5705f, v0
	v_sub_f32_e32 v4, v4, v9
	v_cvt_i32_f32_e32 v10, v13
	v_exp_f32_e32 v6, v6
	s_delay_alu instid0(VALU_DEP_2) | instskip(SKIP_2) | instid1(VALU_DEP_3)
	v_dual_add_f32 v7, v7, v15 :: v_dual_add_f32 v4, v4, v8
	v_cvt_i32_f32_e32 v8, v9
	v_cvt_i32_f32_e32 v9, v11
	v_exp_f32_e32 v7, v7
	v_cvt_i32_f32_e32 v11, v16
	v_exp_f32_e32 v4, v4
	s_delay_alu instid0(VALU_DEP_2) | instskip(NEXT) | instid1(TRANS32_DEP_3)
	v_ldexp_f32 v5, v5, v9
	v_ldexp_f32 v6, v6, v10
	s_waitcnt_depctr 0xfff
	v_ldexp_f32 v7, v7, v11
	v_ldexp_f32 v4, v4, v8
	s_delay_alu instid0(VALU_DEP_1)
	v_cndmask_b32_e32 v4, 0, v4, vcc_lo
	v_cmp_ngt_f32_e32 vcc_lo, 0xc2ce8ed0, v2
	v_cndmask_b32_e32 v5, 0, v5, vcc_lo
	v_cmp_ngt_f32_e32 vcc_lo, 0xc2ce8ed0, v1
	v_cndmask_b32_e32 v6, 0, v6, vcc_lo
	v_cmp_nlt_f32_e32 vcc_lo, 0x42b17218, v0
	v_cndmask_b32_e32 v0, 0x7f800000, v4, vcc_lo
	v_cmp_nlt_f32_e32 vcc_lo, 0x42b17218, v2
	v_cndmask_b32_e32 v2, 0x7f800000, v5, vcc_lo
	v_cmp_ngt_f32_e32 vcc_lo, 0xc2ce8ed0, v3
	s_delay_alu instid0(VALU_DEP_2) | instskip(SKIP_3) | instid1(VALU_DEP_2)
	v_dual_add_f32 v5, v0, v2 :: v_dual_cndmask_b32 v4, 0, v7
	v_cmp_nlt_f32_e32 vcc_lo, 0x42b17218, v1
	v_cndmask_b32_e32 v1, 0x7f800000, v6, vcc_lo
	v_cmp_nlt_f32_e32 vcc_lo, 0x42b17218, v3
	v_dual_cndmask_b32 v3, 0x7f800000, v4 :: v_dual_add_f32 v4, v5, v1
	s_delay_alu instid0(VALU_DEP_1) | instskip(NEXT) | instid1(VALU_DEP_1)
	v_add_f32_e32 v4, v4, v3
	v_div_scale_f32 v5, null, v4, v4, 1.0
	v_div_scale_f32 v8, vcc_lo, 1.0, v4, 1.0
	s_delay_alu instid0(VALU_DEP_2) | instskip(SKIP_2) | instid1(VALU_DEP_1)
	v_rcp_f32_e32 v6, v5
	s_waitcnt_depctr 0xfff
	v_fma_f32 v7, -v5, v6, 1.0
	v_fmac_f32_e32 v6, v7, v6
	s_delay_alu instid0(VALU_DEP_1) | instskip(NEXT) | instid1(VALU_DEP_1)
	v_mul_f32_e32 v7, v8, v6
	v_fma_f32 v9, -v5, v7, v8
	s_delay_alu instid0(VALU_DEP_1) | instskip(NEXT) | instid1(VALU_DEP_1)
	v_fmac_f32_e32 v7, v9, v6
	v_fma_f32 v5, -v5, v7, v8
	s_delay_alu instid0(VALU_DEP_1) | instskip(NEXT) | instid1(VALU_DEP_1)
	v_div_fmas_f32 v5, v5, v6, v7
	v_div_fixup_f32 v4, v5, v4, 1.0
	s_delay_alu instid0(VALU_DEP_1) | instskip(SKIP_3) | instid1(VALU_DEP_4)
	v_mul_f32_e32 v0, v4, v0
	v_mul_f32_e32 v2, v4, v2
	;; [unrolled: 1-line block ×4, first 2 shown]
	v_cmp_class_f32_e64 vcc_lo, v0, 0x1f8
	v_cndmask_b32_e32 v0, 0, v0, vcc_lo
	v_cmp_class_f32_e64 vcc_lo, v2, 0x1f8
	v_cndmask_b32_e32 v1, 0, v2, vcc_lo
	;; [unrolled: 2-line block ×4, first 2 shown]
	s_cbranch_scc1 .LBB112_10
; %bb.4:
	s_load_b128 s[4:7], s[2:3], 0x0
	s_waitcnt lgkmcnt(0)
	v_dual_add_f32 v4, s4, v0 :: v_dual_add_f32 v5, s5, v1
	v_dual_add_f32 v6, s6, v2 :: v_dual_add_f32 v7, s7, v3
	s_cbranch_execnz .LBB112_6
.LBB112_5:
	v_dual_mov_b32 v7, v3 :: v_dual_mov_b32 v6, v2
	v_dual_mov_b32 v5, v1 :: v_dual_mov_b32 v4, v0
.LBB112_6:
	s_load_b128 s[4:7], s[0:1], 0x30
	s_waitcnt lgkmcnt(0)
	s_bitcmp1_b32 s7, 0
	s_mov_b32 s7, 0
	s_cselect_b32 vcc_lo, -1, 0
	s_cmp_gt_i32 s4, 0
	s_cselect_b32 s3, -1, 0
	s_cmp_lt_i32 s4, 1
	s_cbranch_scc1 .LBB112_11
; %bb.7:
	v_mul_lo_u32 v8, v14, s4
	s_load_b128 s[12:15], s[0:1], 0x20
	v_dual_mov_b32 v15, 0 :: v_dual_mov_b32 v16, v14
	s_delay_alu instid0(VALU_DEP_2) | instskip(NEXT) | instid1(VALU_DEP_1)
	v_ashrrev_i32_e32 v9, 31, v8
	v_lshlrev_b64 v[12:13], 2, v[8:9]
	v_lshlrev_b64 v[10:11], 3, v[8:9]
	s_delay_alu instid0(VALU_DEP_2) | instskip(NEXT) | instid1(VALU_DEP_1)
	v_add_co_u32 v8, s0, s8, v12
	v_add_co_ci_u32_e64 v9, s0, s9, v13, s0
	s_waitcnt lgkmcnt(0)
	s_delay_alu instid0(VALU_DEP_3) | instskip(NEXT) | instid1(VALU_DEP_1)
	v_add_co_u32 v10, s0, s12, v10
	v_add_co_ci_u32_e64 v11, s0, s13, v11, s0
	v_add_co_u32 v12, s0, s14, v12
	s_delay_alu instid0(VALU_DEP_1)
	v_add_co_ci_u32_e64 v13, s0, s15, v13, s0
.LBB112_8:                              ; =>This Inner Loop Header: Depth=1
	v_cmp_gt_f32_e64 s0, v5, v4
	global_store_b32 v[12:13], v16, off
	v_add_co_u32 v12, s1, v12, 4
	s_delay_alu instid0(VALU_DEP_1) | instskip(SKIP_4) | instid1(VALU_DEP_3)
	v_add_co_ci_u32_e64 v13, s1, 0, v13, s1
	v_cndmask_b32_e64 v17, v4, v5, s0
	v_cndmask_b32_e64 v18, v0, v1, s0
	v_cndmask_b32_e64 v19, 0, 1, s0
	s_add_i32 s7, s7, 1
	v_cmp_gt_f32_e64 s1, v6, v17
	s_delay_alu instid0(VALU_DEP_1) | instskip(SKIP_2) | instid1(VALU_DEP_3)
	v_cndmask_b32_e64 v17, v17, v6, s1
	v_cndmask_b32_e64 v18, v18, v2, s1
	;; [unrolled: 1-line block ×3, first 2 shown]
	v_cmp_gt_f32_e64 s0, v7, v17
	s_delay_alu instid0(VALU_DEP_1) | instskip(NEXT) | instid1(VALU_DEP_3)
	v_cndmask_b32_e64 v17, v18, v3, s0
	v_cndmask_b32_e64 v18, v19, 3, s0
	v_add_nc_u32_e32 v16, s10, v16
	global_store_b32 v[8:9], v17, off
	v_add_f32_e32 v17, v15, v17
	v_cmp_ne_u32_e64 s2, 0, v18
	v_subrev_nc_u32_e32 v19, s5, v18
	v_cmp_le_i32_e64 s0, s5, v18
	v_cmp_gt_i32_e64 s1, s6, v18
	v_cndmask_b32_e32 v15, v15, v17, vcc_lo
	v_cndmask_b32_e64 v20, 0xc61c4000, v4, s2
	v_cmp_ne_u32_e64 s2, 1, v18
	s_delay_alu instid0(VALU_DEP_4) | instskip(NEXT) | instid1(SALU_CYCLE_1)
	s_and_b32 s0, s0, s1
	s_and_b32 s0, s11, s0
	s_delay_alu instid0(VALU_DEP_1) | instskip(SKIP_3) | instid1(VALU_DEP_2)
	v_cndmask_b32_e64 v21, 0xc61c4000, v5, s2
	v_cmp_ne_u32_e64 s2, 2, v18
	v_cndmask_b32_e64 v17, 4, v19, s0
	s_cmp_lt_i32 s7, s4
	v_cndmask_b32_e64 v22, 0xc61c4000, v6, s2
	v_cmp_ne_u32_e64 s2, 3, v18
	v_ashrrev_i32_e32 v18, 31, v19
	s_delay_alu instid0(VALU_DEP_2) | instskip(NEXT) | instid1(VALU_DEP_2)
	v_cndmask_b32_e64 v23, 0xc61c4000, v7, s2
	v_cndmask_b32_e64 v18, 0, v18, s0
	s_cselect_b32 s0, -1, 0
	v_add_co_u32 v8, s2, v8, 4
	s_delay_alu instid0(VALU_DEP_3)
	v_cndmask_b32_e64 v7, v7, v23, s0
	v_cndmask_b32_e64 v6, v6, v22, s0
	;; [unrolled: 1-line block ×4, first 2 shown]
	global_store_b64 v[10:11], v[17:18], off
	v_add_co_u32 v10, s0, v10, 8
	v_add_co_ci_u32_e64 v9, s2, 0, v9, s2
	v_add_co_ci_u32_e64 v11, s0, 0, v11, s0
	s_cmp_eq_u32 s4, s7
	s_cbranch_scc0 .LBB112_8
; %bb.9:
	s_and_b32 vcc_lo, exec_lo, vcc_lo
	s_cbranch_vccnz .LBB112_12
	s_branch .LBB112_15
.LBB112_10:
                                        ; implicit-def: $vgpr4_vgpr5_vgpr6_vgpr7
	s_and_not1_b32 vcc_lo, exec_lo, s12
	s_cbranch_vccz .LBB112_5
	s_branch .LBB112_6
.LBB112_11:
	v_mov_b32_e32 v15, 0
	s_and_b32 vcc_lo, exec_lo, vcc_lo
	s_cbranch_vccz .LBB112_15
.LBB112_12:
	s_and_not1_b32 vcc_lo, exec_lo, s3
	s_cbranch_vccnz .LBB112_15
; %bb.13:
	v_mul_lo_u32 v0, v14, s4
	v_cmp_lt_f32_e32 vcc_lo, 0, v15
	v_cndmask_b32_e32 v2, 1.0, v15, vcc_lo
	s_delay_alu instid0(VALU_DEP_3) | instskip(NEXT) | instid1(VALU_DEP_1)
	v_ashrrev_i32_e32 v1, 31, v0
	v_lshlrev_b64 v[0:1], 2, v[0:1]
	s_delay_alu instid0(VALU_DEP_1) | instskip(NEXT) | instid1(VALU_DEP_2)
	v_add_co_u32 v0, vcc_lo, s8, v0
	v_add_co_ci_u32_e32 v1, vcc_lo, s9, v1, vcc_lo
	.p2align	6
.LBB112_14:                             ; =>This Inner Loop Header: Depth=1
	global_load_b32 v3, v[0:1], off
	s_add_i32 s4, s4, -1
	s_delay_alu instid0(SALU_CYCLE_1) | instskip(SKIP_3) | instid1(VALU_DEP_2)
	s_cmp_lg_u32 s4, 0
	s_waitcnt vmcnt(0)
	v_div_scale_f32 v4, null, v2, v2, v3
	v_div_scale_f32 v7, vcc_lo, v3, v2, v3
	v_rcp_f32_e32 v5, v4
	s_waitcnt_depctr 0xfff
	v_fma_f32 v6, -v4, v5, 1.0
	s_delay_alu instid0(VALU_DEP_1) | instskip(NEXT) | instid1(VALU_DEP_1)
	v_fmac_f32_e32 v5, v6, v5
	v_mul_f32_e32 v6, v7, v5
	s_delay_alu instid0(VALU_DEP_1) | instskip(NEXT) | instid1(VALU_DEP_1)
	v_fma_f32 v8, -v4, v6, v7
	v_fmac_f32_e32 v6, v8, v5
	s_delay_alu instid0(VALU_DEP_1) | instskip(NEXT) | instid1(VALU_DEP_1)
	v_fma_f32 v4, -v4, v6, v7
	v_div_fmas_f32 v4, v4, v5, v6
	s_delay_alu instid0(VALU_DEP_1)
	v_div_fixup_f32 v3, v4, v2, v3
	global_store_b32 v[0:1], v3, off
	v_add_co_u32 v0, vcc_lo, v0, 4
	v_add_co_ci_u32_e32 v1, vcc_lo, 0, v1, vcc_lo
	s_cbranch_scc1 .LBB112_14
.LBB112_15:
	s_nop 0
	s_sendmsg sendmsg(MSG_DEALLOC_VGPRS)
	s_endpgm
	.section	.rodata,"a",@progbits
	.p2align	6, 0x0
	.amdhsa_kernel _ZN4vllm3moe10topkGatingILi4ELi4ELi4ELi8ELi32El6__halfLNS0_11ScoringFuncE0EEEvPKT5_PKbPfiPT4_PiiiibPKf
		.amdhsa_group_segment_fixed_size 0
		.amdhsa_private_segment_fixed_size 0
		.amdhsa_kernarg_size 72
		.amdhsa_user_sgpr_count 15
		.amdhsa_user_sgpr_dispatch_ptr 0
		.amdhsa_user_sgpr_queue_ptr 0
		.amdhsa_user_sgpr_kernarg_segment_ptr 1
		.amdhsa_user_sgpr_dispatch_id 0
		.amdhsa_user_sgpr_private_segment_size 0
		.amdhsa_wavefront_size32 1
		.amdhsa_uses_dynamic_stack 0
		.amdhsa_enable_private_segment 0
		.amdhsa_system_sgpr_workgroup_id_x 1
		.amdhsa_system_sgpr_workgroup_id_y 0
		.amdhsa_system_sgpr_workgroup_id_z 0
		.amdhsa_system_sgpr_workgroup_info 0
		.amdhsa_system_vgpr_workitem_id 1
		.amdhsa_next_free_vgpr 24
		.amdhsa_next_free_sgpr 16
		.amdhsa_reserve_vcc 1
		.amdhsa_float_round_mode_32 0
		.amdhsa_float_round_mode_16_64 0
		.amdhsa_float_denorm_mode_32 3
		.amdhsa_float_denorm_mode_16_64 3
		.amdhsa_dx10_clamp 1
		.amdhsa_ieee_mode 1
		.amdhsa_fp16_overflow 0
		.amdhsa_workgroup_processor_mode 1
		.amdhsa_memory_ordered 1
		.amdhsa_forward_progress 0
		.amdhsa_shared_vgpr_count 0
		.amdhsa_exception_fp_ieee_invalid_op 0
		.amdhsa_exception_fp_denorm_src 0
		.amdhsa_exception_fp_ieee_div_zero 0
		.amdhsa_exception_fp_ieee_overflow 0
		.amdhsa_exception_fp_ieee_underflow 0
		.amdhsa_exception_fp_ieee_inexact 0
		.amdhsa_exception_int_div_zero 0
	.end_amdhsa_kernel
	.section	.text._ZN4vllm3moe10topkGatingILi4ELi4ELi4ELi8ELi32El6__halfLNS0_11ScoringFuncE0EEEvPKT5_PKbPfiPT4_PiiiibPKf,"axG",@progbits,_ZN4vllm3moe10topkGatingILi4ELi4ELi4ELi8ELi32El6__halfLNS0_11ScoringFuncE0EEEvPKT5_PKbPfiPT4_PiiiibPKf,comdat
.Lfunc_end112:
	.size	_ZN4vllm3moe10topkGatingILi4ELi4ELi4ELi8ELi32El6__halfLNS0_11ScoringFuncE0EEEvPKT5_PKbPfiPT4_PiiiibPKf, .Lfunc_end112-_ZN4vllm3moe10topkGatingILi4ELi4ELi4ELi8ELi32El6__halfLNS0_11ScoringFuncE0EEEvPKT5_PKbPfiPT4_PiiiibPKf
                                        ; -- End function
	.section	.AMDGPU.csdata,"",@progbits
; Kernel info:
; codeLenInByte = 1680
; NumSgprs: 18
; NumVgprs: 24
; ScratchSize: 0
; MemoryBound: 0
; FloatMode: 240
; IeeeMode: 1
; LDSByteSize: 0 bytes/workgroup (compile time only)
; SGPRBlocks: 2
; VGPRBlocks: 2
; NumSGPRsForWavesPerEU: 18
; NumVGPRsForWavesPerEU: 24
; Occupancy: 16
; WaveLimiterHint : 0
; COMPUTE_PGM_RSRC2:SCRATCH_EN: 0
; COMPUTE_PGM_RSRC2:USER_SGPR: 15
; COMPUTE_PGM_RSRC2:TRAP_HANDLER: 0
; COMPUTE_PGM_RSRC2:TGID_X_EN: 1
; COMPUTE_PGM_RSRC2:TGID_Y_EN: 0
; COMPUTE_PGM_RSRC2:TGID_Z_EN: 0
; COMPUTE_PGM_RSRC2:TIDIG_COMP_CNT: 1
	.section	.text._ZN4vllm3moe10topkGatingILi8ELi8ELi4ELi16ELi64El6__halfLNS0_11ScoringFuncE0EEEvPKT5_PKbPfiPT4_PiiiibPKf,"axG",@progbits,_ZN4vllm3moe10topkGatingILi8ELi8ELi4ELi16ELi64El6__halfLNS0_11ScoringFuncE0EEEvPKT5_PKbPfiPT4_PiiiibPKf,comdat
	.protected	_ZN4vllm3moe10topkGatingILi8ELi8ELi4ELi16ELi64El6__halfLNS0_11ScoringFuncE0EEEvPKT5_PKbPfiPT4_PiiiibPKf ; -- Begin function _ZN4vllm3moe10topkGatingILi8ELi8ELi4ELi16ELi64El6__halfLNS0_11ScoringFuncE0EEEvPKT5_PKbPfiPT4_PiiiibPKf
	.globl	_ZN4vllm3moe10topkGatingILi8ELi8ELi4ELi16ELi64El6__halfLNS0_11ScoringFuncE0EEEvPKT5_PKbPfiPT4_PiiiibPKf
	.p2align	8
	.type	_ZN4vllm3moe10topkGatingILi8ELi8ELi4ELi16ELi64El6__halfLNS0_11ScoringFuncE0EEEvPKT5_PKbPfiPT4_PiiiibPKf,@function
_ZN4vllm3moe10topkGatingILi8ELi8ELi4ELi16ELi64El6__halfLNS0_11ScoringFuncE0EEEvPKT5_PKbPfiPT4_PiiiibPKf: ; @_ZN4vllm3moe10topkGatingILi8ELi8ELi4ELi16ELi64El6__halfLNS0_11ScoringFuncE0EEEvPKT5_PKbPfiPT4_PiiiibPKf
; %bb.0:
	s_load_b32 s14, s[0:1], 0x18
	v_bfe_u32 v1, v0, 10, 10
	v_and_b32_e32 v0, 0x3ff, v0
	s_lshl_b32 s2, s15, 8
	s_delay_alu instid0(VALU_DEP_2) | instskip(NEXT) | instid1(VALU_DEP_1)
	v_lshlrev_b32_e32 v1, 6, v1
	v_add3_u32 v16, v1, v0, s2
	s_mov_b32 s2, exec_lo
	s_waitcnt lgkmcnt(0)
	s_delay_alu instid0(VALU_DEP_1)
	v_cmpx_gt_i32_e64 s14, v16
	s_cbranch_execz .LBB113_15
; %bb.1:
	s_clause 0x1
	s_load_b128 s[4:7], s[0:1], 0x0
	s_load_b64 s[12:13], s[0:1], 0x10
	s_mov_b32 s8, -1
	s_mov_b32 s15, -1
	s_waitcnt lgkmcnt(0)
	s_cmp_eq_u64 s[6:7], 0
	s_cbranch_scc1 .LBB113_3
; %bb.2:
	v_ashrrev_i32_e32 v1, 31, v16
	v_add_co_u32 v0, vcc_lo, s6, v16
	s_delay_alu instid0(VALU_DEP_2) | instskip(SKIP_3) | instid1(VALU_DEP_1)
	v_add_co_ci_u32_e32 v1, vcc_lo, s7, v1, vcc_lo
	global_load_u8 v0, v[0:1], off
	s_waitcnt vmcnt(0)
	v_and_b32_e32 v0, 1, v0
	v_cmp_eq_u32_e32 vcc_lo, 1, v0
	s_xor_b32 s2, vcc_lo, -1
	s_delay_alu instid0(SALU_CYCLE_1)
	s_or_not1_b32 s15, s2, exec_lo
.LBB113_3:
	v_lshlrev_b32_e32 v0, 3, v16
	s_load_b64 s[2:3], s[0:1], 0x40
	s_delay_alu instid0(VALU_DEP_1) | instskip(NEXT) | instid1(VALU_DEP_1)
	v_ashrrev_i32_e32 v1, 31, v0
	v_lshlrev_b64 v[0:1], 1, v[0:1]
	s_delay_alu instid0(VALU_DEP_1) | instskip(NEXT) | instid1(VALU_DEP_2)
	v_add_co_u32 v0, vcc_lo, s4, v0
	v_add_co_ci_u32_e32 v1, vcc_lo, s5, v1, vcc_lo
	s_waitcnt lgkmcnt(0)
	s_cmp_eq_u64 s[2:3], 0
	global_load_b128 v[0:3], v[0:1], off
	s_waitcnt vmcnt(0)
	v_lshrrev_b32_e32 v4, 16, v0
	v_cvt_f32_f16_e32 v0, v0
	v_lshrrev_b32_e32 v5, 16, v1
	v_cvt_f32_f16_e32 v1, v1
	;; [unrolled: 2-line block ×3, first 2 shown]
	v_cvt_f32_f16_e32 v2, v2
	v_cvt_f32_f16_e32 v5, v5
	v_lshrrev_b32_e32 v8, 16, v3
	v_cvt_f32_f16_e32 v6, v6
	v_max_f32_e32 v7, v0, v4
	v_cvt_f32_f16_e32 v3, v3
	s_delay_alu instid0(VALU_DEP_4) | instskip(NEXT) | instid1(VALU_DEP_3)
	v_cvt_f32_f16_e32 v8, v8
	v_max3_f32 v7, v7, v1, v5
	s_delay_alu instid0(VALU_DEP_1) | instskip(NEXT) | instid1(VALU_DEP_1)
	v_max3_f32 v7, v7, v2, v6
	v_max3_f32 v7, v7, v3, v8
	s_delay_alu instid0(VALU_DEP_1) | instskip(SKIP_2) | instid1(VALU_DEP_3)
	v_sub_f32_e32 v1, v1, v7
	v_sub_f32_e32 v5, v5, v7
	;; [unrolled: 1-line block ×3, first 2 shown]
	v_mul_f32_e32 v10, 0x3fb8aa3b, v1
	s_delay_alu instid0(VALU_DEP_3) | instskip(NEXT) | instid1(VALU_DEP_3)
	v_dual_mul_f32 v11, 0x3fb8aa3b, v5 :: v_dual_sub_f32 v0, v0, v7
	v_dual_mul_f32 v9, 0x3fb8aa3b, v4 :: v_dual_sub_f32 v6, v6, v7
	v_sub_f32_e32 v2, v2, v7
	v_sub_f32_e32 v3, v3, v7
	v_rndne_f32_e32 v22, v10
	v_dual_sub_f32 v7, v8, v7 :: v_dual_mul_f32 v8, 0x3fb8aa3b, v0
	v_fma_f32 v21, 0x3fb8aa3b, v1, -v10
	v_rndne_f32_e32 v24, v11
	s_delay_alu instid0(VALU_DEP_4)
	v_sub_f32_e32 v10, v10, v22
	v_fma_f32 v23, 0x3fb8aa3b, v5, -v11
	v_fma_f32 v17, 0x3fb8aa3b, v0, -v8
	v_rndne_f32_e32 v18, v8
	v_mul_f32_e32 v15, 0x3fb8aa3b, v7
	v_fma_f32 v19, 0x3fb8aa3b, v4, -v9
	v_rndne_f32_e32 v20, v9
	s_delay_alu instid0(VALU_DEP_4)
	v_dual_fmac_f32 v17, 0x32a5705f, v0 :: v_dual_sub_f32 v8, v8, v18
	v_sub_f32_e32 v11, v11, v24
	v_mul_f32_e32 v13, 0x3fb8aa3b, v6
	v_mul_f32_e32 v12, 0x3fb8aa3b, v2
	v_cvt_i32_f32_e32 v18, v18
	v_add_f32_e32 v8, v8, v17
	v_dual_mul_f32 v14, 0x3fb8aa3b, v3 :: v_dual_sub_f32 v9, v9, v20
	s_delay_alu instid0(VALU_DEP_4) | instskip(SKIP_1) | instid1(VALU_DEP_4)
	v_rndne_f32_e32 v26, v12
	v_fmac_f32_e32 v19, 0x32a5705f, v4
	v_exp_f32_e32 v8, v8
	v_cmp_ngt_f32_e32 vcc_lo, 0xc2ce8ed0, v0
	v_fma_f32 v25, 0x3fb8aa3b, v2, -v12
	v_sub_f32_e32 v12, v12, v26
	v_rndne_f32_e32 v30, v14
	v_fmac_f32_e32 v21, 0x32a5705f, v1
	v_fma_f32 v29, 0x3fb8aa3b, v3, -v14
	v_cvt_i32_f32_e32 v20, v20
	v_cvt_i32_f32_e32 v22, v22
	v_sub_f32_e32 v14, v14, v30
	v_ldexp_f32 v8, v8, v18
	v_fmac_f32_e32 v23, 0x32a5705f, v5
	v_dual_fmac_f32 v25, 0x32a5705f, v2 :: v_dual_add_f32 v10, v10, v21
	v_rndne_f32_e32 v28, v13
	s_delay_alu instid0(VALU_DEP_4) | instskip(SKIP_1) | instid1(VALU_DEP_4)
	v_dual_cndmask_b32 v8, 0, v8 :: v_dual_add_f32 v9, v9, v19
	v_cmp_ngt_f32_e32 vcc_lo, 0xc2ce8ed0, v4
	v_exp_f32_e32 v10, v10
	v_fma_f32 v27, 0x3fb8aa3b, v6, -v13
	v_rndne_f32_e32 v32, v15
	v_exp_f32_e32 v9, v9
	v_fma_f32 v31, 0x3fb8aa3b, v7, -v15
	v_cvt_i32_f32_e32 v17, v30
	v_cvt_i32_f32_e32 v24, v24
	v_dual_fmac_f32 v27, 0x32a5705f, v6 :: v_dual_add_f32 v12, v12, v25
	v_cvt_i32_f32_e32 v26, v26
	s_delay_alu instid0(TRANS32_DEP_2) | instskip(SKIP_1) | instid1(TRANS32_DEP_1)
	v_ldexp_f32 v10, v10, v22
	v_cvt_i32_f32_e32 v19, v32
	v_ldexp_f32 v9, v9, v20
	v_exp_f32_e32 v12, v12
	s_delay_alu instid0(VALU_DEP_1) | instskip(SKIP_2) | instid1(VALU_DEP_1)
	v_cndmask_b32_e32 v9, 0, v9, vcc_lo
	v_cmp_ngt_f32_e32 vcc_lo, 0xc2ce8ed0, v1
	v_dual_fmac_f32 v29, 0x32a5705f, v3 :: v_dual_cndmask_b32 v10, 0, v10
	v_dual_sub_f32 v13, v13, v28 :: v_dual_add_f32 v14, v14, v29
	v_cmp_nlt_f32_e32 vcc_lo, 0x42b17218, v0
	s_waitcnt_depctr 0xfff
	v_ldexp_f32 v12, v12, v26
	v_cvt_i32_f32_e32 v28, v28
	v_exp_f32_e32 v14, v14
	v_cndmask_b32_e32 v0, 0x7f800000, v8, vcc_lo
	v_cmp_nlt_f32_e32 vcc_lo, 0x42b17218, v4
	v_dual_sub_f32 v15, v15, v32 :: v_dual_cndmask_b32 v4, 0x7f800000, v9
	v_cmp_ngt_f32_e32 vcc_lo, 0xc2ce8ed0, v5
	s_waitcnt_depctr 0xfff
	v_ldexp_f32 v14, v14, v17
	v_add_f32_e32 v9, v0, v4
	v_add_f32_e32 v11, v11, v23
	s_delay_alu instid0(VALU_DEP_1) | instskip(SKIP_2) | instid1(VALU_DEP_1)
	v_exp_f32_e32 v11, v11
	s_waitcnt_depctr 0xfff
	v_ldexp_f32 v11, v11, v24
	v_cndmask_b32_e32 v8, 0, v11, vcc_lo
	v_cmp_nlt_f32_e32 vcc_lo, 0x42b17218, v1
	v_cndmask_b32_e32 v1, 0x7f800000, v10, vcc_lo
	v_cmp_ngt_f32_e32 vcc_lo, 0xc2ce8ed0, v2
	v_dual_fmac_f32 v31, 0x32a5705f, v7 :: v_dual_cndmask_b32 v10, 0, v12
	v_add_f32_e32 v13, v13, v27
	v_cmp_nlt_f32_e32 vcc_lo, 0x42b17218, v5
	s_delay_alu instid0(VALU_DEP_2) | instskip(SKIP_3) | instid1(VALU_DEP_1)
	v_exp_f32_e32 v13, v13
	v_cndmask_b32_e32 v5, 0x7f800000, v8, vcc_lo
	v_cmp_ngt_f32_e32 vcc_lo, 0xc2ce8ed0, v6
	v_dual_add_f32 v8, v9, v1 :: v_dual_add_f32 v15, v15, v31
	v_add_f32_e32 v8, v8, v5
	s_delay_alu instid0(VALU_DEP_2) | instskip(SKIP_2) | instid1(VALU_DEP_1)
	v_exp_f32_e32 v15, v15
	s_waitcnt_depctr 0xfff
	v_ldexp_f32 v13, v13, v28
	v_cndmask_b32_e32 v9, 0, v13, vcc_lo
	v_cmp_nlt_f32_e32 vcc_lo, 0x42b17218, v2
	v_ldexp_f32 v15, v15, v19
	v_cndmask_b32_e32 v2, 0x7f800000, v10, vcc_lo
	v_cmp_ngt_f32_e32 vcc_lo, 0xc2ce8ed0, v3
	s_delay_alu instid0(VALU_DEP_2) | instskip(SKIP_4) | instid1(VALU_DEP_2)
	v_add_f32_e32 v8, v8, v2
	v_cndmask_b32_e32 v10, 0, v14, vcc_lo
	v_cmp_nlt_f32_e32 vcc_lo, 0x42b17218, v6
	v_cndmask_b32_e32 v6, 0x7f800000, v9, vcc_lo
	v_cmp_ngt_f32_e32 vcc_lo, 0xc2ce8ed0, v7
	v_dual_add_f32 v8, v8, v6 :: v_dual_cndmask_b32 v9, 0, v15
	v_cmp_nlt_f32_e32 vcc_lo, 0x42b17218, v3
	v_cndmask_b32_e32 v3, 0x7f800000, v10, vcc_lo
	v_cmp_nlt_f32_e32 vcc_lo, 0x42b17218, v7
	s_delay_alu instid0(VALU_DEP_2) | instskip(NEXT) | instid1(VALU_DEP_1)
	v_dual_add_f32 v8, v8, v3 :: v_dual_cndmask_b32 v7, 0x7f800000, v9
	v_add_f32_e32 v8, v8, v7
	s_delay_alu instid0(VALU_DEP_1) | instskip(SKIP_1) | instid1(VALU_DEP_2)
	v_div_scale_f32 v9, null, v8, v8, 1.0
	v_div_scale_f32 v12, vcc_lo, 1.0, v8, 1.0
	v_rcp_f32_e32 v10, v9
	s_waitcnt_depctr 0xfff
	v_fma_f32 v11, -v9, v10, 1.0
	s_delay_alu instid0(VALU_DEP_1) | instskip(NEXT) | instid1(VALU_DEP_1)
	v_fmac_f32_e32 v10, v11, v10
	v_mul_f32_e32 v11, v12, v10
	s_delay_alu instid0(VALU_DEP_1) | instskip(NEXT) | instid1(VALU_DEP_1)
	v_fma_f32 v13, -v9, v11, v12
	v_fmac_f32_e32 v11, v13, v10
	s_delay_alu instid0(VALU_DEP_1) | instskip(NEXT) | instid1(VALU_DEP_1)
	v_fma_f32 v9, -v9, v11, v12
	v_div_fmas_f32 v9, v9, v10, v11
	s_delay_alu instid0(VALU_DEP_1) | instskip(NEXT) | instid1(VALU_DEP_1)
	v_div_fixup_f32 v8, v9, v8, 1.0
	v_mul_f32_e32 v4, v8, v4
	v_mul_f32_e32 v0, v8, v0
	;; [unrolled: 1-line block ×3, first 2 shown]
	s_delay_alu instid0(VALU_DEP_2) | instskip(SKIP_4) | instid1(VALU_DEP_4)
	v_cmp_class_f32_e64 vcc_lo, v0, 0x1f8
	v_dual_mul_f32 v9, v8, v1 :: v_dual_cndmask_b32 v0, 0, v0
	v_cmp_class_f32_e64 vcc_lo, v4, 0x1f8
	v_dual_mul_f32 v10, v8, v2 :: v_dual_cndmask_b32 v1, 0, v4
	v_mul_f32_e32 v5, v8, v5
	v_cmp_class_f32_e64 vcc_lo, v9, 0x1f8
	v_dual_mul_f32 v11, v8, v3 :: v_dual_cndmask_b32 v2, 0, v9
	s_delay_alu instid0(VALU_DEP_3) | instskip(SKIP_3) | instid1(VALU_DEP_3)
	v_cmp_class_f32_e64 vcc_lo, v5, 0x1f8
	v_dual_mul_f32 v6, v8, v6 :: v_dual_cndmask_b32 v3, 0, v5
	v_cmp_class_f32_e64 vcc_lo, v10, 0x1f8
	v_cndmask_b32_e32 v4, 0, v10, vcc_lo
	v_cmp_class_f32_e64 vcc_lo, v6, 0x1f8
	v_cndmask_b32_e32 v5, 0, v6, vcc_lo
	v_cmp_class_f32_e64 vcc_lo, v11, 0x1f8
	v_cndmask_b32_e32 v6, 0, v11, vcc_lo
	v_cmp_class_f32_e64 vcc_lo, v7, 0x1f8
	v_cndmask_b32_e32 v7, 0, v7, vcc_lo
	s_cbranch_scc1 .LBB113_10
; %bb.4:
	s_load_b256 s[4:11], s[2:3], 0x0
	s_waitcnt lgkmcnt(0)
	v_dual_add_f32 v8, s4, v0 :: v_dual_add_f32 v9, s5, v1
	v_dual_add_f32 v10, s6, v2 :: v_dual_add_f32 v11, s7, v3
	;; [unrolled: 1-line block ×4, first 2 shown]
	s_cbranch_execnz .LBB113_6
.LBB113_5:
	v_dual_mov_b32 v15, v7 :: v_dual_mov_b32 v14, v6
	v_dual_mov_b32 v13, v5 :: v_dual_mov_b32 v12, v4
	;; [unrolled: 1-line block ×4, first 2 shown]
.LBB113_6:
	s_load_b128 s[4:7], s[0:1], 0x30
	s_waitcnt lgkmcnt(0)
	s_bitcmp1_b32 s7, 0
	s_mov_b32 s7, 0
	s_cselect_b32 vcc_lo, -1, 0
	s_cmp_gt_i32 s4, 0
	s_cselect_b32 s3, -1, 0
	s_cmp_lt_i32 s4, 1
	s_cbranch_scc1 .LBB113_11
; %bb.7:
	s_load_b128 s[8:11], s[0:1], 0x20
	v_mul_lo_u32 v18, v16, s4
	v_mov_b32_e32 v17, 0
	v_mov_b32_e32 v19, v16
.LBB113_8:                              ; =>This Inner Loop Header: Depth=1
	s_delay_alu instid0(VALU_DEP_1) | instskip(NEXT) | instid1(VALU_DEP_1)
	v_cmp_gt_f32_e64 s0, v9, v8
	v_cndmask_b32_e64 v20, v8, v9, s0
	v_cndmask_b32_e64 v21, v0, v1, s0
	;; [unrolled: 1-line block ×3, first 2 shown]
	s_delay_alu instid0(VALU_DEP_3) | instskip(NEXT) | instid1(VALU_DEP_1)
	v_cmp_gt_f32_e64 s1, v10, v20
	v_cndmask_b32_e64 v20, v20, v10, s1
	s_delay_alu instid0(VALU_DEP_4) | instskip(NEXT) | instid1(VALU_DEP_4)
	v_cndmask_b32_e64 v21, v21, v2, s1
	v_cndmask_b32_e64 v22, v22, 2, s1
	s_delay_alu instid0(VALU_DEP_3) | instskip(NEXT) | instid1(VALU_DEP_1)
	v_cmp_gt_f32_e64 s0, v11, v20
	v_cndmask_b32_e64 v20, v20, v11, s0
	s_delay_alu instid0(VALU_DEP_4) | instskip(NEXT) | instid1(VALU_DEP_4)
	v_cndmask_b32_e64 v21, v21, v3, s0
	v_cndmask_b32_e64 v22, v22, 3, s0
	s_delay_alu instid0(VALU_DEP_3) | instskip(NEXT) | instid1(VALU_DEP_1)
	v_cmp_gt_f32_e64 s1, v12, v20
	v_cndmask_b32_e64 v20, v20, v12, s1
	s_delay_alu instid0(VALU_DEP_4) | instskip(NEXT) | instid1(VALU_DEP_4)
	v_cndmask_b32_e64 v21, v21, v4, s1
	v_cndmask_b32_e64 v22, v22, 4, s1
	s_delay_alu instid0(VALU_DEP_3) | instskip(NEXT) | instid1(VALU_DEP_1)
	v_cmp_gt_f32_e64 s0, v13, v20
	v_cndmask_b32_e64 v20, v20, v13, s0
	s_delay_alu instid0(VALU_DEP_4) | instskip(NEXT) | instid1(VALU_DEP_4)
	v_cndmask_b32_e64 v21, v21, v5, s0
	v_cndmask_b32_e64 v22, v22, 5, s0
	s_delay_alu instid0(VALU_DEP_3) | instskip(NEXT) | instid1(VALU_DEP_1)
	v_cmp_gt_f32_e64 s1, v14, v20
	v_cndmask_b32_e64 v23, v20, v14, s1
	v_add_nc_u32_e32 v20, s7, v18
	v_cndmask_b32_e64 v24, v21, v6, s1
	v_cndmask_b32_e64 v22, v22, 6, s1
	s_add_i32 s7, s7, 1
	v_cmp_gt_f32_e64 s0, v15, v23
	v_ashrrev_i32_e32 v21, 31, v20
	s_delay_alu instid0(VALU_DEP_2) | instskip(NEXT) | instid1(VALU_DEP_2)
	v_cndmask_b32_e64 v29, v22, 7, s0
	v_lshlrev_b64 v[22:23], 2, v[20:21]
	v_cndmask_b32_e64 v28, v24, v7, s0
	v_lshlrev_b64 v[20:21], 3, v[20:21]
	s_delay_alu instid0(VALU_DEP_4) | instskip(SKIP_2) | instid1(VALU_DEP_1)
	v_subrev_nc_u32_e32 v26, s5, v29
	v_cmp_gt_i32_e64 s1, s6, v29
	v_add_co_u32 v24, s0, s12, v22
	v_add_co_ci_u32_e64 v25, s0, s13, v23, s0
	v_cmp_le_i32_e64 s0, s5, v29
	v_ashrrev_i32_e32 v27, 31, v26
	s_waitcnt lgkmcnt(0)
	v_add_co_u32 v22, s2, s10, v22
	s_delay_alu instid0(VALU_DEP_1)
	v_add_co_ci_u32_e64 v23, s2, s11, v23, s2
	s_and_b32 s0, s0, s1
	v_add_f32_e32 v30, v17, v28
	s_and_b32 s0, s15, s0
	global_store_b32 v[22:23], v19, off
	v_add_nc_u32_e32 v19, s14, v19
	v_cndmask_b32_e64 v27, 0, v27, s0
	v_cndmask_b32_e64 v26, 8, v26, s0
	v_add_co_u32 v20, s0, s8, v20
	s_delay_alu instid0(VALU_DEP_1)
	v_add_co_ci_u32_e64 v21, s0, s9, v21, s0
	v_cmp_ne_u32_e64 s0, 0, v29
	v_cndmask_b32_e32 v17, v17, v30, vcc_lo
	s_cmp_lt_i32 s7, s4
	global_store_b32 v[24:25], v28, off
	global_store_b64 v[20:21], v[26:27], off
	v_cndmask_b32_e64 v22, 0xc61c4000, v8, s0
	v_cmp_ne_u32_e64 s0, 1, v29
	s_delay_alu instid0(VALU_DEP_1) | instskip(SKIP_1) | instid1(VALU_DEP_1)
	v_cndmask_b32_e64 v23, 0xc61c4000, v9, s0
	v_cmp_ne_u32_e64 s0, 2, v29
	v_cndmask_b32_e64 v30, 0xc61c4000, v10, s0
	v_cmp_ne_u32_e64 s0, 3, v29
	s_delay_alu instid0(VALU_DEP_1) | instskip(SKIP_1) | instid1(VALU_DEP_1)
	v_cndmask_b32_e64 v31, 0xc61c4000, v11, s0
	v_cmp_ne_u32_e64 s0, 5, v29
	;; [unrolled: 5-line block ×3, first 2 shown]
	v_cndmask_b32_e64 v34, 0xc61c4000, v14, s0
	v_cmp_ne_u32_e64 s0, 4, v29
	s_delay_alu instid0(VALU_DEP_1)
	v_cndmask_b32_e64 v29, 0xc61c4000, v12, s0
	s_cselect_b32 s0, -1, 0
	s_cmp_eq_u32 s4, s7
	v_cndmask_b32_e64 v15, v15, v33, s0
	v_cndmask_b32_e64 v14, v14, v34, s0
	;; [unrolled: 1-line block ×8, first 2 shown]
	s_cbranch_scc0 .LBB113_8
; %bb.9:
	s_and_b32 vcc_lo, exec_lo, vcc_lo
	s_cbranch_vccnz .LBB113_12
	s_branch .LBB113_15
.LBB113_10:
                                        ; implicit-def: $vgpr8_vgpr9_vgpr10_vgpr11_vgpr12_vgpr13_vgpr14_vgpr15
	s_and_not1_b32 vcc_lo, exec_lo, s8
	s_cbranch_vccz .LBB113_5
	s_branch .LBB113_6
.LBB113_11:
	v_mov_b32_e32 v17, 0
	s_and_b32 vcc_lo, exec_lo, vcc_lo
	s_cbranch_vccz .LBB113_15
.LBB113_12:
	s_and_not1_b32 vcc_lo, exec_lo, s3
	s_cbranch_vccnz .LBB113_15
; %bb.13:
	v_mul_lo_u32 v0, v16, s4
	v_cmp_lt_f32_e32 vcc_lo, 0, v17
	v_cndmask_b32_e32 v2, 1.0, v17, vcc_lo
	s_delay_alu instid0(VALU_DEP_3) | instskip(NEXT) | instid1(VALU_DEP_1)
	v_ashrrev_i32_e32 v1, 31, v0
	v_lshlrev_b64 v[0:1], 2, v[0:1]
	s_delay_alu instid0(VALU_DEP_1) | instskip(NEXT) | instid1(VALU_DEP_2)
	v_add_co_u32 v0, vcc_lo, s12, v0
	v_add_co_ci_u32_e32 v1, vcc_lo, s13, v1, vcc_lo
	.p2align	6
.LBB113_14:                             ; =>This Inner Loop Header: Depth=1
	global_load_b32 v3, v[0:1], off
	s_add_i32 s4, s4, -1
	s_delay_alu instid0(SALU_CYCLE_1) | instskip(SKIP_3) | instid1(VALU_DEP_2)
	s_cmp_lg_u32 s4, 0
	s_waitcnt vmcnt(0)
	v_div_scale_f32 v4, null, v2, v2, v3
	v_div_scale_f32 v7, vcc_lo, v3, v2, v3
	v_rcp_f32_e32 v5, v4
	s_waitcnt_depctr 0xfff
	v_fma_f32 v6, -v4, v5, 1.0
	s_delay_alu instid0(VALU_DEP_1) | instskip(NEXT) | instid1(VALU_DEP_1)
	v_fmac_f32_e32 v5, v6, v5
	v_mul_f32_e32 v6, v7, v5
	s_delay_alu instid0(VALU_DEP_1) | instskip(NEXT) | instid1(VALU_DEP_1)
	v_fma_f32 v8, -v4, v6, v7
	v_fmac_f32_e32 v6, v8, v5
	s_delay_alu instid0(VALU_DEP_1) | instskip(NEXT) | instid1(VALU_DEP_1)
	v_fma_f32 v4, -v4, v6, v7
	v_div_fmas_f32 v4, v4, v5, v6
	s_delay_alu instid0(VALU_DEP_1)
	v_div_fixup_f32 v3, v4, v2, v3
	global_store_b32 v[0:1], v3, off
	v_add_co_u32 v0, vcc_lo, v0, 4
	v_add_co_ci_u32_e32 v1, vcc_lo, 0, v1, vcc_lo
	s_cbranch_scc1 .LBB113_14
.LBB113_15:
	s_nop 0
	s_sendmsg sendmsg(MSG_DEALLOC_VGPRS)
	s_endpgm
	.section	.rodata,"a",@progbits
	.p2align	6, 0x0
	.amdhsa_kernel _ZN4vllm3moe10topkGatingILi8ELi8ELi4ELi16ELi64El6__halfLNS0_11ScoringFuncE0EEEvPKT5_PKbPfiPT4_PiiiibPKf
		.amdhsa_group_segment_fixed_size 0
		.amdhsa_private_segment_fixed_size 0
		.amdhsa_kernarg_size 72
		.amdhsa_user_sgpr_count 15
		.amdhsa_user_sgpr_dispatch_ptr 0
		.amdhsa_user_sgpr_queue_ptr 0
		.amdhsa_user_sgpr_kernarg_segment_ptr 1
		.amdhsa_user_sgpr_dispatch_id 0
		.amdhsa_user_sgpr_private_segment_size 0
		.amdhsa_wavefront_size32 1
		.amdhsa_uses_dynamic_stack 0
		.amdhsa_enable_private_segment 0
		.amdhsa_system_sgpr_workgroup_id_x 1
		.amdhsa_system_sgpr_workgroup_id_y 0
		.amdhsa_system_sgpr_workgroup_id_z 0
		.amdhsa_system_sgpr_workgroup_info 0
		.amdhsa_system_vgpr_workitem_id 1
		.amdhsa_next_free_vgpr 35
		.amdhsa_next_free_sgpr 16
		.amdhsa_reserve_vcc 1
		.amdhsa_float_round_mode_32 0
		.amdhsa_float_round_mode_16_64 0
		.amdhsa_float_denorm_mode_32 3
		.amdhsa_float_denorm_mode_16_64 3
		.amdhsa_dx10_clamp 1
		.amdhsa_ieee_mode 1
		.amdhsa_fp16_overflow 0
		.amdhsa_workgroup_processor_mode 1
		.amdhsa_memory_ordered 1
		.amdhsa_forward_progress 0
		.amdhsa_shared_vgpr_count 0
		.amdhsa_exception_fp_ieee_invalid_op 0
		.amdhsa_exception_fp_denorm_src 0
		.amdhsa_exception_fp_ieee_div_zero 0
		.amdhsa_exception_fp_ieee_overflow 0
		.amdhsa_exception_fp_ieee_underflow 0
		.amdhsa_exception_fp_ieee_inexact 0
		.amdhsa_exception_int_div_zero 0
	.end_amdhsa_kernel
	.section	.text._ZN4vllm3moe10topkGatingILi8ELi8ELi4ELi16ELi64El6__halfLNS0_11ScoringFuncE0EEEvPKT5_PKbPfiPT4_PiiiibPKf,"axG",@progbits,_ZN4vllm3moe10topkGatingILi8ELi8ELi4ELi16ELi64El6__halfLNS0_11ScoringFuncE0EEEvPKT5_PKbPfiPT4_PiiiibPKf,comdat
.Lfunc_end113:
	.size	_ZN4vllm3moe10topkGatingILi8ELi8ELi4ELi16ELi64El6__halfLNS0_11ScoringFuncE0EEEvPKT5_PKbPfiPT4_PiiiibPKf, .Lfunc_end113-_ZN4vllm3moe10topkGatingILi8ELi8ELi4ELi16ELi64El6__halfLNS0_11ScoringFuncE0EEEvPKT5_PKbPfiPT4_PiiiibPKf
                                        ; -- End function
	.section	.AMDGPU.csdata,"",@progbits
; Kernel info:
; codeLenInByte = 2456
; NumSgprs: 18
; NumVgprs: 35
; ScratchSize: 0
; MemoryBound: 0
; FloatMode: 240
; IeeeMode: 1
; LDSByteSize: 0 bytes/workgroup (compile time only)
; SGPRBlocks: 2
; VGPRBlocks: 4
; NumSGPRsForWavesPerEU: 18
; NumVGPRsForWavesPerEU: 35
; Occupancy: 16
; WaveLimiterHint : 0
; COMPUTE_PGM_RSRC2:SCRATCH_EN: 0
; COMPUTE_PGM_RSRC2:USER_SGPR: 15
; COMPUTE_PGM_RSRC2:TRAP_HANDLER: 0
; COMPUTE_PGM_RSRC2:TGID_X_EN: 1
; COMPUTE_PGM_RSRC2:TGID_Y_EN: 0
; COMPUTE_PGM_RSRC2:TGID_Z_EN: 0
; COMPUTE_PGM_RSRC2:TIDIG_COMP_CNT: 1
	.section	.text._ZN4vllm3moe10topkGatingILi8ELi8ELi4ELi16ELi32El6__halfLNS0_11ScoringFuncE0EEEvPKT5_PKbPfiPT4_PiiiibPKf,"axG",@progbits,_ZN4vllm3moe10topkGatingILi8ELi8ELi4ELi16ELi32El6__halfLNS0_11ScoringFuncE0EEEvPKT5_PKbPfiPT4_PiiiibPKf,comdat
	.protected	_ZN4vllm3moe10topkGatingILi8ELi8ELi4ELi16ELi32El6__halfLNS0_11ScoringFuncE0EEEvPKT5_PKbPfiPT4_PiiiibPKf ; -- Begin function _ZN4vllm3moe10topkGatingILi8ELi8ELi4ELi16ELi32El6__halfLNS0_11ScoringFuncE0EEEvPKT5_PKbPfiPT4_PiiiibPKf
	.globl	_ZN4vllm3moe10topkGatingILi8ELi8ELi4ELi16ELi32El6__halfLNS0_11ScoringFuncE0EEEvPKT5_PKbPfiPT4_PiiiibPKf
	.p2align	8
	.type	_ZN4vllm3moe10topkGatingILi8ELi8ELi4ELi16ELi32El6__halfLNS0_11ScoringFuncE0EEEvPKT5_PKbPfiPT4_PiiiibPKf,@function
_ZN4vllm3moe10topkGatingILi8ELi8ELi4ELi16ELi32El6__halfLNS0_11ScoringFuncE0EEEvPKT5_PKbPfiPT4_PiiiibPKf: ; @_ZN4vllm3moe10topkGatingILi8ELi8ELi4ELi16ELi32El6__halfLNS0_11ScoringFuncE0EEEvPKT5_PKbPfiPT4_PiiiibPKf
; %bb.0:
	s_load_b32 s14, s[0:1], 0x18
	v_bfe_u32 v1, v0, 10, 10
	v_and_b32_e32 v0, 0x3ff, v0
	s_lshl_b32 s2, s15, 7
	s_delay_alu instid0(VALU_DEP_2) | instskip(NEXT) | instid1(VALU_DEP_1)
	v_lshlrev_b32_e32 v1, 5, v1
	v_add3_u32 v16, v1, v0, s2
	s_mov_b32 s2, exec_lo
	s_waitcnt lgkmcnt(0)
	s_delay_alu instid0(VALU_DEP_1)
	v_cmpx_gt_i32_e64 s14, v16
	s_cbranch_execz .LBB114_15
; %bb.1:
	s_clause 0x1
	s_load_b128 s[4:7], s[0:1], 0x0
	s_load_b64 s[12:13], s[0:1], 0x10
	s_mov_b32 s8, -1
	s_mov_b32 s15, -1
	s_waitcnt lgkmcnt(0)
	s_cmp_eq_u64 s[6:7], 0
	s_cbranch_scc1 .LBB114_3
; %bb.2:
	v_ashrrev_i32_e32 v1, 31, v16
	v_add_co_u32 v0, vcc_lo, s6, v16
	s_delay_alu instid0(VALU_DEP_2) | instskip(SKIP_3) | instid1(VALU_DEP_1)
	v_add_co_ci_u32_e32 v1, vcc_lo, s7, v1, vcc_lo
	global_load_u8 v0, v[0:1], off
	s_waitcnt vmcnt(0)
	v_and_b32_e32 v0, 1, v0
	v_cmp_eq_u32_e32 vcc_lo, 1, v0
	s_xor_b32 s2, vcc_lo, -1
	s_delay_alu instid0(SALU_CYCLE_1)
	s_or_not1_b32 s15, s2, exec_lo
.LBB114_3:
	v_lshlrev_b32_e32 v0, 3, v16
	s_load_b64 s[2:3], s[0:1], 0x40
	s_delay_alu instid0(VALU_DEP_1) | instskip(NEXT) | instid1(VALU_DEP_1)
	v_ashrrev_i32_e32 v1, 31, v0
	v_lshlrev_b64 v[0:1], 1, v[0:1]
	s_delay_alu instid0(VALU_DEP_1) | instskip(NEXT) | instid1(VALU_DEP_2)
	v_add_co_u32 v0, vcc_lo, s4, v0
	v_add_co_ci_u32_e32 v1, vcc_lo, s5, v1, vcc_lo
	s_waitcnt lgkmcnt(0)
	s_cmp_eq_u64 s[2:3], 0
	global_load_b128 v[0:3], v[0:1], off
	s_waitcnt vmcnt(0)
	v_lshrrev_b32_e32 v4, 16, v0
	v_cvt_f32_f16_e32 v0, v0
	v_lshrrev_b32_e32 v5, 16, v1
	v_cvt_f32_f16_e32 v1, v1
	v_lshrrev_b32_e32 v6, 16, v2
	v_cvt_f32_f16_e32 v4, v4
	v_cvt_f32_f16_e32 v2, v2
	v_cvt_f32_f16_e32 v5, v5
	v_lshrrev_b32_e32 v8, 16, v3
	v_cvt_f32_f16_e32 v6, v6
	v_max_f32_e32 v7, v0, v4
	v_cvt_f32_f16_e32 v3, v3
	s_delay_alu instid0(VALU_DEP_4) | instskip(NEXT) | instid1(VALU_DEP_3)
	v_cvt_f32_f16_e32 v8, v8
	v_max3_f32 v7, v7, v1, v5
	s_delay_alu instid0(VALU_DEP_1) | instskip(NEXT) | instid1(VALU_DEP_1)
	v_max3_f32 v7, v7, v2, v6
	v_max3_f32 v7, v7, v3, v8
	s_delay_alu instid0(VALU_DEP_1) | instskip(SKIP_2) | instid1(VALU_DEP_3)
	v_sub_f32_e32 v1, v1, v7
	v_sub_f32_e32 v5, v5, v7
	;; [unrolled: 1-line block ×3, first 2 shown]
	v_mul_f32_e32 v10, 0x3fb8aa3b, v1
	s_delay_alu instid0(VALU_DEP_3) | instskip(NEXT) | instid1(VALU_DEP_3)
	v_dual_mul_f32 v11, 0x3fb8aa3b, v5 :: v_dual_sub_f32 v0, v0, v7
	v_dual_mul_f32 v9, 0x3fb8aa3b, v4 :: v_dual_sub_f32 v6, v6, v7
	v_sub_f32_e32 v2, v2, v7
	v_sub_f32_e32 v3, v3, v7
	v_rndne_f32_e32 v22, v10
	v_dual_sub_f32 v7, v8, v7 :: v_dual_mul_f32 v8, 0x3fb8aa3b, v0
	v_fma_f32 v21, 0x3fb8aa3b, v1, -v10
	v_rndne_f32_e32 v24, v11
	s_delay_alu instid0(VALU_DEP_4)
	v_sub_f32_e32 v10, v10, v22
	v_fma_f32 v23, 0x3fb8aa3b, v5, -v11
	v_fma_f32 v17, 0x3fb8aa3b, v0, -v8
	v_rndne_f32_e32 v18, v8
	v_mul_f32_e32 v15, 0x3fb8aa3b, v7
	v_fma_f32 v19, 0x3fb8aa3b, v4, -v9
	v_rndne_f32_e32 v20, v9
	s_delay_alu instid0(VALU_DEP_4)
	v_dual_fmac_f32 v17, 0x32a5705f, v0 :: v_dual_sub_f32 v8, v8, v18
	v_sub_f32_e32 v11, v11, v24
	v_mul_f32_e32 v13, 0x3fb8aa3b, v6
	v_mul_f32_e32 v12, 0x3fb8aa3b, v2
	v_cvt_i32_f32_e32 v18, v18
	v_add_f32_e32 v8, v8, v17
	v_dual_mul_f32 v14, 0x3fb8aa3b, v3 :: v_dual_sub_f32 v9, v9, v20
	s_delay_alu instid0(VALU_DEP_4) | instskip(SKIP_1) | instid1(VALU_DEP_4)
	v_rndne_f32_e32 v26, v12
	v_fmac_f32_e32 v19, 0x32a5705f, v4
	v_exp_f32_e32 v8, v8
	v_cmp_ngt_f32_e32 vcc_lo, 0xc2ce8ed0, v0
	v_fma_f32 v25, 0x3fb8aa3b, v2, -v12
	v_sub_f32_e32 v12, v12, v26
	v_rndne_f32_e32 v30, v14
	v_fmac_f32_e32 v21, 0x32a5705f, v1
	v_fma_f32 v29, 0x3fb8aa3b, v3, -v14
	v_cvt_i32_f32_e32 v20, v20
	v_cvt_i32_f32_e32 v22, v22
	v_sub_f32_e32 v14, v14, v30
	v_ldexp_f32 v8, v8, v18
	v_fmac_f32_e32 v23, 0x32a5705f, v5
	v_dual_fmac_f32 v25, 0x32a5705f, v2 :: v_dual_add_f32 v10, v10, v21
	v_rndne_f32_e32 v28, v13
	s_delay_alu instid0(VALU_DEP_4) | instskip(SKIP_1) | instid1(VALU_DEP_4)
	v_dual_cndmask_b32 v8, 0, v8 :: v_dual_add_f32 v9, v9, v19
	v_cmp_ngt_f32_e32 vcc_lo, 0xc2ce8ed0, v4
	v_exp_f32_e32 v10, v10
	v_fma_f32 v27, 0x3fb8aa3b, v6, -v13
	v_rndne_f32_e32 v32, v15
	v_exp_f32_e32 v9, v9
	v_fma_f32 v31, 0x3fb8aa3b, v7, -v15
	v_cvt_i32_f32_e32 v17, v30
	v_cvt_i32_f32_e32 v24, v24
	v_dual_fmac_f32 v27, 0x32a5705f, v6 :: v_dual_add_f32 v12, v12, v25
	v_cvt_i32_f32_e32 v26, v26
	s_delay_alu instid0(TRANS32_DEP_2) | instskip(SKIP_1) | instid1(TRANS32_DEP_1)
	v_ldexp_f32 v10, v10, v22
	v_cvt_i32_f32_e32 v19, v32
	v_ldexp_f32 v9, v9, v20
	v_exp_f32_e32 v12, v12
	s_delay_alu instid0(VALU_DEP_1) | instskip(SKIP_2) | instid1(VALU_DEP_1)
	v_cndmask_b32_e32 v9, 0, v9, vcc_lo
	v_cmp_ngt_f32_e32 vcc_lo, 0xc2ce8ed0, v1
	v_dual_fmac_f32 v29, 0x32a5705f, v3 :: v_dual_cndmask_b32 v10, 0, v10
	v_dual_sub_f32 v13, v13, v28 :: v_dual_add_f32 v14, v14, v29
	v_cmp_nlt_f32_e32 vcc_lo, 0x42b17218, v0
	s_waitcnt_depctr 0xfff
	v_ldexp_f32 v12, v12, v26
	v_cvt_i32_f32_e32 v28, v28
	v_exp_f32_e32 v14, v14
	v_cndmask_b32_e32 v0, 0x7f800000, v8, vcc_lo
	v_cmp_nlt_f32_e32 vcc_lo, 0x42b17218, v4
	v_dual_sub_f32 v15, v15, v32 :: v_dual_cndmask_b32 v4, 0x7f800000, v9
	v_cmp_ngt_f32_e32 vcc_lo, 0xc2ce8ed0, v5
	s_waitcnt_depctr 0xfff
	v_ldexp_f32 v14, v14, v17
	v_add_f32_e32 v9, v0, v4
	v_add_f32_e32 v11, v11, v23
	s_delay_alu instid0(VALU_DEP_1) | instskip(SKIP_2) | instid1(VALU_DEP_1)
	v_exp_f32_e32 v11, v11
	s_waitcnt_depctr 0xfff
	v_ldexp_f32 v11, v11, v24
	v_cndmask_b32_e32 v8, 0, v11, vcc_lo
	v_cmp_nlt_f32_e32 vcc_lo, 0x42b17218, v1
	v_cndmask_b32_e32 v1, 0x7f800000, v10, vcc_lo
	v_cmp_ngt_f32_e32 vcc_lo, 0xc2ce8ed0, v2
	v_dual_fmac_f32 v31, 0x32a5705f, v7 :: v_dual_cndmask_b32 v10, 0, v12
	v_add_f32_e32 v13, v13, v27
	v_cmp_nlt_f32_e32 vcc_lo, 0x42b17218, v5
	s_delay_alu instid0(VALU_DEP_2) | instskip(SKIP_3) | instid1(VALU_DEP_1)
	v_exp_f32_e32 v13, v13
	v_cndmask_b32_e32 v5, 0x7f800000, v8, vcc_lo
	v_cmp_ngt_f32_e32 vcc_lo, 0xc2ce8ed0, v6
	v_dual_add_f32 v8, v9, v1 :: v_dual_add_f32 v15, v15, v31
	v_add_f32_e32 v8, v8, v5
	s_delay_alu instid0(VALU_DEP_2) | instskip(SKIP_2) | instid1(VALU_DEP_1)
	v_exp_f32_e32 v15, v15
	s_waitcnt_depctr 0xfff
	v_ldexp_f32 v13, v13, v28
	v_cndmask_b32_e32 v9, 0, v13, vcc_lo
	v_cmp_nlt_f32_e32 vcc_lo, 0x42b17218, v2
	v_ldexp_f32 v15, v15, v19
	v_cndmask_b32_e32 v2, 0x7f800000, v10, vcc_lo
	v_cmp_ngt_f32_e32 vcc_lo, 0xc2ce8ed0, v3
	s_delay_alu instid0(VALU_DEP_2) | instskip(SKIP_4) | instid1(VALU_DEP_2)
	v_add_f32_e32 v8, v8, v2
	v_cndmask_b32_e32 v10, 0, v14, vcc_lo
	v_cmp_nlt_f32_e32 vcc_lo, 0x42b17218, v6
	v_cndmask_b32_e32 v6, 0x7f800000, v9, vcc_lo
	v_cmp_ngt_f32_e32 vcc_lo, 0xc2ce8ed0, v7
	v_dual_add_f32 v8, v8, v6 :: v_dual_cndmask_b32 v9, 0, v15
	v_cmp_nlt_f32_e32 vcc_lo, 0x42b17218, v3
	v_cndmask_b32_e32 v3, 0x7f800000, v10, vcc_lo
	v_cmp_nlt_f32_e32 vcc_lo, 0x42b17218, v7
	s_delay_alu instid0(VALU_DEP_2) | instskip(NEXT) | instid1(VALU_DEP_1)
	v_dual_add_f32 v8, v8, v3 :: v_dual_cndmask_b32 v7, 0x7f800000, v9
	v_add_f32_e32 v8, v8, v7
	s_delay_alu instid0(VALU_DEP_1) | instskip(SKIP_1) | instid1(VALU_DEP_2)
	v_div_scale_f32 v9, null, v8, v8, 1.0
	v_div_scale_f32 v12, vcc_lo, 1.0, v8, 1.0
	v_rcp_f32_e32 v10, v9
	s_waitcnt_depctr 0xfff
	v_fma_f32 v11, -v9, v10, 1.0
	s_delay_alu instid0(VALU_DEP_1) | instskip(NEXT) | instid1(VALU_DEP_1)
	v_fmac_f32_e32 v10, v11, v10
	v_mul_f32_e32 v11, v12, v10
	s_delay_alu instid0(VALU_DEP_1) | instskip(NEXT) | instid1(VALU_DEP_1)
	v_fma_f32 v13, -v9, v11, v12
	v_fmac_f32_e32 v11, v13, v10
	s_delay_alu instid0(VALU_DEP_1) | instskip(NEXT) | instid1(VALU_DEP_1)
	v_fma_f32 v9, -v9, v11, v12
	v_div_fmas_f32 v9, v9, v10, v11
	s_delay_alu instid0(VALU_DEP_1) | instskip(NEXT) | instid1(VALU_DEP_1)
	v_div_fixup_f32 v8, v9, v8, 1.0
	v_mul_f32_e32 v4, v8, v4
	v_mul_f32_e32 v0, v8, v0
	;; [unrolled: 1-line block ×3, first 2 shown]
	s_delay_alu instid0(VALU_DEP_2) | instskip(SKIP_4) | instid1(VALU_DEP_4)
	v_cmp_class_f32_e64 vcc_lo, v0, 0x1f8
	v_dual_mul_f32 v9, v8, v1 :: v_dual_cndmask_b32 v0, 0, v0
	v_cmp_class_f32_e64 vcc_lo, v4, 0x1f8
	v_dual_mul_f32 v10, v8, v2 :: v_dual_cndmask_b32 v1, 0, v4
	v_mul_f32_e32 v5, v8, v5
	v_cmp_class_f32_e64 vcc_lo, v9, 0x1f8
	v_dual_mul_f32 v11, v8, v3 :: v_dual_cndmask_b32 v2, 0, v9
	s_delay_alu instid0(VALU_DEP_3) | instskip(SKIP_3) | instid1(VALU_DEP_3)
	v_cmp_class_f32_e64 vcc_lo, v5, 0x1f8
	v_dual_mul_f32 v6, v8, v6 :: v_dual_cndmask_b32 v3, 0, v5
	v_cmp_class_f32_e64 vcc_lo, v10, 0x1f8
	v_cndmask_b32_e32 v4, 0, v10, vcc_lo
	v_cmp_class_f32_e64 vcc_lo, v6, 0x1f8
	v_cndmask_b32_e32 v5, 0, v6, vcc_lo
	;; [unrolled: 2-line block ×4, first 2 shown]
	s_cbranch_scc1 .LBB114_10
; %bb.4:
	s_load_b256 s[4:11], s[2:3], 0x0
	s_waitcnt lgkmcnt(0)
	v_dual_add_f32 v8, s4, v0 :: v_dual_add_f32 v9, s5, v1
	v_dual_add_f32 v10, s6, v2 :: v_dual_add_f32 v11, s7, v3
	v_dual_add_f32 v12, s8, v4 :: v_dual_add_f32 v13, s9, v5
	v_dual_add_f32 v14, s10, v6 :: v_dual_add_f32 v15, s11, v7
	s_cbranch_execnz .LBB114_6
.LBB114_5:
	v_dual_mov_b32 v15, v7 :: v_dual_mov_b32 v14, v6
	v_dual_mov_b32 v13, v5 :: v_dual_mov_b32 v12, v4
	;; [unrolled: 1-line block ×4, first 2 shown]
.LBB114_6:
	s_load_b128 s[4:7], s[0:1], 0x30
	s_waitcnt lgkmcnt(0)
	s_bitcmp1_b32 s7, 0
	s_mov_b32 s7, 0
	s_cselect_b32 vcc_lo, -1, 0
	s_cmp_gt_i32 s4, 0
	s_cselect_b32 s3, -1, 0
	s_cmp_lt_i32 s4, 1
	s_cbranch_scc1 .LBB114_11
; %bb.7:
	s_load_b128 s[8:11], s[0:1], 0x20
	v_mul_lo_u32 v18, v16, s4
	v_mov_b32_e32 v17, 0
	v_mov_b32_e32 v19, v16
.LBB114_8:                              ; =>This Inner Loop Header: Depth=1
	s_delay_alu instid0(VALU_DEP_1) | instskip(NEXT) | instid1(VALU_DEP_1)
	v_cmp_gt_f32_e64 s0, v9, v8
	v_cndmask_b32_e64 v20, v8, v9, s0
	v_cndmask_b32_e64 v21, v0, v1, s0
	;; [unrolled: 1-line block ×3, first 2 shown]
	s_delay_alu instid0(VALU_DEP_3) | instskip(NEXT) | instid1(VALU_DEP_1)
	v_cmp_gt_f32_e64 s1, v10, v20
	v_cndmask_b32_e64 v20, v20, v10, s1
	s_delay_alu instid0(VALU_DEP_4) | instskip(NEXT) | instid1(VALU_DEP_4)
	v_cndmask_b32_e64 v21, v21, v2, s1
	v_cndmask_b32_e64 v22, v22, 2, s1
	s_delay_alu instid0(VALU_DEP_3) | instskip(NEXT) | instid1(VALU_DEP_1)
	v_cmp_gt_f32_e64 s0, v11, v20
	v_cndmask_b32_e64 v20, v20, v11, s0
	s_delay_alu instid0(VALU_DEP_4) | instskip(NEXT) | instid1(VALU_DEP_4)
	v_cndmask_b32_e64 v21, v21, v3, s0
	v_cndmask_b32_e64 v22, v22, 3, s0
	;; [unrolled: 6-line block ×4, first 2 shown]
	s_delay_alu instid0(VALU_DEP_3) | instskip(NEXT) | instid1(VALU_DEP_1)
	v_cmp_gt_f32_e64 s1, v14, v20
	v_cndmask_b32_e64 v23, v20, v14, s1
	v_add_nc_u32_e32 v20, s7, v18
	v_cndmask_b32_e64 v24, v21, v6, s1
	v_cndmask_b32_e64 v22, v22, 6, s1
	s_add_i32 s7, s7, 1
	v_cmp_gt_f32_e64 s0, v15, v23
	v_ashrrev_i32_e32 v21, 31, v20
	s_delay_alu instid0(VALU_DEP_2) | instskip(NEXT) | instid1(VALU_DEP_2)
	v_cndmask_b32_e64 v29, v22, 7, s0
	v_lshlrev_b64 v[22:23], 2, v[20:21]
	v_cndmask_b32_e64 v28, v24, v7, s0
	v_lshlrev_b64 v[20:21], 3, v[20:21]
	s_delay_alu instid0(VALU_DEP_4) | instskip(SKIP_2) | instid1(VALU_DEP_1)
	v_subrev_nc_u32_e32 v26, s5, v29
	v_cmp_gt_i32_e64 s1, s6, v29
	v_add_co_u32 v24, s0, s12, v22
	v_add_co_ci_u32_e64 v25, s0, s13, v23, s0
	v_cmp_le_i32_e64 s0, s5, v29
	v_ashrrev_i32_e32 v27, 31, v26
	s_waitcnt lgkmcnt(0)
	v_add_co_u32 v22, s2, s10, v22
	s_delay_alu instid0(VALU_DEP_1)
	v_add_co_ci_u32_e64 v23, s2, s11, v23, s2
	s_and_b32 s0, s0, s1
	v_add_f32_e32 v30, v17, v28
	s_and_b32 s0, s15, s0
	global_store_b32 v[22:23], v19, off
	v_add_nc_u32_e32 v19, s14, v19
	v_cndmask_b32_e64 v27, 0, v27, s0
	v_cndmask_b32_e64 v26, 8, v26, s0
	v_add_co_u32 v20, s0, s8, v20
	s_delay_alu instid0(VALU_DEP_1)
	v_add_co_ci_u32_e64 v21, s0, s9, v21, s0
	v_cmp_ne_u32_e64 s0, 0, v29
	v_cndmask_b32_e32 v17, v17, v30, vcc_lo
	s_cmp_lt_i32 s7, s4
	global_store_b32 v[24:25], v28, off
	global_store_b64 v[20:21], v[26:27], off
	v_cndmask_b32_e64 v22, 0xc61c4000, v8, s0
	v_cmp_ne_u32_e64 s0, 1, v29
	s_delay_alu instid0(VALU_DEP_1) | instskip(SKIP_1) | instid1(VALU_DEP_1)
	v_cndmask_b32_e64 v23, 0xc61c4000, v9, s0
	v_cmp_ne_u32_e64 s0, 2, v29
	v_cndmask_b32_e64 v30, 0xc61c4000, v10, s0
	v_cmp_ne_u32_e64 s0, 3, v29
	s_delay_alu instid0(VALU_DEP_1) | instskip(SKIP_1) | instid1(VALU_DEP_1)
	v_cndmask_b32_e64 v31, 0xc61c4000, v11, s0
	v_cmp_ne_u32_e64 s0, 5, v29
	v_cndmask_b32_e64 v32, 0xc61c4000, v13, s0
	v_cmp_ne_u32_e64 s0, 7, v29
	s_delay_alu instid0(VALU_DEP_1) | instskip(SKIP_1) | instid1(VALU_DEP_1)
	v_cndmask_b32_e64 v33, 0xc61c4000, v15, s0
	v_cmp_ne_u32_e64 s0, 6, v29
	v_cndmask_b32_e64 v34, 0xc61c4000, v14, s0
	v_cmp_ne_u32_e64 s0, 4, v29
	s_delay_alu instid0(VALU_DEP_1)
	v_cndmask_b32_e64 v29, 0xc61c4000, v12, s0
	s_cselect_b32 s0, -1, 0
	s_cmp_eq_u32 s4, s7
	v_cndmask_b32_e64 v15, v15, v33, s0
	v_cndmask_b32_e64 v14, v14, v34, s0
	;; [unrolled: 1-line block ×8, first 2 shown]
	s_cbranch_scc0 .LBB114_8
; %bb.9:
	s_and_b32 vcc_lo, exec_lo, vcc_lo
	s_cbranch_vccnz .LBB114_12
	s_branch .LBB114_15
.LBB114_10:
                                        ; implicit-def: $vgpr8_vgpr9_vgpr10_vgpr11_vgpr12_vgpr13_vgpr14_vgpr15
	s_and_not1_b32 vcc_lo, exec_lo, s8
	s_cbranch_vccz .LBB114_5
	s_branch .LBB114_6
.LBB114_11:
	v_mov_b32_e32 v17, 0
	s_and_b32 vcc_lo, exec_lo, vcc_lo
	s_cbranch_vccz .LBB114_15
.LBB114_12:
	s_and_not1_b32 vcc_lo, exec_lo, s3
	s_cbranch_vccnz .LBB114_15
; %bb.13:
	v_mul_lo_u32 v0, v16, s4
	v_cmp_lt_f32_e32 vcc_lo, 0, v17
	v_cndmask_b32_e32 v2, 1.0, v17, vcc_lo
	s_delay_alu instid0(VALU_DEP_3) | instskip(NEXT) | instid1(VALU_DEP_1)
	v_ashrrev_i32_e32 v1, 31, v0
	v_lshlrev_b64 v[0:1], 2, v[0:1]
	s_delay_alu instid0(VALU_DEP_1) | instskip(NEXT) | instid1(VALU_DEP_2)
	v_add_co_u32 v0, vcc_lo, s12, v0
	v_add_co_ci_u32_e32 v1, vcc_lo, s13, v1, vcc_lo
	.p2align	6
.LBB114_14:                             ; =>This Inner Loop Header: Depth=1
	global_load_b32 v3, v[0:1], off
	s_add_i32 s4, s4, -1
	s_delay_alu instid0(SALU_CYCLE_1) | instskip(SKIP_3) | instid1(VALU_DEP_2)
	s_cmp_lg_u32 s4, 0
	s_waitcnt vmcnt(0)
	v_div_scale_f32 v4, null, v2, v2, v3
	v_div_scale_f32 v7, vcc_lo, v3, v2, v3
	v_rcp_f32_e32 v5, v4
	s_waitcnt_depctr 0xfff
	v_fma_f32 v6, -v4, v5, 1.0
	s_delay_alu instid0(VALU_DEP_1) | instskip(NEXT) | instid1(VALU_DEP_1)
	v_fmac_f32_e32 v5, v6, v5
	v_mul_f32_e32 v6, v7, v5
	s_delay_alu instid0(VALU_DEP_1) | instskip(NEXT) | instid1(VALU_DEP_1)
	v_fma_f32 v8, -v4, v6, v7
	v_fmac_f32_e32 v6, v8, v5
	s_delay_alu instid0(VALU_DEP_1) | instskip(NEXT) | instid1(VALU_DEP_1)
	v_fma_f32 v4, -v4, v6, v7
	v_div_fmas_f32 v4, v4, v5, v6
	s_delay_alu instid0(VALU_DEP_1)
	v_div_fixup_f32 v3, v4, v2, v3
	global_store_b32 v[0:1], v3, off
	v_add_co_u32 v0, vcc_lo, v0, 4
	v_add_co_ci_u32_e32 v1, vcc_lo, 0, v1, vcc_lo
	s_cbranch_scc1 .LBB114_14
.LBB114_15:
	s_nop 0
	s_sendmsg sendmsg(MSG_DEALLOC_VGPRS)
	s_endpgm
	.section	.rodata,"a",@progbits
	.p2align	6, 0x0
	.amdhsa_kernel _ZN4vllm3moe10topkGatingILi8ELi8ELi4ELi16ELi32El6__halfLNS0_11ScoringFuncE0EEEvPKT5_PKbPfiPT4_PiiiibPKf
		.amdhsa_group_segment_fixed_size 0
		.amdhsa_private_segment_fixed_size 0
		.amdhsa_kernarg_size 72
		.amdhsa_user_sgpr_count 15
		.amdhsa_user_sgpr_dispatch_ptr 0
		.amdhsa_user_sgpr_queue_ptr 0
		.amdhsa_user_sgpr_kernarg_segment_ptr 1
		.amdhsa_user_sgpr_dispatch_id 0
		.amdhsa_user_sgpr_private_segment_size 0
		.amdhsa_wavefront_size32 1
		.amdhsa_uses_dynamic_stack 0
		.amdhsa_enable_private_segment 0
		.amdhsa_system_sgpr_workgroup_id_x 1
		.amdhsa_system_sgpr_workgroup_id_y 0
		.amdhsa_system_sgpr_workgroup_id_z 0
		.amdhsa_system_sgpr_workgroup_info 0
		.amdhsa_system_vgpr_workitem_id 1
		.amdhsa_next_free_vgpr 35
		.amdhsa_next_free_sgpr 16
		.amdhsa_reserve_vcc 1
		.amdhsa_float_round_mode_32 0
		.amdhsa_float_round_mode_16_64 0
		.amdhsa_float_denorm_mode_32 3
		.amdhsa_float_denorm_mode_16_64 3
		.amdhsa_dx10_clamp 1
		.amdhsa_ieee_mode 1
		.amdhsa_fp16_overflow 0
		.amdhsa_workgroup_processor_mode 1
		.amdhsa_memory_ordered 1
		.amdhsa_forward_progress 0
		.amdhsa_shared_vgpr_count 0
		.amdhsa_exception_fp_ieee_invalid_op 0
		.amdhsa_exception_fp_denorm_src 0
		.amdhsa_exception_fp_ieee_div_zero 0
		.amdhsa_exception_fp_ieee_overflow 0
		.amdhsa_exception_fp_ieee_underflow 0
		.amdhsa_exception_fp_ieee_inexact 0
		.amdhsa_exception_int_div_zero 0
	.end_amdhsa_kernel
	.section	.text._ZN4vllm3moe10topkGatingILi8ELi8ELi4ELi16ELi32El6__halfLNS0_11ScoringFuncE0EEEvPKT5_PKbPfiPT4_PiiiibPKf,"axG",@progbits,_ZN4vllm3moe10topkGatingILi8ELi8ELi4ELi16ELi32El6__halfLNS0_11ScoringFuncE0EEEvPKT5_PKbPfiPT4_PiiiibPKf,comdat
.Lfunc_end114:
	.size	_ZN4vllm3moe10topkGatingILi8ELi8ELi4ELi16ELi32El6__halfLNS0_11ScoringFuncE0EEEvPKT5_PKbPfiPT4_PiiiibPKf, .Lfunc_end114-_ZN4vllm3moe10topkGatingILi8ELi8ELi4ELi16ELi32El6__halfLNS0_11ScoringFuncE0EEEvPKT5_PKbPfiPT4_PiiiibPKf
                                        ; -- End function
	.section	.AMDGPU.csdata,"",@progbits
; Kernel info:
; codeLenInByte = 2456
; NumSgprs: 18
; NumVgprs: 35
; ScratchSize: 0
; MemoryBound: 0
; FloatMode: 240
; IeeeMode: 1
; LDSByteSize: 0 bytes/workgroup (compile time only)
; SGPRBlocks: 2
; VGPRBlocks: 4
; NumSGPRsForWavesPerEU: 18
; NumVGPRsForWavesPerEU: 35
; Occupancy: 16
; WaveLimiterHint : 0
; COMPUTE_PGM_RSRC2:SCRATCH_EN: 0
; COMPUTE_PGM_RSRC2:USER_SGPR: 15
; COMPUTE_PGM_RSRC2:TRAP_HANDLER: 0
; COMPUTE_PGM_RSRC2:TGID_X_EN: 1
; COMPUTE_PGM_RSRC2:TGID_Y_EN: 0
; COMPUTE_PGM_RSRC2:TGID_Z_EN: 0
; COMPUTE_PGM_RSRC2:TIDIG_COMP_CNT: 1
	.section	.text._ZN4vllm3moe10topkGatingILi8ELi16ELi4ELi16ELi64El6__halfLNS0_11ScoringFuncE0EEEvPKT5_PKbPfiPT4_PiiiibPKf,"axG",@progbits,_ZN4vllm3moe10topkGatingILi8ELi16ELi4ELi16ELi64El6__halfLNS0_11ScoringFuncE0EEEvPKT5_PKbPfiPT4_PiiiibPKf,comdat
	.protected	_ZN4vllm3moe10topkGatingILi8ELi16ELi4ELi16ELi64El6__halfLNS0_11ScoringFuncE0EEEvPKT5_PKbPfiPT4_PiiiibPKf ; -- Begin function _ZN4vllm3moe10topkGatingILi8ELi16ELi4ELi16ELi64El6__halfLNS0_11ScoringFuncE0EEEvPKT5_PKbPfiPT4_PiiiibPKf
	.globl	_ZN4vllm3moe10topkGatingILi8ELi16ELi4ELi16ELi64El6__halfLNS0_11ScoringFuncE0EEEvPKT5_PKbPfiPT4_PiiiibPKf
	.p2align	8
	.type	_ZN4vllm3moe10topkGatingILi8ELi16ELi4ELi16ELi64El6__halfLNS0_11ScoringFuncE0EEEvPKT5_PKbPfiPT4_PiiiibPKf,@function
_ZN4vllm3moe10topkGatingILi8ELi16ELi4ELi16ELi64El6__halfLNS0_11ScoringFuncE0EEEvPKT5_PKbPfiPT4_PiiiibPKf: ; @_ZN4vllm3moe10topkGatingILi8ELi16ELi4ELi16ELi64El6__halfLNS0_11ScoringFuncE0EEEvPKT5_PKbPfiPT4_PiiiibPKf
; %bb.0:
	s_load_b32 s14, s[0:1], 0x18
	v_bfe_u32 v1, v0, 10, 10
	v_and_b32_e32 v0, 0x3ff, v0
	s_lshl_b32 s2, s15, 7
	s_delay_alu instid0(VALU_DEP_2) | instskip(NEXT) | instid1(VALU_DEP_2)
	v_lshlrev_b32_e32 v1, 5, v1
	v_lshrrev_b32_e32 v2, 1, v0
	s_delay_alu instid0(VALU_DEP_1) | instskip(SKIP_2) | instid1(VALU_DEP_1)
	v_add3_u32 v16, s2, v1, v2
	s_mov_b32 s2, exec_lo
	s_waitcnt lgkmcnt(0)
	v_cmpx_gt_i32_e64 s14, v16
	s_cbranch_execz .LBB115_25
; %bb.1:
	s_clause 0x1
	s_load_b128 s[4:7], s[0:1], 0x0
	s_load_b64 s[12:13], s[0:1], 0x10
	s_mov_b32 s8, -1
	s_mov_b32 s15, -1
	s_waitcnt lgkmcnt(0)
	s_cmp_eq_u64 s[6:7], 0
	s_cbranch_scc1 .LBB115_3
; %bb.2:
	v_ashrrev_i32_e32 v2, 31, v16
	v_add_co_u32 v1, vcc_lo, s6, v16
	s_delay_alu instid0(VALU_DEP_2) | instskip(SKIP_3) | instid1(VALU_DEP_1)
	v_add_co_ci_u32_e32 v2, vcc_lo, s7, v2, vcc_lo
	global_load_u8 v1, v[1:2], off
	s_waitcnt vmcnt(0)
	v_and_b32_e32 v1, 1, v1
	v_cmp_eq_u32_e32 vcc_lo, 1, v1
	s_xor_b32 s2, vcc_lo, -1
	s_delay_alu instid0(SALU_CYCLE_1)
	s_or_not1_b32 s15, s2, exec_lo
.LBB115_3:
	v_lshlrev_b32_e32 v1, 4, v16
	v_mbcnt_lo_u32_b32 v4, -1, 0
	s_load_b64 s[2:3], s[0:1], 0x40
	s_delay_alu instid0(VALU_DEP_2) | instskip(NEXT) | instid1(VALU_DEP_2)
	v_ashrrev_i32_e32 v2, 31, v1
	v_xor_b32_e32 v6, 1, v4
	v_and_b32_e32 v17, 1, v0
	v_and_b32_e32 v8, 30, v4
	s_delay_alu instid0(VALU_DEP_4) | instskip(NEXT) | instid1(VALU_DEP_3)
	v_lshlrev_b64 v[0:1], 1, v[1:2]
	v_lshlrev_b32_e32 v2, 4, v17
	s_delay_alu instid0(VALU_DEP_3) | instskip(NEXT) | instid1(VALU_DEP_3)
	v_add_nc_u32_e32 v8, 2, v8
	v_add_co_u32 v0, vcc_lo, s4, v0
	s_delay_alu instid0(VALU_DEP_4) | instskip(NEXT) | instid1(VALU_DEP_2)
	v_add_co_ci_u32_e32 v1, vcc_lo, s5, v1, vcc_lo
	v_add_co_u32 v0, vcc_lo, v0, v2
	s_delay_alu instid0(VALU_DEP_2)
	v_add_co_ci_u32_e32 v1, vcc_lo, 0, v1, vcc_lo
	v_cmp_lt_i32_e32 vcc_lo, v6, v8
	s_waitcnt lgkmcnt(0)
	s_cmp_eq_u64 s[2:3], 0
	global_load_b128 v[0:3], v[0:1], off
	v_cndmask_b32_e32 v4, v4, v6, vcc_lo
	s_delay_alu instid0(VALU_DEP_1)
	v_lshlrev_b32_e32 v18, 2, v4
	s_waitcnt vmcnt(0)
	v_lshrrev_b32_e32 v5, 16, v0
	v_cvt_f32_f16_e32 v0, v0
	v_lshrrev_b32_e32 v7, 16, v1
	v_cvt_f32_f16_e32 v1, v1
	;; [unrolled: 2-line block ×3, first 2 shown]
	v_cvt_f32_f16_e32 v2, v2
	v_cvt_f32_f16_e32 v7, v7
	v_lshrrev_b32_e32 v11, 16, v3
	v_cvt_f32_f16_e32 v9, v9
	v_max_f32_e32 v10, v0, v5
	v_cvt_f32_f16_e32 v3, v3
	s_delay_alu instid0(VALU_DEP_4) | instskip(NEXT) | instid1(VALU_DEP_3)
	v_cvt_f32_f16_e32 v6, v11
	v_max3_f32 v10, v10, v1, v7
	s_delay_alu instid0(VALU_DEP_1) | instskip(NEXT) | instid1(VALU_DEP_1)
	v_max3_f32 v8, v10, v2, v9
	v_max3_f32 v4, v8, v3, v6
	ds_bpermute_b32 v8, v18, v4
	s_waitcnt lgkmcnt(0)
	v_max_f32_e32 v8, v8, v8
	s_delay_alu instid0(VALU_DEP_1) | instskip(NEXT) | instid1(VALU_DEP_1)
	v_max_f32_e32 v4, v4, v8
	v_sub_f32_e32 v1, v1, v4
	s_delay_alu instid0(VALU_DEP_1) | instskip(NEXT) | instid1(VALU_DEP_1)
	v_mul_f32_e32 v10, 0x3fb8aa3b, v1
	v_fma_f32 v23, 0x3fb8aa3b, v1, -v10
	s_delay_alu instid0(VALU_DEP_1) | instskip(SKIP_2) | instid1(VALU_DEP_2)
	v_fmac_f32_e32 v23, 0x32a5705f, v1
	v_sub_f32_e32 v3, v3, v4
	v_sub_f32_e32 v7, v7, v4
	v_dual_sub_f32 v5, v5, v4 :: v_dual_mul_f32 v14, 0x3fb8aa3b, v3
	s_delay_alu instid0(VALU_DEP_2) | instskip(NEXT) | instid1(VALU_DEP_2)
	v_mul_f32_e32 v11, 0x3fb8aa3b, v7
	v_rndne_f32_e32 v32, v14
	s_delay_alu instid0(VALU_DEP_2) | instskip(SKIP_2) | instid1(VALU_DEP_3)
	v_rndne_f32_e32 v26, v11
	v_sub_f32_e32 v2, v2, v4
	v_fma_f32 v25, 0x3fb8aa3b, v7, -v11
	v_dual_sub_f32 v0, v0, v4 :: v_dual_sub_f32 v11, v11, v26
	s_delay_alu instid0(VALU_DEP_3) | instskip(NEXT) | instid1(VALU_DEP_3)
	v_mul_f32_e32 v12, 0x3fb8aa3b, v2
	v_fmac_f32_e32 v25, 0x32a5705f, v7
	s_delay_alu instid0(VALU_DEP_3) | instskip(SKIP_1) | instid1(VALU_DEP_4)
	v_cmp_ngt_f32_e32 vcc_lo, 0xc2ce8ed0, v0
	v_cvt_i32_f32_e32 v26, v26
	v_fma_f32 v27, 0x3fb8aa3b, v2, -v12
	v_dual_sub_f32 v8, v9, v4 :: v_dual_mul_f32 v9, 0x3fb8aa3b, v5
	v_rndne_f32_e32 v28, v12
	v_add_f32_e32 v11, v11, v25
	s_delay_alu instid0(VALU_DEP_4) | instskip(NEXT) | instid1(VALU_DEP_4)
	v_fmac_f32_e32 v27, 0x32a5705f, v2
	v_mul_f32_e32 v13, 0x3fb8aa3b, v8
	v_fma_f32 v21, 0x3fb8aa3b, v5, -v9
	v_rndne_f32_e32 v22, v9
	v_rndne_f32_e32 v24, v10
	v_sub_f32_e32 v12, v12, v28
	v_rndne_f32_e32 v30, v13
	v_dual_sub_f32 v4, v6, v4 :: v_dual_fmac_f32 v21, 0x32a5705f, v5
	v_sub_f32_e32 v9, v9, v22
	v_fma_f32 v29, 0x3fb8aa3b, v8, -v13
	s_delay_alu instid0(VALU_DEP_4) | instskip(SKIP_1) | instid1(VALU_DEP_4)
	v_dual_sub_f32 v13, v13, v30 :: v_dual_sub_f32 v10, v10, v24
	v_cvt_i32_f32_e32 v22, v22
	v_add_f32_e32 v9, v9, v21
	v_mul_f32_e32 v15, 0x3fb8aa3b, v4
	v_exp_f32_e32 v11, v11
	v_add_f32_e32 v10, v10, v23
	v_cvt_i32_f32_e32 v24, v24
	v_exp_f32_e32 v9, v9
	v_rndne_f32_e32 v34, v15
	v_mul_f32_e32 v6, 0x3fb8aa3b, v0
	v_fma_f32 v33, 0x3fb8aa3b, v4, -v15
	v_add_f32_e32 v12, v12, v27
	v_exp_f32_e32 v10, v10
	v_sub_f32_e32 v15, v15, v34
	v_fma_f32 v19, 0x3fb8aa3b, v0, -v6
	v_rndne_f32_e32 v20, v6
	v_ldexp_f32 v11, v11, v26
	v_ldexp_f32 v9, v9, v22
	v_exp_f32_e32 v12, v12
	v_fmac_f32_e32 v19, 0x32a5705f, v0
	v_sub_f32_e32 v6, v6, v20
	v_cvt_i32_f32_e32 v20, v20
	v_ldexp_f32 v10, v10, v24
	v_cvt_i32_f32_e32 v28, v28
	v_cvt_i32_f32_e32 v30, v30
	v_add_f32_e32 v6, v6, v19
	v_fma_f32 v31, 0x3fb8aa3b, v3, -v14
	v_sub_f32_e32 v14, v14, v32
	v_ldexp_f32 v12, v12, v28
	v_cvt_i32_f32_e32 v19, v32
	v_exp_f32_e32 v6, v6
	v_fmac_f32_e32 v31, 0x32a5705f, v3
	v_fmac_f32_e32 v29, 0x32a5705f, v8
	v_cvt_i32_f32_e32 v21, v34
	s_delay_alu instid0(VALU_DEP_2)
	v_dual_add_f32 v14, v14, v31 :: v_dual_add_f32 v13, v13, v29
	s_waitcnt_depctr 0xfff
	v_ldexp_f32 v6, v6, v20
	v_fmac_f32_e32 v33, 0x32a5705f, v4
	v_exp_f32_e32 v13, v13
	v_exp_f32_e32 v14, v14
	s_delay_alu instid0(VALU_DEP_2) | instskip(SKIP_4) | instid1(TRANS32_DEP_2)
	v_cndmask_b32_e32 v6, 0, v6, vcc_lo
	v_cmp_ngt_f32_e32 vcc_lo, 0xc2ce8ed0, v5
	v_cndmask_b32_e32 v9, 0, v9, vcc_lo
	v_cmp_ngt_f32_e32 vcc_lo, 0xc2ce8ed0, v1
	v_add_f32_e32 v15, v15, v33
	v_ldexp_f32 v13, v13, v30
	s_delay_alu instid0(TRANS32_DEP_1)
	v_ldexp_f32 v14, v14, v19
	v_cndmask_b32_e32 v10, 0, v10, vcc_lo
	v_cmp_nlt_f32_e32 vcc_lo, 0x42b17218, v0
	v_exp_f32_e32 v15, v15
	v_cndmask_b32_e32 v0, 0x7f800000, v6, vcc_lo
	v_cmp_nlt_f32_e32 vcc_lo, 0x42b17218, v5
	v_cndmask_b32_e32 v5, 0x7f800000, v9, vcc_lo
	v_cmp_ngt_f32_e32 vcc_lo, 0xc2ce8ed0, v7
	s_waitcnt_depctr 0xfff
	v_ldexp_f32 v15, v15, v21
	v_cndmask_b32_e32 v6, 0, v11, vcc_lo
	v_cmp_nlt_f32_e32 vcc_lo, 0x42b17218, v1
	v_cndmask_b32_e32 v1, 0x7f800000, v10, vcc_lo
	v_cmp_ngt_f32_e32 vcc_lo, 0xc2ce8ed0, v2
	v_dual_add_f32 v9, v0, v5 :: v_dual_cndmask_b32 v10, 0, v12
	v_cmp_nlt_f32_e32 vcc_lo, 0x42b17218, v7
	s_delay_alu instid0(VALU_DEP_2)
	v_dual_add_f32 v7, v9, v1 :: v_dual_cndmask_b32 v6, 0x7f800000, v6
	v_cmp_ngt_f32_e32 vcc_lo, 0xc2ce8ed0, v8
	v_cndmask_b32_e32 v9, 0, v13, vcc_lo
	v_cmp_nlt_f32_e32 vcc_lo, 0x42b17218, v2
	v_cndmask_b32_e32 v2, 0x7f800000, v10, vcc_lo
	v_cmp_ngt_f32_e32 vcc_lo, 0xc2ce8ed0, v3
	v_cndmask_b32_e32 v10, 0, v14, vcc_lo
	v_cmp_nlt_f32_e32 vcc_lo, 0x42b17218, v8
	v_dual_add_f32 v7, v7, v6 :: v_dual_cndmask_b32 v8, 0x7f800000, v9
	v_cmp_ngt_f32_e32 vcc_lo, 0xc2ce8ed0, v4
	v_cndmask_b32_e32 v9, 0, v15, vcc_lo
	v_cmp_nlt_f32_e32 vcc_lo, 0x42b17218, v3
	v_cndmask_b32_e32 v3, 0x7f800000, v10, vcc_lo
	v_cmp_nlt_f32_e32 vcc_lo, 0x42b17218, v4
	s_delay_alu instid0(VALU_DEP_4) | instskip(NEXT) | instid1(VALU_DEP_1)
	v_dual_add_f32 v7, v7, v2 :: v_dual_cndmask_b32 v4, 0x7f800000, v9
	v_add_f32_e32 v7, v7, v8
	s_delay_alu instid0(VALU_DEP_1) | instskip(NEXT) | instid1(VALU_DEP_1)
	v_add_f32_e32 v7, v7, v3
	v_add_f32_e32 v7, v7, v4
	ds_bpermute_b32 v9, v18, v7
	s_waitcnt lgkmcnt(0)
	v_add_f32_e32 v7, v7, v9
	s_delay_alu instid0(VALU_DEP_1) | instskip(SKIP_1) | instid1(VALU_DEP_2)
	v_div_scale_f32 v9, null, v7, v7, 1.0
	v_div_scale_f32 v12, vcc_lo, 1.0, v7, 1.0
	v_rcp_f32_e32 v10, v9
	s_waitcnt_depctr 0xfff
	v_fma_f32 v11, -v9, v10, 1.0
	s_delay_alu instid0(VALU_DEP_1) | instskip(NEXT) | instid1(VALU_DEP_1)
	v_fmac_f32_e32 v10, v11, v10
	v_mul_f32_e32 v11, v12, v10
	s_delay_alu instid0(VALU_DEP_1) | instskip(NEXT) | instid1(VALU_DEP_1)
	v_fma_f32 v13, -v9, v11, v12
	v_fmac_f32_e32 v11, v13, v10
	s_delay_alu instid0(VALU_DEP_1) | instskip(NEXT) | instid1(VALU_DEP_1)
	v_fma_f32 v9, -v9, v11, v12
	v_div_fmas_f32 v9, v9, v10, v11
	s_delay_alu instid0(VALU_DEP_1) | instskip(NEXT) | instid1(VALU_DEP_1)
	v_div_fixup_f32 v7, v9, v7, 1.0
	v_dual_mul_f32 v10, v7, v2 :: v_dual_lshlrev_b32 v19, 3, v17
	v_mul_f32_e32 v0, v7, v0
	v_mul_f32_e32 v5, v7, v5
	;; [unrolled: 1-line block ×5, first 2 shown]
	v_cmp_class_f32_e64 vcc_lo, v0, 0x1f8
	v_mul_f32_e32 v6, v7, v6
	v_mul_f32_e32 v7, v7, v4
	v_cndmask_b32_e32 v0, 0, v0, vcc_lo
	v_cmp_class_f32_e64 vcc_lo, v5, 0x1f8
	v_cndmask_b32_e32 v1, 0, v5, vcc_lo
	v_cmp_class_f32_e64 vcc_lo, v9, 0x1f8
	;; [unrolled: 2-line block ×7, first 2 shown]
	v_cndmask_b32_e32 v7, 0, v7, vcc_lo
	s_cbranch_scc1 .LBB115_19
; %bb.4:
	v_lshlrev_b32_e32 v12, 2, v19
	s_clause 0x1
	global_load_b128 v[8:11], v12, s[2:3]
	global_load_b128 v[12:15], v12, s[2:3] offset:16
	s_waitcnt vmcnt(1)
	v_dual_add_f32 v9, v9, v1 :: v_dual_add_f32 v8, v8, v0
	v_dual_add_f32 v11, v11, v3 :: v_dual_add_f32 v10, v10, v2
	s_waitcnt vmcnt(0)
	v_dual_add_f32 v13, v13, v5 :: v_dual_add_f32 v12, v12, v4
	v_dual_add_f32 v15, v15, v7 :: v_dual_add_f32 v14, v14, v6
	s_cbranch_execnz .LBB115_6
.LBB115_5:
	v_dual_mov_b32 v15, v7 :: v_dual_mov_b32 v14, v6
	v_dual_mov_b32 v13, v5 :: v_dual_mov_b32 v12, v4
	;; [unrolled: 1-line block ×4, first 2 shown]
.LBB115_6:
	s_load_b128 s[4:7], s[0:1], 0x30
	v_cmp_eq_u32_e64 s2, 0, v17
	s_waitcnt lgkmcnt(0)
	s_bitcmp1_b32 s7, 0
	s_mov_b32 s7, 0
	s_cselect_b32 vcc_lo, -1, 0
	s_cmp_gt_i32 s4, 0
	s_cselect_b32 s3, -1, 0
	s_cmp_lt_i32 s4, 1
	s_cbranch_scc1 .LBB115_20
; %bb.7:
	s_load_b128 s[8:11], s[0:1], 0x20
	v_mul_lo_u32 v21, v16, s4
	v_mov_b32_e32 v20, 0
	v_mov_b32_e32 v22, v16
	s_branch .LBB115_10
.LBB115_8:                              ;   in Loop: Header=BB115_10 Depth=1
	s_or_b32 exec_lo, exec_lo, s1
.LBB115_9:                              ;   in Loop: Header=BB115_10 Depth=1
	v_add_nc_u32_e32 v22, s14, v22
	s_cmp_eq_u32 s4, s7
	s_cbranch_scc1 .LBB115_21
.LBB115_10:                             ; =>This Inner Loop Header: Depth=1
	v_cmp_gt_f32_e64 s0, v9, v8
	s_mov_b32 s17, exec_lo
	s_delay_alu instid0(VALU_DEP_1) | instskip(SKIP_2) | instid1(VALU_DEP_3)
	v_cndmask_b32_e64 v23, v8, v9, s0
	v_cndmask_b32_e64 v24, 0, 1, s0
	;; [unrolled: 1-line block ×3, first 2 shown]
	v_cmp_gt_f32_e64 s1, v10, v23
	s_delay_alu instid0(VALU_DEP_1) | instskip(NEXT) | instid1(VALU_DEP_4)
	v_cndmask_b32_e64 v23, v23, v10, s1
	v_cndmask_b32_e64 v24, v24, 2, s1
	s_delay_alu instid0(VALU_DEP_4) | instskip(NEXT) | instid1(VALU_DEP_3)
	v_cndmask_b32_e64 v25, v25, v2, s1
	v_cmp_gt_f32_e64 s0, v11, v23
	s_delay_alu instid0(VALU_DEP_1) | instskip(NEXT) | instid1(VALU_DEP_4)
	v_cndmask_b32_e64 v23, v23, v11, s0
	v_cndmask_b32_e64 v24, v24, 3, s0
	s_delay_alu instid0(VALU_DEP_4) | instskip(NEXT) | instid1(VALU_DEP_3)
	v_cndmask_b32_e64 v25, v25, v3, s0
	;; [unrolled: 6-line block ×5, first 2 shown]
	v_cmp_gt_f32_e64 s0, v15, v23
	s_delay_alu instid0(VALU_DEP_1) | instskip(NEXT) | instid1(VALU_DEP_4)
	v_cndmask_b32_e64 v27, v23, v15, s0
	v_cndmask_b32_e64 v23, v24, 7, s0
	s_delay_alu instid0(VALU_DEP_4)
	v_cndmask_b32_e64 v24, v25, v7, s0
	ds_bpermute_b32 v28, v18, v27
	v_or_b32_e32 v23, v19, v23
	ds_bpermute_b32 v26, v18, v24
	ds_bpermute_b32 v25, v18, v23
	s_waitcnt lgkmcnt(0)
	v_cmp_lt_f32_e64 s16, v27, v28
	v_cmpx_nlt_f32_e32 v27, v28
	s_cbranch_execnz .LBB115_14
; %bb.11:                               ;   in Loop: Header=BB115_10 Depth=1
	s_or_b32 exec_lo, exec_lo, s17
	s_delay_alu instid0(VALU_DEP_2)
	s_and_saveexec_b32 s0, s16
	s_cbranch_execnz .LBB115_15
.LBB115_12:                             ;   in Loop: Header=BB115_10 Depth=1
	s_or_b32 exec_lo, exec_lo, s0
	s_and_saveexec_b32 s16, s2
	s_cbranch_execnz .LBB115_16
.LBB115_13:                             ;   in Loop: Header=BB115_10 Depth=1
	s_or_b32 exec_lo, exec_lo, s16
	s_add_i32 s7, s7, 1
	s_delay_alu instid0(SALU_CYCLE_1)
	s_cmp_ge_i32 s7, s4
	s_cbranch_scc1 .LBB115_9
	s_branch .LBB115_17
.LBB115_14:                             ;   in Loop: Header=BB115_10 Depth=1
	v_cmp_eq_f32_e64 s0, v27, v28
	v_cmp_lt_i32_e64 s1, v25, v23
	s_delay_alu instid0(VALU_DEP_1) | instskip(SKIP_2) | instid1(SALU_CYCLE_1)
	s_and_b32 s0, s0, s1
	s_and_not1_b32 s1, s16, exec_lo
	s_and_b32 s0, s0, exec_lo
	s_or_b32 s16, s1, s0
	s_or_b32 exec_lo, exec_lo, s17
	s_and_saveexec_b32 s0, s16
	s_cbranch_execz .LBB115_12
.LBB115_15:                             ;   in Loop: Header=BB115_10 Depth=1
	v_dual_mov_b32 v24, v26 :: v_dual_mov_b32 v23, v25
	s_or_b32 exec_lo, exec_lo, s0
	s_and_saveexec_b32 s16, s2
	s_cbranch_execz .LBB115_13
.LBB115_16:                             ;   in Loop: Header=BB115_10 Depth=1
	v_add_nc_u32_e32 v25, s7, v21
	v_subrev_nc_u32_e32 v29, s5, v23
	v_cmp_le_i32_e64 s0, s5, v23
	v_cmp_gt_i32_e64 s1, s6, v23
	v_add_f32_e32 v33, v20, v24
	v_ashrrev_i32_e32 v26, 31, v25
	v_ashrrev_i32_e32 v30, 31, v29
	s_delay_alu instid0(VALU_DEP_4) | instskip(NEXT) | instid1(VALU_DEP_3)
	s_and_b32 s0, s0, s1
	v_cndmask_b32_e32 v20, v20, v33, vcc_lo
	s_delay_alu instid0(VALU_DEP_3) | instskip(SKIP_2) | instid1(SALU_CYCLE_1)
	v_lshlrev_b64 v[27:28], 2, v[25:26]
	v_lshlrev_b64 v[25:26], 3, v[25:26]
	s_and_b32 s0, s15, s0
	v_cndmask_b32_e64 v30, 0, v30, s0
	v_cndmask_b32_e64 v29, 16, v29, s0
	s_delay_alu instid0(VALU_DEP_4) | instskip(NEXT) | instid1(VALU_DEP_1)
	v_add_co_u32 v31, s0, s12, v27
	v_add_co_ci_u32_e64 v32, s0, s13, v28, s0
	v_add_co_u32 v25, s0, s8, v25
	s_delay_alu instid0(VALU_DEP_1) | instskip(SKIP_1) | instid1(VALU_DEP_1)
	v_add_co_ci_u32_e64 v26, s0, s9, v26, s0
	v_add_co_u32 v27, s0, s10, v27
	v_add_co_ci_u32_e64 v28, s0, s11, v28, s0
	global_store_b32 v[31:32], v24, off
	global_store_b64 v[25:26], v[29:30], off
	global_store_b32 v[27:28], v22, off
	s_or_b32 exec_lo, exec_lo, s16
	s_add_i32 s7, s7, 1
	s_delay_alu instid0(SALU_CYCLE_1)
	s_cmp_ge_i32 s7, s4
	s_cbranch_scc1 .LBB115_9
.LBB115_17:                             ;   in Loop: Header=BB115_10 Depth=1
	v_ashrrev_i32_e32 v25, 31, v23
	s_mov_b32 s1, exec_lo
	s_delay_alu instid0(VALU_DEP_1) | instskip(NEXT) | instid1(VALU_DEP_1)
	v_lshrrev_b32_e32 v24, 29, v25
	v_add_nc_u32_e32 v26, v23, v24
	s_delay_alu instid0(VALU_DEP_1) | instskip(SKIP_1) | instid1(VALU_DEP_1)
	v_ashrrev_i32_e32 v24, 3, v26
	v_lshrrev_b32_e32 v26, 31, v26
	v_add_nc_u32_e32 v26, v24, v26
	s_delay_alu instid0(VALU_DEP_1) | instskip(NEXT) | instid1(VALU_DEP_1)
	v_and_b32_e32 v26, -2, v26
	v_sub_nc_u32_e32 v26, v24, v26
	s_delay_alu instid0(VALU_DEP_1)
	v_cmpx_eq_u32_e64 v17, v26
	s_cbranch_execz .LBB115_8
; %bb.18:                               ;   in Loop: Header=BB115_10 Depth=1
	v_lshrrev_b32_e32 v25, 28, v25
	v_lshlrev_b32_e32 v24, 3, v24
	s_delay_alu instid0(VALU_DEP_2) | instskip(NEXT) | instid1(VALU_DEP_2)
	v_add_nc_u32_e32 v25, v23, v25
	v_sub_nc_u32_e32 v23, v23, v24
	s_delay_alu instid0(VALU_DEP_2) | instskip(NEXT) | instid1(VALU_DEP_1)
	v_ashrrev_i32_e32 v24, 4, v25
	v_lshl_add_u32 v23, v24, 3, v23
	s_delay_alu instid0(VALU_DEP_1) | instskip(NEXT) | instid1(VALU_DEP_1)
	v_cmp_ne_u32_e64 s0, 7, v23
	v_cndmask_b32_e64 v15, 0xc61c4000, v15, s0
	v_cmp_ne_u32_e64 s0, 6, v23
	s_delay_alu instid0(VALU_DEP_1) | instskip(SKIP_1) | instid1(VALU_DEP_1)
	v_cndmask_b32_e64 v14, 0xc61c4000, v14, s0
	v_cmp_ne_u32_e64 s0, 5, v23
	v_cndmask_b32_e64 v13, 0xc61c4000, v13, s0
	v_cmp_ne_u32_e64 s0, 4, v23
	s_delay_alu instid0(VALU_DEP_1) | instskip(SKIP_1) | instid1(VALU_DEP_1)
	v_cndmask_b32_e64 v12, 0xc61c4000, v12, s0
	;; [unrolled: 5-line block ×3, first 2 shown]
	v_cmp_ne_u32_e64 s0, 1, v23
	v_cndmask_b32_e64 v9, 0xc61c4000, v9, s0
	v_cmp_ne_u32_e64 s0, 0, v23
	s_delay_alu instid0(VALU_DEP_1)
	v_cndmask_b32_e64 v8, 0xc61c4000, v8, s0
	s_branch .LBB115_8
.LBB115_19:
                                        ; implicit-def: $vgpr8_vgpr9_vgpr10_vgpr11_vgpr12_vgpr13_vgpr14_vgpr15
	s_and_not1_b32 vcc_lo, exec_lo, s8
	s_cbranch_vccz .LBB115_5
	s_branch .LBB115_6
.LBB115_20:
	v_mov_b32_e32 v20, 0
.LBB115_21:
	v_cmp_eq_u32_e64 s0, 0, v17
	s_delay_alu instid0(VALU_DEP_1) | instskip(NEXT) | instid1(SALU_CYCLE_1)
	s_and_b32 s0, s0, vcc_lo
	s_and_b32 exec_lo, exec_lo, s0
	s_cbranch_execz .LBB115_25
; %bb.22:
	s_and_not1_b32 vcc_lo, exec_lo, s3
	s_cbranch_vccnz .LBB115_25
; %bb.23:
	v_mul_lo_u32 v0, v16, s4
	v_cmp_lt_f32_e32 vcc_lo, 0, v20
	v_cndmask_b32_e32 v2, 1.0, v20, vcc_lo
	s_delay_alu instid0(VALU_DEP_3) | instskip(NEXT) | instid1(VALU_DEP_1)
	v_ashrrev_i32_e32 v1, 31, v0
	v_lshlrev_b64 v[0:1], 2, v[0:1]
	s_delay_alu instid0(VALU_DEP_1) | instskip(NEXT) | instid1(VALU_DEP_2)
	v_add_co_u32 v0, vcc_lo, s12, v0
	v_add_co_ci_u32_e32 v1, vcc_lo, s13, v1, vcc_lo
	.p2align	6
.LBB115_24:                             ; =>This Inner Loop Header: Depth=1
	global_load_b32 v3, v[0:1], off
	s_add_i32 s4, s4, -1
	s_delay_alu instid0(SALU_CYCLE_1) | instskip(SKIP_3) | instid1(VALU_DEP_2)
	s_cmp_lg_u32 s4, 0
	s_waitcnt vmcnt(0)
	v_div_scale_f32 v4, null, v2, v2, v3
	v_div_scale_f32 v7, vcc_lo, v3, v2, v3
	v_rcp_f32_e32 v5, v4
	s_waitcnt_depctr 0xfff
	v_fma_f32 v6, -v4, v5, 1.0
	s_delay_alu instid0(VALU_DEP_1) | instskip(NEXT) | instid1(VALU_DEP_1)
	v_fmac_f32_e32 v5, v6, v5
	v_mul_f32_e32 v6, v7, v5
	s_delay_alu instid0(VALU_DEP_1) | instskip(NEXT) | instid1(VALU_DEP_1)
	v_fma_f32 v8, -v4, v6, v7
	v_fmac_f32_e32 v6, v8, v5
	s_delay_alu instid0(VALU_DEP_1) | instskip(NEXT) | instid1(VALU_DEP_1)
	v_fma_f32 v4, -v4, v6, v7
	v_div_fmas_f32 v4, v4, v5, v6
	s_delay_alu instid0(VALU_DEP_1)
	v_div_fixup_f32 v3, v4, v2, v3
	global_store_b32 v[0:1], v3, off
	v_add_co_u32 v0, vcc_lo, v0, 4
	v_add_co_ci_u32_e32 v1, vcc_lo, 0, v1, vcc_lo
	s_cbranch_scc1 .LBB115_24
.LBB115_25:
	s_nop 0
	s_sendmsg sendmsg(MSG_DEALLOC_VGPRS)
	s_endpgm
	.section	.rodata,"a",@progbits
	.p2align	6, 0x0
	.amdhsa_kernel _ZN4vllm3moe10topkGatingILi8ELi16ELi4ELi16ELi64El6__halfLNS0_11ScoringFuncE0EEEvPKT5_PKbPfiPT4_PiiiibPKf
		.amdhsa_group_segment_fixed_size 0
		.amdhsa_private_segment_fixed_size 0
		.amdhsa_kernarg_size 72
		.amdhsa_user_sgpr_count 15
		.amdhsa_user_sgpr_dispatch_ptr 0
		.amdhsa_user_sgpr_queue_ptr 0
		.amdhsa_user_sgpr_kernarg_segment_ptr 1
		.amdhsa_user_sgpr_dispatch_id 0
		.amdhsa_user_sgpr_private_segment_size 0
		.amdhsa_wavefront_size32 1
		.amdhsa_uses_dynamic_stack 0
		.amdhsa_enable_private_segment 0
		.amdhsa_system_sgpr_workgroup_id_x 1
		.amdhsa_system_sgpr_workgroup_id_y 0
		.amdhsa_system_sgpr_workgroup_id_z 0
		.amdhsa_system_sgpr_workgroup_info 0
		.amdhsa_system_vgpr_workitem_id 1
		.amdhsa_next_free_vgpr 35
		.amdhsa_next_free_sgpr 18
		.amdhsa_reserve_vcc 1
		.amdhsa_float_round_mode_32 0
		.amdhsa_float_round_mode_16_64 0
		.amdhsa_float_denorm_mode_32 3
		.amdhsa_float_denorm_mode_16_64 3
		.amdhsa_dx10_clamp 1
		.amdhsa_ieee_mode 1
		.amdhsa_fp16_overflow 0
		.amdhsa_workgroup_processor_mode 1
		.amdhsa_memory_ordered 1
		.amdhsa_forward_progress 0
		.amdhsa_shared_vgpr_count 0
		.amdhsa_exception_fp_ieee_invalid_op 0
		.amdhsa_exception_fp_denorm_src 0
		.amdhsa_exception_fp_ieee_div_zero 0
		.amdhsa_exception_fp_ieee_overflow 0
		.amdhsa_exception_fp_ieee_underflow 0
		.amdhsa_exception_fp_ieee_inexact 0
		.amdhsa_exception_int_div_zero 0
	.end_amdhsa_kernel
	.section	.text._ZN4vllm3moe10topkGatingILi8ELi16ELi4ELi16ELi64El6__halfLNS0_11ScoringFuncE0EEEvPKT5_PKbPfiPT4_PiiiibPKf,"axG",@progbits,_ZN4vllm3moe10topkGatingILi8ELi16ELi4ELi16ELi64El6__halfLNS0_11ScoringFuncE0EEEvPKT5_PKbPfiPT4_PiiiibPKf,comdat
.Lfunc_end115:
	.size	_ZN4vllm3moe10topkGatingILi8ELi16ELi4ELi16ELi64El6__halfLNS0_11ScoringFuncE0EEEvPKT5_PKbPfiPT4_PiiiibPKf, .Lfunc_end115-_ZN4vllm3moe10topkGatingILi8ELi16ELi4ELi16ELi64El6__halfLNS0_11ScoringFuncE0EEEvPKT5_PKbPfiPT4_PiiiibPKf
                                        ; -- End function
	.section	.AMDGPU.csdata,"",@progbits
; Kernel info:
; codeLenInByte = 2840
; NumSgprs: 20
; NumVgprs: 35
; ScratchSize: 0
; MemoryBound: 0
; FloatMode: 240
; IeeeMode: 1
; LDSByteSize: 0 bytes/workgroup (compile time only)
; SGPRBlocks: 2
; VGPRBlocks: 4
; NumSGPRsForWavesPerEU: 20
; NumVGPRsForWavesPerEU: 35
; Occupancy: 16
; WaveLimiterHint : 0
; COMPUTE_PGM_RSRC2:SCRATCH_EN: 0
; COMPUTE_PGM_RSRC2:USER_SGPR: 15
; COMPUTE_PGM_RSRC2:TRAP_HANDLER: 0
; COMPUTE_PGM_RSRC2:TGID_X_EN: 1
; COMPUTE_PGM_RSRC2:TGID_Y_EN: 0
; COMPUTE_PGM_RSRC2:TGID_Z_EN: 0
; COMPUTE_PGM_RSRC2:TIDIG_COMP_CNT: 1
	.section	.text._ZN4vllm3moe10topkGatingILi8ELi16ELi4ELi16ELi32El6__halfLNS0_11ScoringFuncE0EEEvPKT5_PKbPfiPT4_PiiiibPKf,"axG",@progbits,_ZN4vllm3moe10topkGatingILi8ELi16ELi4ELi16ELi32El6__halfLNS0_11ScoringFuncE0EEEvPKT5_PKbPfiPT4_PiiiibPKf,comdat
	.protected	_ZN4vllm3moe10topkGatingILi8ELi16ELi4ELi16ELi32El6__halfLNS0_11ScoringFuncE0EEEvPKT5_PKbPfiPT4_PiiiibPKf ; -- Begin function _ZN4vllm3moe10topkGatingILi8ELi16ELi4ELi16ELi32El6__halfLNS0_11ScoringFuncE0EEEvPKT5_PKbPfiPT4_PiiiibPKf
	.globl	_ZN4vllm3moe10topkGatingILi8ELi16ELi4ELi16ELi32El6__halfLNS0_11ScoringFuncE0EEEvPKT5_PKbPfiPT4_PiiiibPKf
	.p2align	8
	.type	_ZN4vllm3moe10topkGatingILi8ELi16ELi4ELi16ELi32El6__halfLNS0_11ScoringFuncE0EEEvPKT5_PKbPfiPT4_PiiiibPKf,@function
_ZN4vllm3moe10topkGatingILi8ELi16ELi4ELi16ELi32El6__halfLNS0_11ScoringFuncE0EEEvPKT5_PKbPfiPT4_PiiiibPKf: ; @_ZN4vllm3moe10topkGatingILi8ELi16ELi4ELi16ELi32El6__halfLNS0_11ScoringFuncE0EEEvPKT5_PKbPfiPT4_PiiiibPKf
; %bb.0:
	s_load_b32 s14, s[0:1], 0x18
	v_bfe_u32 v1, v0, 10, 10
	v_and_b32_e32 v0, 0x3ff, v0
	s_lshl_b32 s2, s15, 6
	s_delay_alu instid0(VALU_DEP_2) | instskip(NEXT) | instid1(VALU_DEP_2)
	v_lshlrev_b32_e32 v1, 4, v1
	v_lshrrev_b32_e32 v2, 1, v0
	s_delay_alu instid0(VALU_DEP_1) | instskip(SKIP_2) | instid1(VALU_DEP_1)
	v_add3_u32 v16, s2, v1, v2
	s_mov_b32 s2, exec_lo
	s_waitcnt lgkmcnt(0)
	v_cmpx_gt_i32_e64 s14, v16
	s_cbranch_execz .LBB116_25
; %bb.1:
	s_clause 0x1
	s_load_b128 s[4:7], s[0:1], 0x0
	s_load_b64 s[12:13], s[0:1], 0x10
	s_mov_b32 s8, -1
	s_mov_b32 s15, -1
	s_waitcnt lgkmcnt(0)
	s_cmp_eq_u64 s[6:7], 0
	s_cbranch_scc1 .LBB116_3
; %bb.2:
	v_ashrrev_i32_e32 v2, 31, v16
	v_add_co_u32 v1, vcc_lo, s6, v16
	s_delay_alu instid0(VALU_DEP_2) | instskip(SKIP_3) | instid1(VALU_DEP_1)
	v_add_co_ci_u32_e32 v2, vcc_lo, s7, v2, vcc_lo
	global_load_u8 v1, v[1:2], off
	s_waitcnt vmcnt(0)
	v_and_b32_e32 v1, 1, v1
	v_cmp_eq_u32_e32 vcc_lo, 1, v1
	s_xor_b32 s2, vcc_lo, -1
	s_delay_alu instid0(SALU_CYCLE_1)
	s_or_not1_b32 s15, s2, exec_lo
.LBB116_3:
	v_lshlrev_b32_e32 v1, 4, v16
	v_mbcnt_lo_u32_b32 v4, -1, 0
	s_load_b64 s[2:3], s[0:1], 0x40
	s_delay_alu instid0(VALU_DEP_2) | instskip(NEXT) | instid1(VALU_DEP_2)
	v_ashrrev_i32_e32 v2, 31, v1
	v_xor_b32_e32 v6, 1, v4
	v_and_b32_e32 v17, 1, v0
	v_and_b32_e32 v8, 30, v4
	s_delay_alu instid0(VALU_DEP_4) | instskip(NEXT) | instid1(VALU_DEP_3)
	v_lshlrev_b64 v[0:1], 1, v[1:2]
	v_lshlrev_b32_e32 v2, 4, v17
	s_delay_alu instid0(VALU_DEP_3) | instskip(NEXT) | instid1(VALU_DEP_3)
	v_add_nc_u32_e32 v8, 2, v8
	v_add_co_u32 v0, vcc_lo, s4, v0
	s_delay_alu instid0(VALU_DEP_4) | instskip(NEXT) | instid1(VALU_DEP_2)
	v_add_co_ci_u32_e32 v1, vcc_lo, s5, v1, vcc_lo
	v_add_co_u32 v0, vcc_lo, v0, v2
	s_delay_alu instid0(VALU_DEP_2)
	v_add_co_ci_u32_e32 v1, vcc_lo, 0, v1, vcc_lo
	v_cmp_lt_i32_e32 vcc_lo, v6, v8
	s_waitcnt lgkmcnt(0)
	s_cmp_eq_u64 s[2:3], 0
	global_load_b128 v[0:3], v[0:1], off
	v_cndmask_b32_e32 v4, v4, v6, vcc_lo
	s_delay_alu instid0(VALU_DEP_1)
	v_lshlrev_b32_e32 v18, 2, v4
	s_waitcnt vmcnt(0)
	v_lshrrev_b32_e32 v5, 16, v0
	v_cvt_f32_f16_e32 v0, v0
	v_lshrrev_b32_e32 v7, 16, v1
	v_cvt_f32_f16_e32 v1, v1
	;; [unrolled: 2-line block ×3, first 2 shown]
	v_cvt_f32_f16_e32 v2, v2
	v_cvt_f32_f16_e32 v7, v7
	v_lshrrev_b32_e32 v11, 16, v3
	v_cvt_f32_f16_e32 v9, v9
	v_max_f32_e32 v10, v0, v5
	v_cvt_f32_f16_e32 v3, v3
	s_delay_alu instid0(VALU_DEP_4) | instskip(NEXT) | instid1(VALU_DEP_3)
	v_cvt_f32_f16_e32 v6, v11
	v_max3_f32 v10, v10, v1, v7
	s_delay_alu instid0(VALU_DEP_1) | instskip(NEXT) | instid1(VALU_DEP_1)
	v_max3_f32 v8, v10, v2, v9
	v_max3_f32 v4, v8, v3, v6
	ds_bpermute_b32 v8, v18, v4
	s_waitcnt lgkmcnt(0)
	v_max_f32_e32 v8, v8, v8
	s_delay_alu instid0(VALU_DEP_1) | instskip(NEXT) | instid1(VALU_DEP_1)
	v_max_f32_e32 v4, v4, v8
	v_sub_f32_e32 v1, v1, v4
	s_delay_alu instid0(VALU_DEP_1) | instskip(NEXT) | instid1(VALU_DEP_1)
	v_mul_f32_e32 v10, 0x3fb8aa3b, v1
	v_fma_f32 v23, 0x3fb8aa3b, v1, -v10
	s_delay_alu instid0(VALU_DEP_1) | instskip(SKIP_2) | instid1(VALU_DEP_2)
	v_fmac_f32_e32 v23, 0x32a5705f, v1
	v_sub_f32_e32 v3, v3, v4
	v_sub_f32_e32 v7, v7, v4
	v_dual_sub_f32 v5, v5, v4 :: v_dual_mul_f32 v14, 0x3fb8aa3b, v3
	s_delay_alu instid0(VALU_DEP_2) | instskip(NEXT) | instid1(VALU_DEP_2)
	v_mul_f32_e32 v11, 0x3fb8aa3b, v7
	v_rndne_f32_e32 v32, v14
	s_delay_alu instid0(VALU_DEP_2) | instskip(SKIP_2) | instid1(VALU_DEP_3)
	v_rndne_f32_e32 v26, v11
	v_sub_f32_e32 v2, v2, v4
	v_fma_f32 v25, 0x3fb8aa3b, v7, -v11
	v_dual_sub_f32 v0, v0, v4 :: v_dual_sub_f32 v11, v11, v26
	s_delay_alu instid0(VALU_DEP_3) | instskip(NEXT) | instid1(VALU_DEP_3)
	v_mul_f32_e32 v12, 0x3fb8aa3b, v2
	v_fmac_f32_e32 v25, 0x32a5705f, v7
	s_delay_alu instid0(VALU_DEP_3) | instskip(SKIP_1) | instid1(VALU_DEP_4)
	v_cmp_ngt_f32_e32 vcc_lo, 0xc2ce8ed0, v0
	v_cvt_i32_f32_e32 v26, v26
	v_fma_f32 v27, 0x3fb8aa3b, v2, -v12
	v_dual_sub_f32 v8, v9, v4 :: v_dual_mul_f32 v9, 0x3fb8aa3b, v5
	v_rndne_f32_e32 v28, v12
	v_add_f32_e32 v11, v11, v25
	s_delay_alu instid0(VALU_DEP_4) | instskip(NEXT) | instid1(VALU_DEP_4)
	v_fmac_f32_e32 v27, 0x32a5705f, v2
	v_mul_f32_e32 v13, 0x3fb8aa3b, v8
	v_fma_f32 v21, 0x3fb8aa3b, v5, -v9
	v_rndne_f32_e32 v22, v9
	v_rndne_f32_e32 v24, v10
	v_sub_f32_e32 v12, v12, v28
	v_rndne_f32_e32 v30, v13
	v_dual_sub_f32 v4, v6, v4 :: v_dual_fmac_f32 v21, 0x32a5705f, v5
	v_sub_f32_e32 v9, v9, v22
	v_fma_f32 v29, 0x3fb8aa3b, v8, -v13
	s_delay_alu instid0(VALU_DEP_4) | instskip(SKIP_1) | instid1(VALU_DEP_4)
	v_dual_sub_f32 v13, v13, v30 :: v_dual_sub_f32 v10, v10, v24
	v_cvt_i32_f32_e32 v22, v22
	v_add_f32_e32 v9, v9, v21
	v_mul_f32_e32 v15, 0x3fb8aa3b, v4
	v_exp_f32_e32 v11, v11
	v_add_f32_e32 v10, v10, v23
	v_cvt_i32_f32_e32 v24, v24
	v_exp_f32_e32 v9, v9
	v_rndne_f32_e32 v34, v15
	v_mul_f32_e32 v6, 0x3fb8aa3b, v0
	v_fma_f32 v33, 0x3fb8aa3b, v4, -v15
	v_add_f32_e32 v12, v12, v27
	v_exp_f32_e32 v10, v10
	v_sub_f32_e32 v15, v15, v34
	v_fma_f32 v19, 0x3fb8aa3b, v0, -v6
	v_rndne_f32_e32 v20, v6
	v_ldexp_f32 v11, v11, v26
	v_ldexp_f32 v9, v9, v22
	v_exp_f32_e32 v12, v12
	v_fmac_f32_e32 v19, 0x32a5705f, v0
	v_sub_f32_e32 v6, v6, v20
	v_cvt_i32_f32_e32 v20, v20
	v_ldexp_f32 v10, v10, v24
	v_cvt_i32_f32_e32 v28, v28
	v_cvt_i32_f32_e32 v30, v30
	v_add_f32_e32 v6, v6, v19
	v_fma_f32 v31, 0x3fb8aa3b, v3, -v14
	v_sub_f32_e32 v14, v14, v32
	v_ldexp_f32 v12, v12, v28
	v_cvt_i32_f32_e32 v19, v32
	v_exp_f32_e32 v6, v6
	v_fmac_f32_e32 v31, 0x32a5705f, v3
	v_fmac_f32_e32 v29, 0x32a5705f, v8
	v_cvt_i32_f32_e32 v21, v34
	s_delay_alu instid0(VALU_DEP_2)
	v_dual_add_f32 v14, v14, v31 :: v_dual_add_f32 v13, v13, v29
	s_waitcnt_depctr 0xfff
	v_ldexp_f32 v6, v6, v20
	v_fmac_f32_e32 v33, 0x32a5705f, v4
	v_exp_f32_e32 v13, v13
	v_exp_f32_e32 v14, v14
	s_delay_alu instid0(VALU_DEP_2) | instskip(SKIP_4) | instid1(TRANS32_DEP_2)
	v_cndmask_b32_e32 v6, 0, v6, vcc_lo
	v_cmp_ngt_f32_e32 vcc_lo, 0xc2ce8ed0, v5
	v_cndmask_b32_e32 v9, 0, v9, vcc_lo
	v_cmp_ngt_f32_e32 vcc_lo, 0xc2ce8ed0, v1
	v_add_f32_e32 v15, v15, v33
	v_ldexp_f32 v13, v13, v30
	s_delay_alu instid0(TRANS32_DEP_1)
	v_ldexp_f32 v14, v14, v19
	v_cndmask_b32_e32 v10, 0, v10, vcc_lo
	v_cmp_nlt_f32_e32 vcc_lo, 0x42b17218, v0
	v_exp_f32_e32 v15, v15
	v_cndmask_b32_e32 v0, 0x7f800000, v6, vcc_lo
	v_cmp_nlt_f32_e32 vcc_lo, 0x42b17218, v5
	v_cndmask_b32_e32 v5, 0x7f800000, v9, vcc_lo
	v_cmp_ngt_f32_e32 vcc_lo, 0xc2ce8ed0, v7
	s_waitcnt_depctr 0xfff
	v_ldexp_f32 v15, v15, v21
	v_cndmask_b32_e32 v6, 0, v11, vcc_lo
	v_cmp_nlt_f32_e32 vcc_lo, 0x42b17218, v1
	v_cndmask_b32_e32 v1, 0x7f800000, v10, vcc_lo
	v_cmp_ngt_f32_e32 vcc_lo, 0xc2ce8ed0, v2
	v_dual_add_f32 v9, v0, v5 :: v_dual_cndmask_b32 v10, 0, v12
	v_cmp_nlt_f32_e32 vcc_lo, 0x42b17218, v7
	s_delay_alu instid0(VALU_DEP_2)
	v_dual_add_f32 v7, v9, v1 :: v_dual_cndmask_b32 v6, 0x7f800000, v6
	v_cmp_ngt_f32_e32 vcc_lo, 0xc2ce8ed0, v8
	v_cndmask_b32_e32 v9, 0, v13, vcc_lo
	v_cmp_nlt_f32_e32 vcc_lo, 0x42b17218, v2
	v_cndmask_b32_e32 v2, 0x7f800000, v10, vcc_lo
	v_cmp_ngt_f32_e32 vcc_lo, 0xc2ce8ed0, v3
	v_cndmask_b32_e32 v10, 0, v14, vcc_lo
	v_cmp_nlt_f32_e32 vcc_lo, 0x42b17218, v8
	v_dual_add_f32 v7, v7, v6 :: v_dual_cndmask_b32 v8, 0x7f800000, v9
	v_cmp_ngt_f32_e32 vcc_lo, 0xc2ce8ed0, v4
	v_cndmask_b32_e32 v9, 0, v15, vcc_lo
	v_cmp_nlt_f32_e32 vcc_lo, 0x42b17218, v3
	v_cndmask_b32_e32 v3, 0x7f800000, v10, vcc_lo
	v_cmp_nlt_f32_e32 vcc_lo, 0x42b17218, v4
	s_delay_alu instid0(VALU_DEP_4) | instskip(NEXT) | instid1(VALU_DEP_1)
	v_dual_add_f32 v7, v7, v2 :: v_dual_cndmask_b32 v4, 0x7f800000, v9
	v_add_f32_e32 v7, v7, v8
	s_delay_alu instid0(VALU_DEP_1) | instskip(NEXT) | instid1(VALU_DEP_1)
	v_add_f32_e32 v7, v7, v3
	v_add_f32_e32 v7, v7, v4
	ds_bpermute_b32 v9, v18, v7
	s_waitcnt lgkmcnt(0)
	v_add_f32_e32 v7, v7, v9
	s_delay_alu instid0(VALU_DEP_1) | instskip(SKIP_1) | instid1(VALU_DEP_2)
	v_div_scale_f32 v9, null, v7, v7, 1.0
	v_div_scale_f32 v12, vcc_lo, 1.0, v7, 1.0
	v_rcp_f32_e32 v10, v9
	s_waitcnt_depctr 0xfff
	v_fma_f32 v11, -v9, v10, 1.0
	s_delay_alu instid0(VALU_DEP_1) | instskip(NEXT) | instid1(VALU_DEP_1)
	v_fmac_f32_e32 v10, v11, v10
	v_mul_f32_e32 v11, v12, v10
	s_delay_alu instid0(VALU_DEP_1) | instskip(NEXT) | instid1(VALU_DEP_1)
	v_fma_f32 v13, -v9, v11, v12
	v_fmac_f32_e32 v11, v13, v10
	s_delay_alu instid0(VALU_DEP_1) | instskip(NEXT) | instid1(VALU_DEP_1)
	v_fma_f32 v9, -v9, v11, v12
	v_div_fmas_f32 v9, v9, v10, v11
	s_delay_alu instid0(VALU_DEP_1) | instskip(NEXT) | instid1(VALU_DEP_1)
	v_div_fixup_f32 v7, v9, v7, 1.0
	v_dual_mul_f32 v10, v7, v2 :: v_dual_lshlrev_b32 v19, 3, v17
	v_mul_f32_e32 v0, v7, v0
	v_mul_f32_e32 v5, v7, v5
	;; [unrolled: 1-line block ×5, first 2 shown]
	v_cmp_class_f32_e64 vcc_lo, v0, 0x1f8
	v_mul_f32_e32 v6, v7, v6
	v_mul_f32_e32 v7, v7, v4
	v_cndmask_b32_e32 v0, 0, v0, vcc_lo
	v_cmp_class_f32_e64 vcc_lo, v5, 0x1f8
	v_cndmask_b32_e32 v1, 0, v5, vcc_lo
	v_cmp_class_f32_e64 vcc_lo, v9, 0x1f8
	;; [unrolled: 2-line block ×7, first 2 shown]
	v_cndmask_b32_e32 v7, 0, v7, vcc_lo
	s_cbranch_scc1 .LBB116_19
; %bb.4:
	v_lshlrev_b32_e32 v12, 2, v19
	s_clause 0x1
	global_load_b128 v[8:11], v12, s[2:3]
	global_load_b128 v[12:15], v12, s[2:3] offset:16
	s_waitcnt vmcnt(1)
	v_dual_add_f32 v9, v9, v1 :: v_dual_add_f32 v8, v8, v0
	v_dual_add_f32 v11, v11, v3 :: v_dual_add_f32 v10, v10, v2
	s_waitcnt vmcnt(0)
	v_dual_add_f32 v13, v13, v5 :: v_dual_add_f32 v12, v12, v4
	v_dual_add_f32 v15, v15, v7 :: v_dual_add_f32 v14, v14, v6
	s_cbranch_execnz .LBB116_6
.LBB116_5:
	v_dual_mov_b32 v15, v7 :: v_dual_mov_b32 v14, v6
	v_dual_mov_b32 v13, v5 :: v_dual_mov_b32 v12, v4
	;; [unrolled: 1-line block ×4, first 2 shown]
.LBB116_6:
	s_load_b128 s[4:7], s[0:1], 0x30
	v_cmp_eq_u32_e64 s2, 0, v17
	s_waitcnt lgkmcnt(0)
	s_bitcmp1_b32 s7, 0
	s_mov_b32 s7, 0
	s_cselect_b32 vcc_lo, -1, 0
	s_cmp_gt_i32 s4, 0
	s_cselect_b32 s3, -1, 0
	s_cmp_lt_i32 s4, 1
	s_cbranch_scc1 .LBB116_20
; %bb.7:
	s_load_b128 s[8:11], s[0:1], 0x20
	v_mul_lo_u32 v21, v16, s4
	v_mov_b32_e32 v20, 0
	v_mov_b32_e32 v22, v16
	s_branch .LBB116_10
.LBB116_8:                              ;   in Loop: Header=BB116_10 Depth=1
	s_or_b32 exec_lo, exec_lo, s1
.LBB116_9:                              ;   in Loop: Header=BB116_10 Depth=1
	v_add_nc_u32_e32 v22, s14, v22
	s_cmp_eq_u32 s4, s7
	s_cbranch_scc1 .LBB116_21
.LBB116_10:                             ; =>This Inner Loop Header: Depth=1
	v_cmp_gt_f32_e64 s0, v9, v8
	s_mov_b32 s17, exec_lo
	s_delay_alu instid0(VALU_DEP_1) | instskip(SKIP_2) | instid1(VALU_DEP_3)
	v_cndmask_b32_e64 v23, v8, v9, s0
	v_cndmask_b32_e64 v24, 0, 1, s0
	;; [unrolled: 1-line block ×3, first 2 shown]
	v_cmp_gt_f32_e64 s1, v10, v23
	s_delay_alu instid0(VALU_DEP_1) | instskip(NEXT) | instid1(VALU_DEP_4)
	v_cndmask_b32_e64 v23, v23, v10, s1
	v_cndmask_b32_e64 v24, v24, 2, s1
	s_delay_alu instid0(VALU_DEP_4) | instskip(NEXT) | instid1(VALU_DEP_3)
	v_cndmask_b32_e64 v25, v25, v2, s1
	v_cmp_gt_f32_e64 s0, v11, v23
	s_delay_alu instid0(VALU_DEP_1) | instskip(NEXT) | instid1(VALU_DEP_4)
	v_cndmask_b32_e64 v23, v23, v11, s0
	v_cndmask_b32_e64 v24, v24, 3, s0
	s_delay_alu instid0(VALU_DEP_4) | instskip(NEXT) | instid1(VALU_DEP_3)
	v_cndmask_b32_e64 v25, v25, v3, s0
	;; [unrolled: 6-line block ×5, first 2 shown]
	v_cmp_gt_f32_e64 s0, v15, v23
	s_delay_alu instid0(VALU_DEP_1) | instskip(NEXT) | instid1(VALU_DEP_4)
	v_cndmask_b32_e64 v27, v23, v15, s0
	v_cndmask_b32_e64 v23, v24, 7, s0
	s_delay_alu instid0(VALU_DEP_4)
	v_cndmask_b32_e64 v24, v25, v7, s0
	ds_bpermute_b32 v28, v18, v27
	v_or_b32_e32 v23, v19, v23
	ds_bpermute_b32 v26, v18, v24
	ds_bpermute_b32 v25, v18, v23
	s_waitcnt lgkmcnt(0)
	v_cmp_lt_f32_e64 s16, v27, v28
	v_cmpx_nlt_f32_e32 v27, v28
	s_cbranch_execnz .LBB116_14
; %bb.11:                               ;   in Loop: Header=BB116_10 Depth=1
	s_or_b32 exec_lo, exec_lo, s17
	s_delay_alu instid0(VALU_DEP_2)
	s_and_saveexec_b32 s0, s16
	s_cbranch_execnz .LBB116_15
.LBB116_12:                             ;   in Loop: Header=BB116_10 Depth=1
	s_or_b32 exec_lo, exec_lo, s0
	s_and_saveexec_b32 s16, s2
	s_cbranch_execnz .LBB116_16
.LBB116_13:                             ;   in Loop: Header=BB116_10 Depth=1
	s_or_b32 exec_lo, exec_lo, s16
	s_add_i32 s7, s7, 1
	s_delay_alu instid0(SALU_CYCLE_1)
	s_cmp_ge_i32 s7, s4
	s_cbranch_scc1 .LBB116_9
	s_branch .LBB116_17
.LBB116_14:                             ;   in Loop: Header=BB116_10 Depth=1
	v_cmp_eq_f32_e64 s0, v27, v28
	v_cmp_lt_i32_e64 s1, v25, v23
	s_delay_alu instid0(VALU_DEP_1) | instskip(SKIP_2) | instid1(SALU_CYCLE_1)
	s_and_b32 s0, s0, s1
	s_and_not1_b32 s1, s16, exec_lo
	s_and_b32 s0, s0, exec_lo
	s_or_b32 s16, s1, s0
	s_or_b32 exec_lo, exec_lo, s17
	s_and_saveexec_b32 s0, s16
	s_cbranch_execz .LBB116_12
.LBB116_15:                             ;   in Loop: Header=BB116_10 Depth=1
	v_dual_mov_b32 v24, v26 :: v_dual_mov_b32 v23, v25
	s_or_b32 exec_lo, exec_lo, s0
	s_and_saveexec_b32 s16, s2
	s_cbranch_execz .LBB116_13
.LBB116_16:                             ;   in Loop: Header=BB116_10 Depth=1
	v_add_nc_u32_e32 v25, s7, v21
	v_subrev_nc_u32_e32 v29, s5, v23
	v_cmp_le_i32_e64 s0, s5, v23
	v_cmp_gt_i32_e64 s1, s6, v23
	v_add_f32_e32 v33, v20, v24
	v_ashrrev_i32_e32 v26, 31, v25
	v_ashrrev_i32_e32 v30, 31, v29
	s_delay_alu instid0(VALU_DEP_4) | instskip(NEXT) | instid1(VALU_DEP_3)
	s_and_b32 s0, s0, s1
	v_cndmask_b32_e32 v20, v20, v33, vcc_lo
	s_delay_alu instid0(VALU_DEP_3) | instskip(SKIP_2) | instid1(SALU_CYCLE_1)
	v_lshlrev_b64 v[27:28], 2, v[25:26]
	v_lshlrev_b64 v[25:26], 3, v[25:26]
	s_and_b32 s0, s15, s0
	v_cndmask_b32_e64 v30, 0, v30, s0
	v_cndmask_b32_e64 v29, 16, v29, s0
	s_delay_alu instid0(VALU_DEP_4) | instskip(NEXT) | instid1(VALU_DEP_1)
	v_add_co_u32 v31, s0, s12, v27
	v_add_co_ci_u32_e64 v32, s0, s13, v28, s0
	v_add_co_u32 v25, s0, s8, v25
	s_delay_alu instid0(VALU_DEP_1) | instskip(SKIP_1) | instid1(VALU_DEP_1)
	v_add_co_ci_u32_e64 v26, s0, s9, v26, s0
	v_add_co_u32 v27, s0, s10, v27
	v_add_co_ci_u32_e64 v28, s0, s11, v28, s0
	global_store_b32 v[31:32], v24, off
	global_store_b64 v[25:26], v[29:30], off
	global_store_b32 v[27:28], v22, off
	s_or_b32 exec_lo, exec_lo, s16
	s_add_i32 s7, s7, 1
	s_delay_alu instid0(SALU_CYCLE_1)
	s_cmp_ge_i32 s7, s4
	s_cbranch_scc1 .LBB116_9
.LBB116_17:                             ;   in Loop: Header=BB116_10 Depth=1
	v_ashrrev_i32_e32 v25, 31, v23
	s_mov_b32 s1, exec_lo
	s_delay_alu instid0(VALU_DEP_1) | instskip(NEXT) | instid1(VALU_DEP_1)
	v_lshrrev_b32_e32 v24, 29, v25
	v_add_nc_u32_e32 v26, v23, v24
	s_delay_alu instid0(VALU_DEP_1) | instskip(SKIP_1) | instid1(VALU_DEP_1)
	v_ashrrev_i32_e32 v24, 3, v26
	v_lshrrev_b32_e32 v26, 31, v26
	v_add_nc_u32_e32 v26, v24, v26
	s_delay_alu instid0(VALU_DEP_1) | instskip(NEXT) | instid1(VALU_DEP_1)
	v_and_b32_e32 v26, -2, v26
	v_sub_nc_u32_e32 v26, v24, v26
	s_delay_alu instid0(VALU_DEP_1)
	v_cmpx_eq_u32_e64 v17, v26
	s_cbranch_execz .LBB116_8
; %bb.18:                               ;   in Loop: Header=BB116_10 Depth=1
	v_lshrrev_b32_e32 v25, 28, v25
	v_lshlrev_b32_e32 v24, 3, v24
	s_delay_alu instid0(VALU_DEP_2) | instskip(NEXT) | instid1(VALU_DEP_2)
	v_add_nc_u32_e32 v25, v23, v25
	v_sub_nc_u32_e32 v23, v23, v24
	s_delay_alu instid0(VALU_DEP_2) | instskip(NEXT) | instid1(VALU_DEP_1)
	v_ashrrev_i32_e32 v24, 4, v25
	v_lshl_add_u32 v23, v24, 3, v23
	s_delay_alu instid0(VALU_DEP_1) | instskip(NEXT) | instid1(VALU_DEP_1)
	v_cmp_ne_u32_e64 s0, 7, v23
	v_cndmask_b32_e64 v15, 0xc61c4000, v15, s0
	v_cmp_ne_u32_e64 s0, 6, v23
	s_delay_alu instid0(VALU_DEP_1) | instskip(SKIP_1) | instid1(VALU_DEP_1)
	v_cndmask_b32_e64 v14, 0xc61c4000, v14, s0
	v_cmp_ne_u32_e64 s0, 5, v23
	v_cndmask_b32_e64 v13, 0xc61c4000, v13, s0
	v_cmp_ne_u32_e64 s0, 4, v23
	s_delay_alu instid0(VALU_DEP_1) | instskip(SKIP_1) | instid1(VALU_DEP_1)
	v_cndmask_b32_e64 v12, 0xc61c4000, v12, s0
	;; [unrolled: 5-line block ×3, first 2 shown]
	v_cmp_ne_u32_e64 s0, 1, v23
	v_cndmask_b32_e64 v9, 0xc61c4000, v9, s0
	v_cmp_ne_u32_e64 s0, 0, v23
	s_delay_alu instid0(VALU_DEP_1)
	v_cndmask_b32_e64 v8, 0xc61c4000, v8, s0
	s_branch .LBB116_8
.LBB116_19:
                                        ; implicit-def: $vgpr8_vgpr9_vgpr10_vgpr11_vgpr12_vgpr13_vgpr14_vgpr15
	s_and_not1_b32 vcc_lo, exec_lo, s8
	s_cbranch_vccz .LBB116_5
	s_branch .LBB116_6
.LBB116_20:
	v_mov_b32_e32 v20, 0
.LBB116_21:
	v_cmp_eq_u32_e64 s0, 0, v17
	s_delay_alu instid0(VALU_DEP_1) | instskip(NEXT) | instid1(SALU_CYCLE_1)
	s_and_b32 s0, s0, vcc_lo
	s_and_b32 exec_lo, exec_lo, s0
	s_cbranch_execz .LBB116_25
; %bb.22:
	s_and_not1_b32 vcc_lo, exec_lo, s3
	s_cbranch_vccnz .LBB116_25
; %bb.23:
	v_mul_lo_u32 v0, v16, s4
	v_cmp_lt_f32_e32 vcc_lo, 0, v20
	v_cndmask_b32_e32 v2, 1.0, v20, vcc_lo
	s_delay_alu instid0(VALU_DEP_3) | instskip(NEXT) | instid1(VALU_DEP_1)
	v_ashrrev_i32_e32 v1, 31, v0
	v_lshlrev_b64 v[0:1], 2, v[0:1]
	s_delay_alu instid0(VALU_DEP_1) | instskip(NEXT) | instid1(VALU_DEP_2)
	v_add_co_u32 v0, vcc_lo, s12, v0
	v_add_co_ci_u32_e32 v1, vcc_lo, s13, v1, vcc_lo
	.p2align	6
.LBB116_24:                             ; =>This Inner Loop Header: Depth=1
	global_load_b32 v3, v[0:1], off
	s_add_i32 s4, s4, -1
	s_delay_alu instid0(SALU_CYCLE_1) | instskip(SKIP_3) | instid1(VALU_DEP_2)
	s_cmp_lg_u32 s4, 0
	s_waitcnt vmcnt(0)
	v_div_scale_f32 v4, null, v2, v2, v3
	v_div_scale_f32 v7, vcc_lo, v3, v2, v3
	v_rcp_f32_e32 v5, v4
	s_waitcnt_depctr 0xfff
	v_fma_f32 v6, -v4, v5, 1.0
	s_delay_alu instid0(VALU_DEP_1) | instskip(NEXT) | instid1(VALU_DEP_1)
	v_fmac_f32_e32 v5, v6, v5
	v_mul_f32_e32 v6, v7, v5
	s_delay_alu instid0(VALU_DEP_1) | instskip(NEXT) | instid1(VALU_DEP_1)
	v_fma_f32 v8, -v4, v6, v7
	v_fmac_f32_e32 v6, v8, v5
	s_delay_alu instid0(VALU_DEP_1) | instskip(NEXT) | instid1(VALU_DEP_1)
	v_fma_f32 v4, -v4, v6, v7
	v_div_fmas_f32 v4, v4, v5, v6
	s_delay_alu instid0(VALU_DEP_1)
	v_div_fixup_f32 v3, v4, v2, v3
	global_store_b32 v[0:1], v3, off
	v_add_co_u32 v0, vcc_lo, v0, 4
	v_add_co_ci_u32_e32 v1, vcc_lo, 0, v1, vcc_lo
	s_cbranch_scc1 .LBB116_24
.LBB116_25:
	s_nop 0
	s_sendmsg sendmsg(MSG_DEALLOC_VGPRS)
	s_endpgm
	.section	.rodata,"a",@progbits
	.p2align	6, 0x0
	.amdhsa_kernel _ZN4vllm3moe10topkGatingILi8ELi16ELi4ELi16ELi32El6__halfLNS0_11ScoringFuncE0EEEvPKT5_PKbPfiPT4_PiiiibPKf
		.amdhsa_group_segment_fixed_size 0
		.amdhsa_private_segment_fixed_size 0
		.amdhsa_kernarg_size 72
		.amdhsa_user_sgpr_count 15
		.amdhsa_user_sgpr_dispatch_ptr 0
		.amdhsa_user_sgpr_queue_ptr 0
		.amdhsa_user_sgpr_kernarg_segment_ptr 1
		.amdhsa_user_sgpr_dispatch_id 0
		.amdhsa_user_sgpr_private_segment_size 0
		.amdhsa_wavefront_size32 1
		.amdhsa_uses_dynamic_stack 0
		.amdhsa_enable_private_segment 0
		.amdhsa_system_sgpr_workgroup_id_x 1
		.amdhsa_system_sgpr_workgroup_id_y 0
		.amdhsa_system_sgpr_workgroup_id_z 0
		.amdhsa_system_sgpr_workgroup_info 0
		.amdhsa_system_vgpr_workitem_id 1
		.amdhsa_next_free_vgpr 35
		.amdhsa_next_free_sgpr 18
		.amdhsa_reserve_vcc 1
		.amdhsa_float_round_mode_32 0
		.amdhsa_float_round_mode_16_64 0
		.amdhsa_float_denorm_mode_32 3
		.amdhsa_float_denorm_mode_16_64 3
		.amdhsa_dx10_clamp 1
		.amdhsa_ieee_mode 1
		.amdhsa_fp16_overflow 0
		.amdhsa_workgroup_processor_mode 1
		.amdhsa_memory_ordered 1
		.amdhsa_forward_progress 0
		.amdhsa_shared_vgpr_count 0
		.amdhsa_exception_fp_ieee_invalid_op 0
		.amdhsa_exception_fp_denorm_src 0
		.amdhsa_exception_fp_ieee_div_zero 0
		.amdhsa_exception_fp_ieee_overflow 0
		.amdhsa_exception_fp_ieee_underflow 0
		.amdhsa_exception_fp_ieee_inexact 0
		.amdhsa_exception_int_div_zero 0
	.end_amdhsa_kernel
	.section	.text._ZN4vllm3moe10topkGatingILi8ELi16ELi4ELi16ELi32El6__halfLNS0_11ScoringFuncE0EEEvPKT5_PKbPfiPT4_PiiiibPKf,"axG",@progbits,_ZN4vllm3moe10topkGatingILi8ELi16ELi4ELi16ELi32El6__halfLNS0_11ScoringFuncE0EEEvPKT5_PKbPfiPT4_PiiiibPKf,comdat
.Lfunc_end116:
	.size	_ZN4vllm3moe10topkGatingILi8ELi16ELi4ELi16ELi32El6__halfLNS0_11ScoringFuncE0EEEvPKT5_PKbPfiPT4_PiiiibPKf, .Lfunc_end116-_ZN4vllm3moe10topkGatingILi8ELi16ELi4ELi16ELi32El6__halfLNS0_11ScoringFuncE0EEEvPKT5_PKbPfiPT4_PiiiibPKf
                                        ; -- End function
	.section	.AMDGPU.csdata,"",@progbits
; Kernel info:
; codeLenInByte = 2840
; NumSgprs: 20
; NumVgprs: 35
; ScratchSize: 0
; MemoryBound: 0
; FloatMode: 240
; IeeeMode: 1
; LDSByteSize: 0 bytes/workgroup (compile time only)
; SGPRBlocks: 2
; VGPRBlocks: 4
; NumSGPRsForWavesPerEU: 20
; NumVGPRsForWavesPerEU: 35
; Occupancy: 16
; WaveLimiterHint : 0
; COMPUTE_PGM_RSRC2:SCRATCH_EN: 0
; COMPUTE_PGM_RSRC2:USER_SGPR: 15
; COMPUTE_PGM_RSRC2:TRAP_HANDLER: 0
; COMPUTE_PGM_RSRC2:TGID_X_EN: 1
; COMPUTE_PGM_RSRC2:TGID_Y_EN: 0
; COMPUTE_PGM_RSRC2:TGID_Z_EN: 0
; COMPUTE_PGM_RSRC2:TIDIG_COMP_CNT: 1
	.section	.text._ZN4vllm3moe10topkGatingILi8ELi32ELi4ELi16ELi64El6__halfLNS0_11ScoringFuncE0EEEvPKT5_PKbPfiPT4_PiiiibPKf,"axG",@progbits,_ZN4vllm3moe10topkGatingILi8ELi32ELi4ELi16ELi64El6__halfLNS0_11ScoringFuncE0EEEvPKT5_PKbPfiPT4_PiiiibPKf,comdat
	.protected	_ZN4vllm3moe10topkGatingILi8ELi32ELi4ELi16ELi64El6__halfLNS0_11ScoringFuncE0EEEvPKT5_PKbPfiPT4_PiiiibPKf ; -- Begin function _ZN4vllm3moe10topkGatingILi8ELi32ELi4ELi16ELi64El6__halfLNS0_11ScoringFuncE0EEEvPKT5_PKbPfiPT4_PiiiibPKf
	.globl	_ZN4vllm3moe10topkGatingILi8ELi32ELi4ELi16ELi64El6__halfLNS0_11ScoringFuncE0EEEvPKT5_PKbPfiPT4_PiiiibPKf
	.p2align	8
	.type	_ZN4vllm3moe10topkGatingILi8ELi32ELi4ELi16ELi64El6__halfLNS0_11ScoringFuncE0EEEvPKT5_PKbPfiPT4_PiiiibPKf,@function
_ZN4vllm3moe10topkGatingILi8ELi32ELi4ELi16ELi64El6__halfLNS0_11ScoringFuncE0EEEvPKT5_PKbPfiPT4_PiiiibPKf: ; @_ZN4vllm3moe10topkGatingILi8ELi32ELi4ELi16ELi64El6__halfLNS0_11ScoringFuncE0EEEvPKT5_PKbPfiPT4_PiiiibPKf
; %bb.0:
	s_load_b32 s14, s[0:1], 0x18
	v_bfe_u32 v1, v0, 10, 10
	v_and_b32_e32 v0, 0x3ff, v0
	s_lshl_b32 s2, s15, 6
	s_delay_alu instid0(VALU_DEP_2) | instskip(NEXT) | instid1(VALU_DEP_2)
	v_lshlrev_b32_e32 v1, 4, v1
	v_lshrrev_b32_e32 v2, 2, v0
	s_delay_alu instid0(VALU_DEP_1) | instskip(SKIP_2) | instid1(VALU_DEP_1)
	v_add3_u32 v16, s2, v1, v2
	s_mov_b32 s2, exec_lo
	s_waitcnt lgkmcnt(0)
	v_cmpx_gt_i32_e64 s14, v16
	s_cbranch_execz .LBB117_29
; %bb.1:
	s_clause 0x1
	s_load_b128 s[4:7], s[0:1], 0x0
	s_load_b64 s[12:13], s[0:1], 0x10
	s_mov_b32 s8, -1
	s_mov_b32 s15, -1
	s_waitcnt lgkmcnt(0)
	s_cmp_eq_u64 s[6:7], 0
	s_cbranch_scc1 .LBB117_3
; %bb.2:
	v_ashrrev_i32_e32 v2, 31, v16
	v_add_co_u32 v1, vcc_lo, s6, v16
	s_delay_alu instid0(VALU_DEP_2) | instskip(SKIP_3) | instid1(VALU_DEP_1)
	v_add_co_ci_u32_e32 v2, vcc_lo, s7, v2, vcc_lo
	global_load_u8 v1, v[1:2], off
	s_waitcnt vmcnt(0)
	v_and_b32_e32 v1, 1, v1
	v_cmp_eq_u32_e32 vcc_lo, 1, v1
	s_xor_b32 s2, vcc_lo, -1
	s_delay_alu instid0(SALU_CYCLE_1)
	s_or_not1_b32 s15, s2, exec_lo
.LBB117_3:
	v_lshlrev_b32_e32 v1, 5, v16
	v_and_b32_e32 v17, 3, v0
	v_mbcnt_lo_u32_b32 v4, -1, 0
	s_load_b64 s[2:3], s[0:1], 0x40
	s_delay_alu instid0(VALU_DEP_3) | instskip(NEXT) | instid1(VALU_DEP_2)
	v_ashrrev_i32_e32 v2, 31, v1
	v_and_b32_e32 v6, 28, v4
	v_xor_b32_e32 v8, 2, v4
	v_xor_b32_e32 v12, 1, v4
	s_delay_alu instid0(VALU_DEP_4) | instskip(SKIP_1) | instid1(VALU_DEP_2)
	v_lshlrev_b64 v[0:1], 1, v[1:2]
	v_lshlrev_b32_e32 v2, 4, v17
	v_add_co_u32 v0, vcc_lo, s4, v0
	s_delay_alu instid0(VALU_DEP_3) | instskip(NEXT) | instid1(VALU_DEP_2)
	v_add_co_ci_u32_e32 v1, vcc_lo, s5, v1, vcc_lo
	v_add_co_u32 v0, vcc_lo, v0, v2
	s_delay_alu instid0(VALU_DEP_2)
	v_add_co_ci_u32_e32 v1, vcc_lo, 0, v1, vcc_lo
	s_waitcnt lgkmcnt(0)
	s_cmp_eq_u64 s[2:3], 0
	global_load_b128 v[0:3], v[0:1], off
	s_waitcnt vmcnt(0)
	v_lshrrev_b32_e32 v5, 16, v0
	v_cvt_f32_f16_e32 v0, v0
	v_lshrrev_b32_e32 v7, 16, v1
	v_cvt_f32_f16_e32 v1, v1
	;; [unrolled: 2-line block ×3, first 2 shown]
	v_add_nc_u32_e32 v6, 4, v6
	v_cvt_f32_f16_e32 v7, v7
	v_cvt_f32_f16_e32 v2, v2
	v_lshrrev_b32_e32 v11, 16, v3
	v_max_f32_e32 v10, v0, v5
	v_cvt_f32_f16_e32 v9, v9
	v_cmp_lt_i32_e32 vcc_lo, v8, v6
	v_cvt_f32_f16_e32 v3, v3
	v_cvt_f32_f16_e32 v11, v11
	v_max3_f32 v10, v10, v1, v7
	v_cndmask_b32_e32 v8, v4, v8, vcc_lo
	v_cmp_lt_i32_e32 vcc_lo, v12, v6
	s_delay_alu instid0(VALU_DEP_3) | instskip(NEXT) | instid1(VALU_DEP_3)
	v_max3_f32 v10, v10, v2, v9
	v_lshlrev_b32_e32 v18, 2, v8
	v_cndmask_b32_e32 v4, v4, v12, vcc_lo
	s_delay_alu instid0(VALU_DEP_3) | instskip(SKIP_3) | instid1(VALU_DEP_1)
	v_max3_f32 v8, v10, v3, v11
	ds_bpermute_b32 v10, v18, v8
	s_waitcnt lgkmcnt(0)
	v_dual_max_f32 v6, v10, v10 :: v_dual_lshlrev_b32 v19, 2, v4
	v_max_f32_e32 v4, v8, v6
	ds_bpermute_b32 v6, v19, v4
	s_waitcnt lgkmcnt(0)
	v_max_f32_e32 v6, v6, v6
	s_delay_alu instid0(VALU_DEP_1) | instskip(NEXT) | instid1(VALU_DEP_1)
	v_max_f32_e32 v4, v4, v6
	v_sub_f32_e32 v5, v5, v4
	v_sub_f32_e32 v6, v7, v4
	;; [unrolled: 1-line block ×4, first 2 shown]
	s_delay_alu instid0(VALU_DEP_4) | instskip(SKIP_1) | instid1(VALU_DEP_3)
	v_dual_sub_f32 v2, v2, v4 :: v_dual_mul_f32 v9, 0x3fb8aa3b, v5
	v_sub_f32_e32 v3, v3, v4
	v_dual_mul_f32 v13, 0x3fb8aa3b, v7 :: v_dual_mul_f32 v10, 0x3fb8aa3b, v1
	s_delay_alu instid0(VALU_DEP_3) | instskip(SKIP_1) | instid1(VALU_DEP_3)
	v_fma_f32 v22, 0x3fb8aa3b, v5, -v9
	v_rndne_f32_e32 v23, v9
	v_fma_f32 v30, 0x3fb8aa3b, v7, -v13
	v_rndne_f32_e32 v31, v13
	v_sub_f32_e32 v0, v0, v4
	s_delay_alu instid0(VALU_DEP_4) | instskip(NEXT) | instid1(VALU_DEP_4)
	v_dual_fmac_f32 v22, 0x32a5705f, v5 :: v_dual_sub_f32 v9, v9, v23
	v_fmac_f32_e32 v30, 0x32a5705f, v7
	s_delay_alu instid0(VALU_DEP_4) | instskip(SKIP_1) | instid1(VALU_DEP_4)
	v_dual_sub_f32 v13, v13, v31 :: v_dual_sub_f32 v4, v11, v4
	v_fma_f32 v24, 0x3fb8aa3b, v1, -v10
	v_add_f32_e32 v9, v9, v22
	v_mul_f32_e32 v11, 0x3fb8aa3b, v6
	s_delay_alu instid0(VALU_DEP_4) | instskip(SKIP_2) | instid1(VALU_DEP_4)
	v_dual_add_f32 v13, v13, v30 :: v_dual_mul_f32 v14, 0x3fb8aa3b, v3
	v_mul_f32_e32 v15, 0x3fb8aa3b, v4
	v_rndne_f32_e32 v25, v10
	v_fma_f32 v26, 0x3fb8aa3b, v6, -v11
	v_rndne_f32_e32 v27, v11
	v_fmac_f32_e32 v24, 0x32a5705f, v1
	v_fma_f32 v34, 0x3fb8aa3b, v4, -v15
	v_rndne_f32_e32 v35, v15
	s_delay_alu instid0(VALU_DEP_4) | instskip(SKIP_1) | instid1(VALU_DEP_3)
	v_dual_fmac_f32 v26, 0x32a5705f, v6 :: v_dual_sub_f32 v11, v11, v27
	v_mul_f32_e32 v8, 0x3fb8aa3b, v0
	v_dual_fmac_f32 v34, 0x32a5705f, v4 :: v_dual_sub_f32 v15, v15, v35
	s_delay_alu instid0(VALU_DEP_3) | instskip(NEXT) | instid1(VALU_DEP_3)
	v_dual_sub_f32 v10, v10, v25 :: v_dual_add_f32 v11, v11, v26
	v_fma_f32 v20, 0x3fb8aa3b, v0, -v8
	v_rndne_f32_e32 v21, v8
	s_delay_alu instid0(VALU_DEP_3) | instskip(SKIP_1) | instid1(VALU_DEP_3)
	v_dual_add_f32 v15, v15, v34 :: v_dual_add_f32 v10, v10, v24
	v_exp_f32_e32 v9, v9
	v_fmac_f32_e32 v20, 0x32a5705f, v0
	s_delay_alu instid0(VALU_DEP_3)
	v_sub_f32_e32 v8, v8, v21
	v_cvt_i32_f32_e32 v21, v21
	v_cvt_i32_f32_e32 v23, v23
	v_exp_f32_e32 v10, v10
	v_cmp_ngt_f32_e32 vcc_lo, 0xc2ce8ed0, v0
	v_add_f32_e32 v8, v8, v20
	v_cvt_i32_f32_e32 v25, v25
	v_exp_f32_e32 v13, v13
	v_ldexp_f32 v9, v9, v23
	v_cvt_i32_f32_e32 v31, v31
	v_exp_f32_e32 v8, v8
	v_exp_f32_e32 v11, v11
	v_cvt_i32_f32_e32 v27, v27
	v_ldexp_f32 v10, v10, v25
	v_fma_f32 v32, 0x3fb8aa3b, v3, -v14
	v_rndne_f32_e32 v33, v14
	v_exp_f32_e32 v15, v15
	v_ldexp_f32 v13, v13, v31
	v_cvt_i32_f32_e32 v22, v35
	s_delay_alu instid0(TRANS32_DEP_3) | instskip(NEXT) | instid1(TRANS32_DEP_2)
	v_ldexp_f32 v8, v8, v21
	v_ldexp_f32 v11, v11, v27
	v_sub_f32_e32 v14, v14, v33
	v_cvt_i32_f32_e32 v20, v33
	s_delay_alu instid0(VALU_DEP_4) | instskip(SKIP_4) | instid1(VALU_DEP_3)
	v_cndmask_b32_e32 v8, 0, v8, vcc_lo
	v_cmp_ngt_f32_e32 vcc_lo, 0xc2ce8ed0, v5
	v_mul_f32_e32 v12, 0x3fb8aa3b, v2
	v_ldexp_f32 v15, v15, v22
	v_cndmask_b32_e32 v9, 0, v9, vcc_lo
	v_fma_f32 v28, 0x3fb8aa3b, v2, -v12
	v_rndne_f32_e32 v29, v12
	v_cmp_ngt_f32_e32 vcc_lo, 0xc2ce8ed0, v1
	s_delay_alu instid0(VALU_DEP_3) | instskip(NEXT) | instid1(VALU_DEP_3)
	v_fmac_f32_e32 v28, 0x32a5705f, v2
	v_sub_f32_e32 v12, v12, v29
	v_cndmask_b32_e32 v10, 0, v10, vcc_lo
	v_cmp_nlt_f32_e32 vcc_lo, 0x42b17218, v0
	v_cvt_i32_f32_e32 v29, v29
	s_delay_alu instid0(VALU_DEP_4) | instskip(SKIP_2) | instid1(VALU_DEP_3)
	v_add_f32_e32 v12, v12, v28
	v_cndmask_b32_e32 v0, 0x7f800000, v8, vcc_lo
	v_cmp_nlt_f32_e32 vcc_lo, 0x42b17218, v5
	v_exp_f32_e32 v12, v12
	v_cndmask_b32_e32 v5, 0x7f800000, v9, vcc_lo
	v_cmp_ngt_f32_e32 vcc_lo, 0xc2ce8ed0, v6
	s_delay_alu instid0(VALU_DEP_2)
	v_dual_fmac_f32 v32, 0x32a5705f, v3 :: v_dual_add_f32 v9, v0, v5
	v_cndmask_b32_e32 v8, 0, v11, vcc_lo
	v_cmp_nlt_f32_e32 vcc_lo, 0x42b17218, v1
	s_waitcnt_depctr 0xfff
	v_ldexp_f32 v12, v12, v29
	v_dual_add_f32 v14, v14, v32 :: v_dual_cndmask_b32 v1, 0x7f800000, v10
	v_cmp_ngt_f32_e32 vcc_lo, 0xc2ce8ed0, v2
	s_delay_alu instid0(VALU_DEP_2) | instskip(NEXT) | instid1(VALU_DEP_3)
	v_exp_f32_e32 v14, v14
	v_cndmask_b32_e32 v10, 0, v12, vcc_lo
	v_cmp_nlt_f32_e32 vcc_lo, 0x42b17218, v6
	v_cndmask_b32_e32 v6, 0x7f800000, v8, vcc_lo
	v_cmp_ngt_f32_e32 vcc_lo, 0xc2ce8ed0, v7
	v_add_f32_e32 v8, v9, v1
	s_waitcnt_depctr 0xfff
	v_ldexp_f32 v14, v14, v20
	v_lshlrev_b32_e32 v20, 3, v17
	v_cndmask_b32_e32 v9, 0, v13, vcc_lo
	v_cmp_nlt_f32_e32 vcc_lo, 0x42b17218, v2
	v_add_f32_e32 v8, v8, v6
	v_cndmask_b32_e32 v2, 0x7f800000, v10, vcc_lo
	v_cmp_ngt_f32_e32 vcc_lo, 0xc2ce8ed0, v3
	s_delay_alu instid0(VALU_DEP_2) | instskip(SKIP_4) | instid1(VALU_DEP_2)
	v_add_f32_e32 v8, v8, v2
	v_cndmask_b32_e32 v10, 0, v14, vcc_lo
	v_cmp_nlt_f32_e32 vcc_lo, 0x42b17218, v7
	v_cndmask_b32_e32 v7, 0x7f800000, v9, vcc_lo
	v_cmp_ngt_f32_e32 vcc_lo, 0xc2ce8ed0, v4
	v_add_f32_e32 v8, v8, v7
	v_cndmask_b32_e32 v9, 0, v15, vcc_lo
	v_cmp_nlt_f32_e32 vcc_lo, 0x42b17218, v3
	v_cndmask_b32_e32 v3, 0x7f800000, v10, vcc_lo
	v_cmp_nlt_f32_e32 vcc_lo, 0x42b17218, v4
	s_delay_alu instid0(VALU_DEP_2) | instskip(SKIP_1) | instid1(VALU_DEP_1)
	v_add_f32_e32 v8, v8, v3
	v_cndmask_b32_e32 v4, 0x7f800000, v9, vcc_lo
	v_add_f32_e32 v8, v8, v4
	ds_bpermute_b32 v9, v18, v8
	s_waitcnt lgkmcnt(0)
	v_add_f32_e32 v8, v8, v9
	ds_bpermute_b32 v9, v19, v8
	s_waitcnt lgkmcnt(0)
	v_add_f32_e32 v8, v8, v9
	s_delay_alu instid0(VALU_DEP_1) | instskip(SKIP_1) | instid1(VALU_DEP_2)
	v_div_scale_f32 v9, null, v8, v8, 1.0
	v_div_scale_f32 v12, vcc_lo, 1.0, v8, 1.0
	v_rcp_f32_e32 v10, v9
	s_waitcnt_depctr 0xfff
	v_fma_f32 v11, -v9, v10, 1.0
	s_delay_alu instid0(VALU_DEP_1) | instskip(NEXT) | instid1(VALU_DEP_1)
	v_fmac_f32_e32 v10, v11, v10
	v_mul_f32_e32 v11, v12, v10
	s_delay_alu instid0(VALU_DEP_1) | instskip(NEXT) | instid1(VALU_DEP_1)
	v_fma_f32 v13, -v9, v11, v12
	v_fmac_f32_e32 v11, v13, v10
	s_delay_alu instid0(VALU_DEP_1) | instskip(NEXT) | instid1(VALU_DEP_1)
	v_fma_f32 v9, -v9, v11, v12
	v_div_fmas_f32 v9, v9, v10, v11
	s_delay_alu instid0(VALU_DEP_1) | instskip(NEXT) | instid1(VALU_DEP_1)
	v_div_fixup_f32 v8, v9, v8, 1.0
	v_mul_f32_e32 v0, v8, v0
	v_mul_f32_e32 v5, v8, v5
	;; [unrolled: 1-line block ×5, first 2 shown]
	v_cmp_class_f32_e64 vcc_lo, v0, 0x1f8
	v_mul_f32_e32 v7, v8, v7
	v_mul_f32_e32 v11, v8, v3
	;; [unrolled: 1-line block ×3, first 2 shown]
	v_cndmask_b32_e32 v0, 0, v0, vcc_lo
	v_cmp_class_f32_e64 vcc_lo, v5, 0x1f8
	v_cndmask_b32_e32 v1, 0, v5, vcc_lo
	v_cmp_class_f32_e64 vcc_lo, v9, 0x1f8
	;; [unrolled: 2-line block ×7, first 2 shown]
	v_cndmask_b32_e32 v7, 0, v8, vcc_lo
	s_cbranch_scc1 .LBB117_23
; %bb.4:
	v_lshlrev_b32_e32 v12, 2, v20
	s_clause 0x1
	global_load_b128 v[8:11], v12, s[2:3]
	global_load_b128 v[12:15], v12, s[2:3] offset:16
	s_waitcnt vmcnt(1)
	v_dual_add_f32 v9, v9, v1 :: v_dual_add_f32 v8, v8, v0
	v_dual_add_f32 v11, v11, v3 :: v_dual_add_f32 v10, v10, v2
	s_waitcnt vmcnt(0)
	v_dual_add_f32 v13, v13, v5 :: v_dual_add_f32 v12, v12, v4
	v_dual_add_f32 v15, v15, v7 :: v_dual_add_f32 v14, v14, v6
	s_cbranch_execnz .LBB117_6
.LBB117_5:
	v_dual_mov_b32 v15, v7 :: v_dual_mov_b32 v14, v6
	v_dual_mov_b32 v13, v5 :: v_dual_mov_b32 v12, v4
	;; [unrolled: 1-line block ×4, first 2 shown]
.LBB117_6:
	s_load_b128 s[4:7], s[0:1], 0x30
	v_cmp_eq_u32_e64 s2, 0, v17
	s_waitcnt lgkmcnt(0)
	s_bitcmp1_b32 s7, 0
	s_mov_b32 s7, 0
	s_cselect_b32 vcc_lo, -1, 0
	s_cmp_gt_i32 s4, 0
	s_cselect_b32 s3, -1, 0
	s_cmp_lt_i32 s4, 1
	s_cbranch_scc1 .LBB117_24
; %bb.7:
	s_load_b128 s[8:11], s[0:1], 0x20
	v_mul_lo_u32 v22, v16, s4
	v_mov_b32_e32 v21, 0
	v_mov_b32_e32 v23, v16
	s_branch .LBB117_10
.LBB117_8:                              ;   in Loop: Header=BB117_10 Depth=1
	s_or_b32 exec_lo, exec_lo, s1
.LBB117_9:                              ;   in Loop: Header=BB117_10 Depth=1
	v_add_nc_u32_e32 v23, s14, v23
	s_cmp_eq_u32 s4, s7
	s_cbranch_scc1 .LBB117_25
.LBB117_10:                             ; =>This Inner Loop Header: Depth=1
	v_cmp_gt_f32_e64 s0, v9, v8
	s_mov_b32 s17, exec_lo
	s_delay_alu instid0(VALU_DEP_1) | instskip(SKIP_2) | instid1(VALU_DEP_3)
	v_cndmask_b32_e64 v24, v8, v9, s0
	v_cndmask_b32_e64 v25, 0, 1, s0
	;; [unrolled: 1-line block ×3, first 2 shown]
	v_cmp_gt_f32_e64 s1, v10, v24
	s_delay_alu instid0(VALU_DEP_1) | instskip(NEXT) | instid1(VALU_DEP_4)
	v_cndmask_b32_e64 v24, v24, v10, s1
	v_cndmask_b32_e64 v25, v25, 2, s1
	s_delay_alu instid0(VALU_DEP_4) | instskip(NEXT) | instid1(VALU_DEP_3)
	v_cndmask_b32_e64 v26, v26, v2, s1
	v_cmp_gt_f32_e64 s0, v11, v24
	s_delay_alu instid0(VALU_DEP_1) | instskip(NEXT) | instid1(VALU_DEP_4)
	v_cndmask_b32_e64 v24, v24, v11, s0
	v_cndmask_b32_e64 v25, v25, 3, s0
	s_delay_alu instid0(VALU_DEP_4) | instskip(NEXT) | instid1(VALU_DEP_3)
	v_cndmask_b32_e64 v26, v26, v3, s0
	;; [unrolled: 6-line block ×4, first 2 shown]
	v_cmp_gt_f32_e64 s1, v14, v24
	s_delay_alu instid0(VALU_DEP_1) | instskip(NEXT) | instid1(VALU_DEP_4)
	v_cndmask_b32_e64 v24, v24, v14, s1
	v_cndmask_b32_e64 v25, v25, 6, s1
	s_waitcnt lgkmcnt(0)
	v_cndmask_b32_e64 v27, v26, v6, s1
	s_delay_alu instid0(VALU_DEP_3) | instskip(NEXT) | instid1(VALU_DEP_1)
	v_cmp_gt_f32_e64 s0, v15, v24
	v_cndmask_b32_e64 v26, v24, v15, s0
	v_cndmask_b32_e64 v24, v25, 7, s0
	s_delay_alu instid0(VALU_DEP_4)
	v_cndmask_b32_e64 v25, v27, v7, s0
	ds_bpermute_b32 v27, v18, v26
	v_or_b32_e32 v24, v20, v24
	ds_bpermute_b32 v29, v18, v25
	ds_bpermute_b32 v28, v18, v24
	s_waitcnt lgkmcnt(0)
	v_cmp_lt_f32_e64 s16, v26, v27
	v_cmpx_nlt_f32_e32 v26, v27
; %bb.11:                               ;   in Loop: Header=BB117_10 Depth=1
	v_cmp_eq_f32_e64 s0, v26, v27
	v_cmp_lt_i32_e64 s1, v28, v24
	s_delay_alu instid0(VALU_DEP_1) | instskip(SKIP_2) | instid1(SALU_CYCLE_1)
	s_and_b32 s0, s0, s1
	s_and_not1_b32 s1, s16, exec_lo
	s_and_b32 s0, s0, exec_lo
	s_or_b32 s16, s1, s0
; %bb.12:                               ;   in Loop: Header=BB117_10 Depth=1
	s_or_b32 exec_lo, exec_lo, s17
	s_and_saveexec_b32 s0, s16
; %bb.13:                               ;   in Loop: Header=BB117_10 Depth=1
	v_dual_mov_b32 v25, v29 :: v_dual_mov_b32 v26, v27
	v_mov_b32_e32 v24, v28
; %bb.14:                               ;   in Loop: Header=BB117_10 Depth=1
	s_or_b32 exec_lo, exec_lo, s0
	ds_bpermute_b32 v29, v19, v26
	ds_bpermute_b32 v28, v19, v25
	;; [unrolled: 1-line block ×3, first 2 shown]
	s_mov_b32 s17, exec_lo
	s_waitcnt lgkmcnt(2)
	v_cmp_lt_f32_e64 s16, v26, v29
	v_cmpx_nlt_f32_e32 v26, v29
	s_cbranch_execnz .LBB117_18
; %bb.15:                               ;   in Loop: Header=BB117_10 Depth=1
	s_or_b32 exec_lo, exec_lo, s17
	s_delay_alu instid0(VALU_DEP_2)
	s_and_saveexec_b32 s0, s16
	s_cbranch_execnz .LBB117_19
.LBB117_16:                             ;   in Loop: Header=BB117_10 Depth=1
	s_or_b32 exec_lo, exec_lo, s0
	s_and_saveexec_b32 s16, s2
	s_cbranch_execnz .LBB117_20
.LBB117_17:                             ;   in Loop: Header=BB117_10 Depth=1
	s_or_b32 exec_lo, exec_lo, s16
	s_add_i32 s7, s7, 1
	s_delay_alu instid0(SALU_CYCLE_1)
	s_cmp_ge_i32 s7, s4
	s_cbranch_scc1 .LBB117_9
	s_branch .LBB117_21
.LBB117_18:                             ;   in Loop: Header=BB117_10 Depth=1
	v_cmp_eq_f32_e64 s0, v26, v29
	s_waitcnt lgkmcnt(0)
	v_cmp_lt_i32_e64 s1, v27, v24
	s_delay_alu instid0(VALU_DEP_1) | instskip(SKIP_2) | instid1(SALU_CYCLE_1)
	s_and_b32 s0, s0, s1
	s_and_not1_b32 s1, s16, exec_lo
	s_and_b32 s0, s0, exec_lo
	s_or_b32 s16, s1, s0
	s_or_b32 exec_lo, exec_lo, s17
	s_and_saveexec_b32 s0, s16
	s_cbranch_execz .LBB117_16
.LBB117_19:                             ;   in Loop: Header=BB117_10 Depth=1
	s_waitcnt lgkmcnt(0)
	v_dual_mov_b32 v25, v28 :: v_dual_mov_b32 v24, v27
	s_or_b32 exec_lo, exec_lo, s0
	s_and_saveexec_b32 s16, s2
	s_cbranch_execz .LBB117_17
.LBB117_20:                             ;   in Loop: Header=BB117_10 Depth=1
	v_add_nc_u32_e32 v26, s7, v22
	v_subrev_nc_u32_e32 v30, s5, v24
	v_cmp_le_i32_e64 s0, s5, v24
	v_cmp_gt_i32_e64 s1, s6, v24
	v_add_f32_e32 v34, v21, v25
	s_waitcnt lgkmcnt(0)
	v_ashrrev_i32_e32 v27, 31, v26
	v_ashrrev_i32_e32 v31, 31, v30
	s_and_b32 s0, s0, s1
	v_cndmask_b32_e32 v21, v21, v34, vcc_lo
	s_delay_alu instid0(VALU_DEP_3) | instskip(SKIP_2) | instid1(SALU_CYCLE_1)
	v_lshlrev_b64 v[28:29], 2, v[26:27]
	v_lshlrev_b64 v[26:27], 3, v[26:27]
	s_and_b32 s0, s15, s0
	v_cndmask_b32_e64 v31, 0, v31, s0
	v_cndmask_b32_e64 v30, 32, v30, s0
	s_delay_alu instid0(VALU_DEP_4) | instskip(NEXT) | instid1(VALU_DEP_1)
	v_add_co_u32 v32, s0, s12, v28
	v_add_co_ci_u32_e64 v33, s0, s13, v29, s0
	v_add_co_u32 v26, s0, s8, v26
	s_delay_alu instid0(VALU_DEP_1) | instskip(SKIP_1) | instid1(VALU_DEP_1)
	v_add_co_ci_u32_e64 v27, s0, s9, v27, s0
	v_add_co_u32 v28, s0, s10, v28
	v_add_co_ci_u32_e64 v29, s0, s11, v29, s0
	global_store_b32 v[32:33], v25, off
	global_store_b64 v[26:27], v[30:31], off
	global_store_b32 v[28:29], v23, off
	s_or_b32 exec_lo, exec_lo, s16
	s_add_i32 s7, s7, 1
	s_delay_alu instid0(SALU_CYCLE_1)
	s_cmp_ge_i32 s7, s4
	s_cbranch_scc1 .LBB117_9
.LBB117_21:                             ;   in Loop: Header=BB117_10 Depth=1
	v_ashrrev_i32_e32 v26, 31, v24
	s_mov_b32 s1, exec_lo
	s_delay_alu instid0(VALU_DEP_1) | instskip(NEXT) | instid1(VALU_DEP_1)
	v_lshrrev_b32_e32 v25, 29, v26
	v_add_nc_u32_e32 v25, v24, v25
	s_delay_alu instid0(VALU_DEP_1) | instskip(SKIP_1) | instid1(VALU_DEP_1)
	v_ashrrev_i32_e32 v25, 3, v25
	s_waitcnt lgkmcnt(0)
	v_lshrrev_b32_e32 v27, 30, v25
	s_delay_alu instid0(VALU_DEP_1) | instskip(NEXT) | instid1(VALU_DEP_1)
	v_add_nc_u32_e32 v27, v25, v27
	v_and_b32_e32 v27, -4, v27
	s_delay_alu instid0(VALU_DEP_1) | instskip(NEXT) | instid1(VALU_DEP_1)
	v_sub_nc_u32_e32 v27, v25, v27
	v_cmpx_eq_u32_e64 v17, v27
	s_cbranch_execz .LBB117_8
; %bb.22:                               ;   in Loop: Header=BB117_10 Depth=1
	v_lshrrev_b32_e32 v26, 27, v26
	v_lshlrev_b32_e32 v25, 3, v25
	s_delay_alu instid0(VALU_DEP_2) | instskip(NEXT) | instid1(VALU_DEP_2)
	v_add_nc_u32_e32 v26, v24, v26
	v_sub_nc_u32_e32 v24, v24, v25
	s_delay_alu instid0(VALU_DEP_2) | instskip(NEXT) | instid1(VALU_DEP_1)
	v_ashrrev_i32_e32 v25, 5, v26
	v_lshl_add_u32 v24, v25, 3, v24
	s_delay_alu instid0(VALU_DEP_1) | instskip(NEXT) | instid1(VALU_DEP_1)
	v_cmp_ne_u32_e64 s0, 7, v24
	v_cndmask_b32_e64 v15, 0xc61c4000, v15, s0
	v_cmp_ne_u32_e64 s0, 6, v24
	s_delay_alu instid0(VALU_DEP_1) | instskip(SKIP_1) | instid1(VALU_DEP_1)
	v_cndmask_b32_e64 v14, 0xc61c4000, v14, s0
	v_cmp_ne_u32_e64 s0, 5, v24
	v_cndmask_b32_e64 v13, 0xc61c4000, v13, s0
	v_cmp_ne_u32_e64 s0, 4, v24
	s_delay_alu instid0(VALU_DEP_1) | instskip(SKIP_1) | instid1(VALU_DEP_1)
	v_cndmask_b32_e64 v12, 0xc61c4000, v12, s0
	;; [unrolled: 5-line block ×3, first 2 shown]
	v_cmp_ne_u32_e64 s0, 1, v24
	v_cndmask_b32_e64 v9, 0xc61c4000, v9, s0
	v_cmp_ne_u32_e64 s0, 0, v24
	s_delay_alu instid0(VALU_DEP_1)
	v_cndmask_b32_e64 v8, 0xc61c4000, v8, s0
	s_branch .LBB117_8
.LBB117_23:
                                        ; implicit-def: $vgpr8_vgpr9_vgpr10_vgpr11_vgpr12_vgpr13_vgpr14_vgpr15
	s_and_not1_b32 vcc_lo, exec_lo, s8
	s_cbranch_vccz .LBB117_5
	s_branch .LBB117_6
.LBB117_24:
	v_mov_b32_e32 v21, 0
.LBB117_25:
	v_cmp_eq_u32_e64 s0, 0, v17
	s_delay_alu instid0(VALU_DEP_1) | instskip(NEXT) | instid1(SALU_CYCLE_1)
	s_and_b32 s0, s0, vcc_lo
	s_and_b32 exec_lo, exec_lo, s0
	s_cbranch_execz .LBB117_29
; %bb.26:
	s_and_not1_b32 vcc_lo, exec_lo, s3
	s_cbranch_vccnz .LBB117_29
; %bb.27:
	v_mul_lo_u32 v0, v16, s4
	v_cmp_lt_f32_e32 vcc_lo, 0, v21
	v_cndmask_b32_e32 v2, 1.0, v21, vcc_lo
	s_delay_alu instid0(VALU_DEP_3) | instskip(NEXT) | instid1(VALU_DEP_1)
	v_ashrrev_i32_e32 v1, 31, v0
	v_lshlrev_b64 v[0:1], 2, v[0:1]
	s_delay_alu instid0(VALU_DEP_1) | instskip(NEXT) | instid1(VALU_DEP_2)
	v_add_co_u32 v0, vcc_lo, s12, v0
	v_add_co_ci_u32_e32 v1, vcc_lo, s13, v1, vcc_lo
	.p2align	6
.LBB117_28:                             ; =>This Inner Loop Header: Depth=1
	global_load_b32 v3, v[0:1], off
	s_add_i32 s4, s4, -1
	s_delay_alu instid0(SALU_CYCLE_1) | instskip(SKIP_3) | instid1(VALU_DEP_2)
	s_cmp_lg_u32 s4, 0
	s_waitcnt vmcnt(0)
	v_div_scale_f32 v4, null, v2, v2, v3
	v_div_scale_f32 v7, vcc_lo, v3, v2, v3
	v_rcp_f32_e32 v5, v4
	s_waitcnt_depctr 0xfff
	v_fma_f32 v6, -v4, v5, 1.0
	s_delay_alu instid0(VALU_DEP_1) | instskip(NEXT) | instid1(VALU_DEP_1)
	v_fmac_f32_e32 v5, v6, v5
	v_mul_f32_e32 v6, v7, v5
	s_delay_alu instid0(VALU_DEP_1) | instskip(NEXT) | instid1(VALU_DEP_1)
	v_fma_f32 v8, -v4, v6, v7
	v_fmac_f32_e32 v6, v8, v5
	s_delay_alu instid0(VALU_DEP_1) | instskip(NEXT) | instid1(VALU_DEP_1)
	v_fma_f32 v4, -v4, v6, v7
	v_div_fmas_f32 v4, v4, v5, v6
	s_delay_alu instid0(VALU_DEP_1)
	v_div_fixup_f32 v3, v4, v2, v3
	global_store_b32 v[0:1], v3, off
	v_add_co_u32 v0, vcc_lo, v0, 4
	v_add_co_ci_u32_e32 v1, vcc_lo, 0, v1, vcc_lo
	s_cbranch_scc1 .LBB117_28
.LBB117_29:
	s_nop 0
	s_sendmsg sendmsg(MSG_DEALLOC_VGPRS)
	s_endpgm
	.section	.rodata,"a",@progbits
	.p2align	6, 0x0
	.amdhsa_kernel _ZN4vllm3moe10topkGatingILi8ELi32ELi4ELi16ELi64El6__halfLNS0_11ScoringFuncE0EEEvPKT5_PKbPfiPT4_PiiiibPKf
		.amdhsa_group_segment_fixed_size 0
		.amdhsa_private_segment_fixed_size 0
		.amdhsa_kernarg_size 72
		.amdhsa_user_sgpr_count 15
		.amdhsa_user_sgpr_dispatch_ptr 0
		.amdhsa_user_sgpr_queue_ptr 0
		.amdhsa_user_sgpr_kernarg_segment_ptr 1
		.amdhsa_user_sgpr_dispatch_id 0
		.amdhsa_user_sgpr_private_segment_size 0
		.amdhsa_wavefront_size32 1
		.amdhsa_uses_dynamic_stack 0
		.amdhsa_enable_private_segment 0
		.amdhsa_system_sgpr_workgroup_id_x 1
		.amdhsa_system_sgpr_workgroup_id_y 0
		.amdhsa_system_sgpr_workgroup_id_z 0
		.amdhsa_system_sgpr_workgroup_info 0
		.amdhsa_system_vgpr_workitem_id 1
		.amdhsa_next_free_vgpr 36
		.amdhsa_next_free_sgpr 18
		.amdhsa_reserve_vcc 1
		.amdhsa_float_round_mode_32 0
		.amdhsa_float_round_mode_16_64 0
		.amdhsa_float_denorm_mode_32 3
		.amdhsa_float_denorm_mode_16_64 3
		.amdhsa_dx10_clamp 1
		.amdhsa_ieee_mode 1
		.amdhsa_fp16_overflow 0
		.amdhsa_workgroup_processor_mode 1
		.amdhsa_memory_ordered 1
		.amdhsa_forward_progress 0
		.amdhsa_shared_vgpr_count 0
		.amdhsa_exception_fp_ieee_invalid_op 0
		.amdhsa_exception_fp_denorm_src 0
		.amdhsa_exception_fp_ieee_div_zero 0
		.amdhsa_exception_fp_ieee_overflow 0
		.amdhsa_exception_fp_ieee_underflow 0
		.amdhsa_exception_fp_ieee_inexact 0
		.amdhsa_exception_int_div_zero 0
	.end_amdhsa_kernel
	.section	.text._ZN4vllm3moe10topkGatingILi8ELi32ELi4ELi16ELi64El6__halfLNS0_11ScoringFuncE0EEEvPKT5_PKbPfiPT4_PiiiibPKf,"axG",@progbits,_ZN4vllm3moe10topkGatingILi8ELi32ELi4ELi16ELi64El6__halfLNS0_11ScoringFuncE0EEEvPKT5_PKbPfiPT4_PiiiibPKf,comdat
.Lfunc_end117:
	.size	_ZN4vllm3moe10topkGatingILi8ELi32ELi4ELi16ELi64El6__halfLNS0_11ScoringFuncE0EEEvPKT5_PKbPfiPT4_PiiiibPKf, .Lfunc_end117-_ZN4vllm3moe10topkGatingILi8ELi32ELi4ELi16ELi64El6__halfLNS0_11ScoringFuncE0EEEvPKT5_PKbPfiPT4_PiiiibPKf
                                        ; -- End function
	.section	.AMDGPU.csdata,"",@progbits
; Kernel info:
; codeLenInByte = 3008
; NumSgprs: 20
; NumVgprs: 36
; ScratchSize: 0
; MemoryBound: 0
; FloatMode: 240
; IeeeMode: 1
; LDSByteSize: 0 bytes/workgroup (compile time only)
; SGPRBlocks: 2
; VGPRBlocks: 4
; NumSGPRsForWavesPerEU: 20
; NumVGPRsForWavesPerEU: 36
; Occupancy: 16
; WaveLimiterHint : 0
; COMPUTE_PGM_RSRC2:SCRATCH_EN: 0
; COMPUTE_PGM_RSRC2:USER_SGPR: 15
; COMPUTE_PGM_RSRC2:TRAP_HANDLER: 0
; COMPUTE_PGM_RSRC2:TGID_X_EN: 1
; COMPUTE_PGM_RSRC2:TGID_Y_EN: 0
; COMPUTE_PGM_RSRC2:TGID_Z_EN: 0
; COMPUTE_PGM_RSRC2:TIDIG_COMP_CNT: 1
	.section	.text._ZN4vllm3moe10topkGatingILi8ELi32ELi4ELi16ELi32El6__halfLNS0_11ScoringFuncE0EEEvPKT5_PKbPfiPT4_PiiiibPKf,"axG",@progbits,_ZN4vllm3moe10topkGatingILi8ELi32ELi4ELi16ELi32El6__halfLNS0_11ScoringFuncE0EEEvPKT5_PKbPfiPT4_PiiiibPKf,comdat
	.protected	_ZN4vllm3moe10topkGatingILi8ELi32ELi4ELi16ELi32El6__halfLNS0_11ScoringFuncE0EEEvPKT5_PKbPfiPT4_PiiiibPKf ; -- Begin function _ZN4vllm3moe10topkGatingILi8ELi32ELi4ELi16ELi32El6__halfLNS0_11ScoringFuncE0EEEvPKT5_PKbPfiPT4_PiiiibPKf
	.globl	_ZN4vllm3moe10topkGatingILi8ELi32ELi4ELi16ELi32El6__halfLNS0_11ScoringFuncE0EEEvPKT5_PKbPfiPT4_PiiiibPKf
	.p2align	8
	.type	_ZN4vllm3moe10topkGatingILi8ELi32ELi4ELi16ELi32El6__halfLNS0_11ScoringFuncE0EEEvPKT5_PKbPfiPT4_PiiiibPKf,@function
_ZN4vllm3moe10topkGatingILi8ELi32ELi4ELi16ELi32El6__halfLNS0_11ScoringFuncE0EEEvPKT5_PKbPfiPT4_PiiiibPKf: ; @_ZN4vllm3moe10topkGatingILi8ELi32ELi4ELi16ELi32El6__halfLNS0_11ScoringFuncE0EEEvPKT5_PKbPfiPT4_PiiiibPKf
; %bb.0:
	s_load_b32 s14, s[0:1], 0x18
	v_bfe_u32 v1, v0, 10, 10
	v_and_b32_e32 v0, 0x3ff, v0
	s_lshl_b32 s2, s15, 5
	s_delay_alu instid0(VALU_DEP_2) | instskip(NEXT) | instid1(VALU_DEP_2)
	v_lshlrev_b32_e32 v1, 3, v1
	v_lshrrev_b32_e32 v2, 2, v0
	s_delay_alu instid0(VALU_DEP_1) | instskip(SKIP_2) | instid1(VALU_DEP_1)
	v_add3_u32 v16, s2, v1, v2
	s_mov_b32 s2, exec_lo
	s_waitcnt lgkmcnt(0)
	v_cmpx_gt_i32_e64 s14, v16
	s_cbranch_execz .LBB118_29
; %bb.1:
	s_clause 0x1
	s_load_b128 s[4:7], s[0:1], 0x0
	s_load_b64 s[12:13], s[0:1], 0x10
	s_mov_b32 s8, -1
	s_mov_b32 s15, -1
	s_waitcnt lgkmcnt(0)
	s_cmp_eq_u64 s[6:7], 0
	s_cbranch_scc1 .LBB118_3
; %bb.2:
	v_ashrrev_i32_e32 v2, 31, v16
	v_add_co_u32 v1, vcc_lo, s6, v16
	s_delay_alu instid0(VALU_DEP_2) | instskip(SKIP_3) | instid1(VALU_DEP_1)
	v_add_co_ci_u32_e32 v2, vcc_lo, s7, v2, vcc_lo
	global_load_u8 v1, v[1:2], off
	s_waitcnt vmcnt(0)
	v_and_b32_e32 v1, 1, v1
	v_cmp_eq_u32_e32 vcc_lo, 1, v1
	s_xor_b32 s2, vcc_lo, -1
	s_delay_alu instid0(SALU_CYCLE_1)
	s_or_not1_b32 s15, s2, exec_lo
.LBB118_3:
	v_lshlrev_b32_e32 v1, 5, v16
	v_and_b32_e32 v17, 3, v0
	v_mbcnt_lo_u32_b32 v4, -1, 0
	s_load_b64 s[2:3], s[0:1], 0x40
	s_delay_alu instid0(VALU_DEP_3) | instskip(NEXT) | instid1(VALU_DEP_2)
	v_ashrrev_i32_e32 v2, 31, v1
	v_and_b32_e32 v6, 28, v4
	v_xor_b32_e32 v8, 2, v4
	v_xor_b32_e32 v12, 1, v4
	s_delay_alu instid0(VALU_DEP_4) | instskip(SKIP_1) | instid1(VALU_DEP_2)
	v_lshlrev_b64 v[0:1], 1, v[1:2]
	v_lshlrev_b32_e32 v2, 4, v17
	v_add_co_u32 v0, vcc_lo, s4, v0
	s_delay_alu instid0(VALU_DEP_3) | instskip(NEXT) | instid1(VALU_DEP_2)
	v_add_co_ci_u32_e32 v1, vcc_lo, s5, v1, vcc_lo
	v_add_co_u32 v0, vcc_lo, v0, v2
	s_delay_alu instid0(VALU_DEP_2)
	v_add_co_ci_u32_e32 v1, vcc_lo, 0, v1, vcc_lo
	s_waitcnt lgkmcnt(0)
	s_cmp_eq_u64 s[2:3], 0
	global_load_b128 v[0:3], v[0:1], off
	s_waitcnt vmcnt(0)
	v_lshrrev_b32_e32 v5, 16, v0
	v_cvt_f32_f16_e32 v0, v0
	v_lshrrev_b32_e32 v7, 16, v1
	v_cvt_f32_f16_e32 v1, v1
	;; [unrolled: 2-line block ×3, first 2 shown]
	v_add_nc_u32_e32 v6, 4, v6
	v_cvt_f32_f16_e32 v7, v7
	v_cvt_f32_f16_e32 v2, v2
	v_lshrrev_b32_e32 v11, 16, v3
	v_max_f32_e32 v10, v0, v5
	v_cvt_f32_f16_e32 v9, v9
	v_cmp_lt_i32_e32 vcc_lo, v8, v6
	v_cvt_f32_f16_e32 v3, v3
	v_cvt_f32_f16_e32 v11, v11
	v_max3_f32 v10, v10, v1, v7
	v_cndmask_b32_e32 v8, v4, v8, vcc_lo
	v_cmp_lt_i32_e32 vcc_lo, v12, v6
	s_delay_alu instid0(VALU_DEP_3) | instskip(NEXT) | instid1(VALU_DEP_3)
	v_max3_f32 v10, v10, v2, v9
	v_lshlrev_b32_e32 v18, 2, v8
	v_cndmask_b32_e32 v4, v4, v12, vcc_lo
	s_delay_alu instid0(VALU_DEP_3) | instskip(SKIP_3) | instid1(VALU_DEP_1)
	v_max3_f32 v8, v10, v3, v11
	ds_bpermute_b32 v10, v18, v8
	s_waitcnt lgkmcnt(0)
	v_dual_max_f32 v6, v10, v10 :: v_dual_lshlrev_b32 v19, 2, v4
	v_max_f32_e32 v4, v8, v6
	ds_bpermute_b32 v6, v19, v4
	s_waitcnt lgkmcnt(0)
	v_max_f32_e32 v6, v6, v6
	s_delay_alu instid0(VALU_DEP_1) | instskip(NEXT) | instid1(VALU_DEP_1)
	v_max_f32_e32 v4, v4, v6
	v_sub_f32_e32 v5, v5, v4
	v_sub_f32_e32 v6, v7, v4
	;; [unrolled: 1-line block ×4, first 2 shown]
	s_delay_alu instid0(VALU_DEP_4) | instskip(SKIP_1) | instid1(VALU_DEP_3)
	v_dual_sub_f32 v2, v2, v4 :: v_dual_mul_f32 v9, 0x3fb8aa3b, v5
	v_sub_f32_e32 v3, v3, v4
	v_dual_mul_f32 v13, 0x3fb8aa3b, v7 :: v_dual_mul_f32 v10, 0x3fb8aa3b, v1
	s_delay_alu instid0(VALU_DEP_3) | instskip(SKIP_1) | instid1(VALU_DEP_3)
	v_fma_f32 v22, 0x3fb8aa3b, v5, -v9
	v_rndne_f32_e32 v23, v9
	v_fma_f32 v30, 0x3fb8aa3b, v7, -v13
	v_rndne_f32_e32 v31, v13
	v_sub_f32_e32 v0, v0, v4
	s_delay_alu instid0(VALU_DEP_4) | instskip(NEXT) | instid1(VALU_DEP_4)
	v_dual_fmac_f32 v22, 0x32a5705f, v5 :: v_dual_sub_f32 v9, v9, v23
	v_fmac_f32_e32 v30, 0x32a5705f, v7
	s_delay_alu instid0(VALU_DEP_4) | instskip(SKIP_1) | instid1(VALU_DEP_4)
	v_dual_sub_f32 v13, v13, v31 :: v_dual_sub_f32 v4, v11, v4
	v_fma_f32 v24, 0x3fb8aa3b, v1, -v10
	v_add_f32_e32 v9, v9, v22
	v_mul_f32_e32 v11, 0x3fb8aa3b, v6
	s_delay_alu instid0(VALU_DEP_4) | instskip(SKIP_2) | instid1(VALU_DEP_4)
	v_dual_add_f32 v13, v13, v30 :: v_dual_mul_f32 v14, 0x3fb8aa3b, v3
	v_mul_f32_e32 v15, 0x3fb8aa3b, v4
	v_rndne_f32_e32 v25, v10
	v_fma_f32 v26, 0x3fb8aa3b, v6, -v11
	v_rndne_f32_e32 v27, v11
	v_fmac_f32_e32 v24, 0x32a5705f, v1
	v_fma_f32 v34, 0x3fb8aa3b, v4, -v15
	v_rndne_f32_e32 v35, v15
	s_delay_alu instid0(VALU_DEP_4) | instskip(SKIP_1) | instid1(VALU_DEP_3)
	v_dual_fmac_f32 v26, 0x32a5705f, v6 :: v_dual_sub_f32 v11, v11, v27
	v_mul_f32_e32 v8, 0x3fb8aa3b, v0
	v_dual_fmac_f32 v34, 0x32a5705f, v4 :: v_dual_sub_f32 v15, v15, v35
	s_delay_alu instid0(VALU_DEP_3) | instskip(NEXT) | instid1(VALU_DEP_3)
	v_dual_sub_f32 v10, v10, v25 :: v_dual_add_f32 v11, v11, v26
	v_fma_f32 v20, 0x3fb8aa3b, v0, -v8
	v_rndne_f32_e32 v21, v8
	s_delay_alu instid0(VALU_DEP_3) | instskip(SKIP_1) | instid1(VALU_DEP_3)
	v_dual_add_f32 v15, v15, v34 :: v_dual_add_f32 v10, v10, v24
	v_exp_f32_e32 v9, v9
	v_fmac_f32_e32 v20, 0x32a5705f, v0
	s_delay_alu instid0(VALU_DEP_3)
	v_sub_f32_e32 v8, v8, v21
	v_cvt_i32_f32_e32 v21, v21
	v_cvt_i32_f32_e32 v23, v23
	v_exp_f32_e32 v10, v10
	v_cmp_ngt_f32_e32 vcc_lo, 0xc2ce8ed0, v0
	v_add_f32_e32 v8, v8, v20
	v_cvt_i32_f32_e32 v25, v25
	v_exp_f32_e32 v13, v13
	v_ldexp_f32 v9, v9, v23
	v_cvt_i32_f32_e32 v31, v31
	v_exp_f32_e32 v8, v8
	v_exp_f32_e32 v11, v11
	v_cvt_i32_f32_e32 v27, v27
	v_ldexp_f32 v10, v10, v25
	v_fma_f32 v32, 0x3fb8aa3b, v3, -v14
	v_rndne_f32_e32 v33, v14
	v_exp_f32_e32 v15, v15
	v_ldexp_f32 v13, v13, v31
	v_cvt_i32_f32_e32 v22, v35
	s_delay_alu instid0(TRANS32_DEP_3) | instskip(NEXT) | instid1(TRANS32_DEP_2)
	v_ldexp_f32 v8, v8, v21
	v_ldexp_f32 v11, v11, v27
	v_sub_f32_e32 v14, v14, v33
	v_cvt_i32_f32_e32 v20, v33
	s_delay_alu instid0(VALU_DEP_4) | instskip(SKIP_4) | instid1(VALU_DEP_3)
	v_cndmask_b32_e32 v8, 0, v8, vcc_lo
	v_cmp_ngt_f32_e32 vcc_lo, 0xc2ce8ed0, v5
	v_mul_f32_e32 v12, 0x3fb8aa3b, v2
	v_ldexp_f32 v15, v15, v22
	v_cndmask_b32_e32 v9, 0, v9, vcc_lo
	v_fma_f32 v28, 0x3fb8aa3b, v2, -v12
	v_rndne_f32_e32 v29, v12
	v_cmp_ngt_f32_e32 vcc_lo, 0xc2ce8ed0, v1
	s_delay_alu instid0(VALU_DEP_3) | instskip(NEXT) | instid1(VALU_DEP_3)
	v_fmac_f32_e32 v28, 0x32a5705f, v2
	v_sub_f32_e32 v12, v12, v29
	v_cndmask_b32_e32 v10, 0, v10, vcc_lo
	v_cmp_nlt_f32_e32 vcc_lo, 0x42b17218, v0
	v_cvt_i32_f32_e32 v29, v29
	s_delay_alu instid0(VALU_DEP_4) | instskip(SKIP_2) | instid1(VALU_DEP_3)
	v_add_f32_e32 v12, v12, v28
	v_cndmask_b32_e32 v0, 0x7f800000, v8, vcc_lo
	v_cmp_nlt_f32_e32 vcc_lo, 0x42b17218, v5
	v_exp_f32_e32 v12, v12
	v_cndmask_b32_e32 v5, 0x7f800000, v9, vcc_lo
	v_cmp_ngt_f32_e32 vcc_lo, 0xc2ce8ed0, v6
	s_delay_alu instid0(VALU_DEP_2)
	v_dual_fmac_f32 v32, 0x32a5705f, v3 :: v_dual_add_f32 v9, v0, v5
	v_cndmask_b32_e32 v8, 0, v11, vcc_lo
	v_cmp_nlt_f32_e32 vcc_lo, 0x42b17218, v1
	s_waitcnt_depctr 0xfff
	v_ldexp_f32 v12, v12, v29
	v_dual_add_f32 v14, v14, v32 :: v_dual_cndmask_b32 v1, 0x7f800000, v10
	v_cmp_ngt_f32_e32 vcc_lo, 0xc2ce8ed0, v2
	s_delay_alu instid0(VALU_DEP_2) | instskip(NEXT) | instid1(VALU_DEP_3)
	v_exp_f32_e32 v14, v14
	v_cndmask_b32_e32 v10, 0, v12, vcc_lo
	v_cmp_nlt_f32_e32 vcc_lo, 0x42b17218, v6
	v_cndmask_b32_e32 v6, 0x7f800000, v8, vcc_lo
	v_cmp_ngt_f32_e32 vcc_lo, 0xc2ce8ed0, v7
	v_add_f32_e32 v8, v9, v1
	s_waitcnt_depctr 0xfff
	v_ldexp_f32 v14, v14, v20
	v_lshlrev_b32_e32 v20, 3, v17
	v_cndmask_b32_e32 v9, 0, v13, vcc_lo
	v_cmp_nlt_f32_e32 vcc_lo, 0x42b17218, v2
	v_add_f32_e32 v8, v8, v6
	v_cndmask_b32_e32 v2, 0x7f800000, v10, vcc_lo
	v_cmp_ngt_f32_e32 vcc_lo, 0xc2ce8ed0, v3
	s_delay_alu instid0(VALU_DEP_2) | instskip(SKIP_4) | instid1(VALU_DEP_2)
	v_add_f32_e32 v8, v8, v2
	v_cndmask_b32_e32 v10, 0, v14, vcc_lo
	v_cmp_nlt_f32_e32 vcc_lo, 0x42b17218, v7
	v_cndmask_b32_e32 v7, 0x7f800000, v9, vcc_lo
	v_cmp_ngt_f32_e32 vcc_lo, 0xc2ce8ed0, v4
	v_add_f32_e32 v8, v8, v7
	v_cndmask_b32_e32 v9, 0, v15, vcc_lo
	v_cmp_nlt_f32_e32 vcc_lo, 0x42b17218, v3
	v_cndmask_b32_e32 v3, 0x7f800000, v10, vcc_lo
	v_cmp_nlt_f32_e32 vcc_lo, 0x42b17218, v4
	s_delay_alu instid0(VALU_DEP_2) | instskip(SKIP_1) | instid1(VALU_DEP_1)
	v_add_f32_e32 v8, v8, v3
	v_cndmask_b32_e32 v4, 0x7f800000, v9, vcc_lo
	v_add_f32_e32 v8, v8, v4
	ds_bpermute_b32 v9, v18, v8
	s_waitcnt lgkmcnt(0)
	v_add_f32_e32 v8, v8, v9
	ds_bpermute_b32 v9, v19, v8
	s_waitcnt lgkmcnt(0)
	v_add_f32_e32 v8, v8, v9
	s_delay_alu instid0(VALU_DEP_1) | instskip(SKIP_1) | instid1(VALU_DEP_2)
	v_div_scale_f32 v9, null, v8, v8, 1.0
	v_div_scale_f32 v12, vcc_lo, 1.0, v8, 1.0
	v_rcp_f32_e32 v10, v9
	s_waitcnt_depctr 0xfff
	v_fma_f32 v11, -v9, v10, 1.0
	s_delay_alu instid0(VALU_DEP_1) | instskip(NEXT) | instid1(VALU_DEP_1)
	v_fmac_f32_e32 v10, v11, v10
	v_mul_f32_e32 v11, v12, v10
	s_delay_alu instid0(VALU_DEP_1) | instskip(NEXT) | instid1(VALU_DEP_1)
	v_fma_f32 v13, -v9, v11, v12
	v_fmac_f32_e32 v11, v13, v10
	s_delay_alu instid0(VALU_DEP_1) | instskip(NEXT) | instid1(VALU_DEP_1)
	v_fma_f32 v9, -v9, v11, v12
	v_div_fmas_f32 v9, v9, v10, v11
	s_delay_alu instid0(VALU_DEP_1) | instskip(NEXT) | instid1(VALU_DEP_1)
	v_div_fixup_f32 v8, v9, v8, 1.0
	v_mul_f32_e32 v0, v8, v0
	v_mul_f32_e32 v5, v8, v5
	v_mul_f32_e32 v9, v8, v1
	v_mul_f32_e32 v6, v8, v6
	v_mul_f32_e32 v10, v8, v2
	v_cmp_class_f32_e64 vcc_lo, v0, 0x1f8
	v_mul_f32_e32 v7, v8, v7
	v_mul_f32_e32 v11, v8, v3
	;; [unrolled: 1-line block ×3, first 2 shown]
	v_cndmask_b32_e32 v0, 0, v0, vcc_lo
	v_cmp_class_f32_e64 vcc_lo, v5, 0x1f8
	v_cndmask_b32_e32 v1, 0, v5, vcc_lo
	v_cmp_class_f32_e64 vcc_lo, v9, 0x1f8
	;; [unrolled: 2-line block ×7, first 2 shown]
	v_cndmask_b32_e32 v7, 0, v8, vcc_lo
	s_cbranch_scc1 .LBB118_23
; %bb.4:
	v_lshlrev_b32_e32 v12, 2, v20
	s_clause 0x1
	global_load_b128 v[8:11], v12, s[2:3]
	global_load_b128 v[12:15], v12, s[2:3] offset:16
	s_waitcnt vmcnt(1)
	v_dual_add_f32 v9, v9, v1 :: v_dual_add_f32 v8, v8, v0
	v_dual_add_f32 v11, v11, v3 :: v_dual_add_f32 v10, v10, v2
	s_waitcnt vmcnt(0)
	v_dual_add_f32 v13, v13, v5 :: v_dual_add_f32 v12, v12, v4
	v_dual_add_f32 v15, v15, v7 :: v_dual_add_f32 v14, v14, v6
	s_cbranch_execnz .LBB118_6
.LBB118_5:
	v_dual_mov_b32 v15, v7 :: v_dual_mov_b32 v14, v6
	v_dual_mov_b32 v13, v5 :: v_dual_mov_b32 v12, v4
	;; [unrolled: 1-line block ×4, first 2 shown]
.LBB118_6:
	s_load_b128 s[4:7], s[0:1], 0x30
	v_cmp_eq_u32_e64 s2, 0, v17
	s_waitcnt lgkmcnt(0)
	s_bitcmp1_b32 s7, 0
	s_mov_b32 s7, 0
	s_cselect_b32 vcc_lo, -1, 0
	s_cmp_gt_i32 s4, 0
	s_cselect_b32 s3, -1, 0
	s_cmp_lt_i32 s4, 1
	s_cbranch_scc1 .LBB118_24
; %bb.7:
	s_load_b128 s[8:11], s[0:1], 0x20
	v_mul_lo_u32 v22, v16, s4
	v_mov_b32_e32 v21, 0
	v_mov_b32_e32 v23, v16
	s_branch .LBB118_10
.LBB118_8:                              ;   in Loop: Header=BB118_10 Depth=1
	s_or_b32 exec_lo, exec_lo, s1
.LBB118_9:                              ;   in Loop: Header=BB118_10 Depth=1
	v_add_nc_u32_e32 v23, s14, v23
	s_cmp_eq_u32 s4, s7
	s_cbranch_scc1 .LBB118_25
.LBB118_10:                             ; =>This Inner Loop Header: Depth=1
	v_cmp_gt_f32_e64 s0, v9, v8
	s_mov_b32 s17, exec_lo
	s_delay_alu instid0(VALU_DEP_1) | instskip(SKIP_2) | instid1(VALU_DEP_3)
	v_cndmask_b32_e64 v24, v8, v9, s0
	v_cndmask_b32_e64 v25, 0, 1, s0
	;; [unrolled: 1-line block ×3, first 2 shown]
	v_cmp_gt_f32_e64 s1, v10, v24
	s_delay_alu instid0(VALU_DEP_1) | instskip(NEXT) | instid1(VALU_DEP_4)
	v_cndmask_b32_e64 v24, v24, v10, s1
	v_cndmask_b32_e64 v25, v25, 2, s1
	s_delay_alu instid0(VALU_DEP_4) | instskip(NEXT) | instid1(VALU_DEP_3)
	v_cndmask_b32_e64 v26, v26, v2, s1
	v_cmp_gt_f32_e64 s0, v11, v24
	s_delay_alu instid0(VALU_DEP_1) | instskip(NEXT) | instid1(VALU_DEP_4)
	v_cndmask_b32_e64 v24, v24, v11, s0
	v_cndmask_b32_e64 v25, v25, 3, s0
	s_delay_alu instid0(VALU_DEP_4) | instskip(NEXT) | instid1(VALU_DEP_3)
	v_cndmask_b32_e64 v26, v26, v3, s0
	;; [unrolled: 6-line block ×4, first 2 shown]
	v_cmp_gt_f32_e64 s1, v14, v24
	s_delay_alu instid0(VALU_DEP_1) | instskip(NEXT) | instid1(VALU_DEP_4)
	v_cndmask_b32_e64 v24, v24, v14, s1
	v_cndmask_b32_e64 v25, v25, 6, s1
	s_waitcnt lgkmcnt(0)
	v_cndmask_b32_e64 v27, v26, v6, s1
	s_delay_alu instid0(VALU_DEP_3) | instskip(NEXT) | instid1(VALU_DEP_1)
	v_cmp_gt_f32_e64 s0, v15, v24
	v_cndmask_b32_e64 v26, v24, v15, s0
	v_cndmask_b32_e64 v24, v25, 7, s0
	s_delay_alu instid0(VALU_DEP_4)
	v_cndmask_b32_e64 v25, v27, v7, s0
	ds_bpermute_b32 v27, v18, v26
	v_or_b32_e32 v24, v20, v24
	ds_bpermute_b32 v29, v18, v25
	ds_bpermute_b32 v28, v18, v24
	s_waitcnt lgkmcnt(0)
	v_cmp_lt_f32_e64 s16, v26, v27
	v_cmpx_nlt_f32_e32 v26, v27
; %bb.11:                               ;   in Loop: Header=BB118_10 Depth=1
	v_cmp_eq_f32_e64 s0, v26, v27
	v_cmp_lt_i32_e64 s1, v28, v24
	s_delay_alu instid0(VALU_DEP_1) | instskip(SKIP_2) | instid1(SALU_CYCLE_1)
	s_and_b32 s0, s0, s1
	s_and_not1_b32 s1, s16, exec_lo
	s_and_b32 s0, s0, exec_lo
	s_or_b32 s16, s1, s0
; %bb.12:                               ;   in Loop: Header=BB118_10 Depth=1
	s_or_b32 exec_lo, exec_lo, s17
	s_and_saveexec_b32 s0, s16
; %bb.13:                               ;   in Loop: Header=BB118_10 Depth=1
	v_dual_mov_b32 v25, v29 :: v_dual_mov_b32 v26, v27
	v_mov_b32_e32 v24, v28
; %bb.14:                               ;   in Loop: Header=BB118_10 Depth=1
	s_or_b32 exec_lo, exec_lo, s0
	ds_bpermute_b32 v29, v19, v26
	ds_bpermute_b32 v28, v19, v25
	;; [unrolled: 1-line block ×3, first 2 shown]
	s_mov_b32 s17, exec_lo
	s_waitcnt lgkmcnt(2)
	v_cmp_lt_f32_e64 s16, v26, v29
	v_cmpx_nlt_f32_e32 v26, v29
	s_cbranch_execnz .LBB118_18
; %bb.15:                               ;   in Loop: Header=BB118_10 Depth=1
	s_or_b32 exec_lo, exec_lo, s17
	s_delay_alu instid0(VALU_DEP_2)
	s_and_saveexec_b32 s0, s16
	s_cbranch_execnz .LBB118_19
.LBB118_16:                             ;   in Loop: Header=BB118_10 Depth=1
	s_or_b32 exec_lo, exec_lo, s0
	s_and_saveexec_b32 s16, s2
	s_cbranch_execnz .LBB118_20
.LBB118_17:                             ;   in Loop: Header=BB118_10 Depth=1
	s_or_b32 exec_lo, exec_lo, s16
	s_add_i32 s7, s7, 1
	s_delay_alu instid0(SALU_CYCLE_1)
	s_cmp_ge_i32 s7, s4
	s_cbranch_scc1 .LBB118_9
	s_branch .LBB118_21
.LBB118_18:                             ;   in Loop: Header=BB118_10 Depth=1
	v_cmp_eq_f32_e64 s0, v26, v29
	s_waitcnt lgkmcnt(0)
	v_cmp_lt_i32_e64 s1, v27, v24
	s_delay_alu instid0(VALU_DEP_1) | instskip(SKIP_2) | instid1(SALU_CYCLE_1)
	s_and_b32 s0, s0, s1
	s_and_not1_b32 s1, s16, exec_lo
	s_and_b32 s0, s0, exec_lo
	s_or_b32 s16, s1, s0
	s_or_b32 exec_lo, exec_lo, s17
	s_and_saveexec_b32 s0, s16
	s_cbranch_execz .LBB118_16
.LBB118_19:                             ;   in Loop: Header=BB118_10 Depth=1
	s_waitcnt lgkmcnt(0)
	v_dual_mov_b32 v25, v28 :: v_dual_mov_b32 v24, v27
	s_or_b32 exec_lo, exec_lo, s0
	s_and_saveexec_b32 s16, s2
	s_cbranch_execz .LBB118_17
.LBB118_20:                             ;   in Loop: Header=BB118_10 Depth=1
	v_add_nc_u32_e32 v26, s7, v22
	v_subrev_nc_u32_e32 v30, s5, v24
	v_cmp_le_i32_e64 s0, s5, v24
	v_cmp_gt_i32_e64 s1, s6, v24
	v_add_f32_e32 v34, v21, v25
	s_waitcnt lgkmcnt(0)
	v_ashrrev_i32_e32 v27, 31, v26
	v_ashrrev_i32_e32 v31, 31, v30
	s_and_b32 s0, s0, s1
	v_cndmask_b32_e32 v21, v21, v34, vcc_lo
	s_delay_alu instid0(VALU_DEP_3) | instskip(SKIP_2) | instid1(SALU_CYCLE_1)
	v_lshlrev_b64 v[28:29], 2, v[26:27]
	v_lshlrev_b64 v[26:27], 3, v[26:27]
	s_and_b32 s0, s15, s0
	v_cndmask_b32_e64 v31, 0, v31, s0
	v_cndmask_b32_e64 v30, 32, v30, s0
	s_delay_alu instid0(VALU_DEP_4) | instskip(NEXT) | instid1(VALU_DEP_1)
	v_add_co_u32 v32, s0, s12, v28
	v_add_co_ci_u32_e64 v33, s0, s13, v29, s0
	v_add_co_u32 v26, s0, s8, v26
	s_delay_alu instid0(VALU_DEP_1) | instskip(SKIP_1) | instid1(VALU_DEP_1)
	v_add_co_ci_u32_e64 v27, s0, s9, v27, s0
	v_add_co_u32 v28, s0, s10, v28
	v_add_co_ci_u32_e64 v29, s0, s11, v29, s0
	global_store_b32 v[32:33], v25, off
	global_store_b64 v[26:27], v[30:31], off
	global_store_b32 v[28:29], v23, off
	s_or_b32 exec_lo, exec_lo, s16
	s_add_i32 s7, s7, 1
	s_delay_alu instid0(SALU_CYCLE_1)
	s_cmp_ge_i32 s7, s4
	s_cbranch_scc1 .LBB118_9
.LBB118_21:                             ;   in Loop: Header=BB118_10 Depth=1
	v_ashrrev_i32_e32 v26, 31, v24
	s_mov_b32 s1, exec_lo
	s_delay_alu instid0(VALU_DEP_1) | instskip(NEXT) | instid1(VALU_DEP_1)
	v_lshrrev_b32_e32 v25, 29, v26
	v_add_nc_u32_e32 v25, v24, v25
	s_delay_alu instid0(VALU_DEP_1) | instskip(SKIP_1) | instid1(VALU_DEP_1)
	v_ashrrev_i32_e32 v25, 3, v25
	s_waitcnt lgkmcnt(0)
	v_lshrrev_b32_e32 v27, 30, v25
	s_delay_alu instid0(VALU_DEP_1) | instskip(NEXT) | instid1(VALU_DEP_1)
	v_add_nc_u32_e32 v27, v25, v27
	v_and_b32_e32 v27, -4, v27
	s_delay_alu instid0(VALU_DEP_1) | instskip(NEXT) | instid1(VALU_DEP_1)
	v_sub_nc_u32_e32 v27, v25, v27
	v_cmpx_eq_u32_e64 v17, v27
	s_cbranch_execz .LBB118_8
; %bb.22:                               ;   in Loop: Header=BB118_10 Depth=1
	v_lshrrev_b32_e32 v26, 27, v26
	v_lshlrev_b32_e32 v25, 3, v25
	s_delay_alu instid0(VALU_DEP_2) | instskip(NEXT) | instid1(VALU_DEP_2)
	v_add_nc_u32_e32 v26, v24, v26
	v_sub_nc_u32_e32 v24, v24, v25
	s_delay_alu instid0(VALU_DEP_2) | instskip(NEXT) | instid1(VALU_DEP_1)
	v_ashrrev_i32_e32 v25, 5, v26
	v_lshl_add_u32 v24, v25, 3, v24
	s_delay_alu instid0(VALU_DEP_1) | instskip(NEXT) | instid1(VALU_DEP_1)
	v_cmp_ne_u32_e64 s0, 7, v24
	v_cndmask_b32_e64 v15, 0xc61c4000, v15, s0
	v_cmp_ne_u32_e64 s0, 6, v24
	s_delay_alu instid0(VALU_DEP_1) | instskip(SKIP_1) | instid1(VALU_DEP_1)
	v_cndmask_b32_e64 v14, 0xc61c4000, v14, s0
	v_cmp_ne_u32_e64 s0, 5, v24
	v_cndmask_b32_e64 v13, 0xc61c4000, v13, s0
	v_cmp_ne_u32_e64 s0, 4, v24
	s_delay_alu instid0(VALU_DEP_1) | instskip(SKIP_1) | instid1(VALU_DEP_1)
	v_cndmask_b32_e64 v12, 0xc61c4000, v12, s0
	;; [unrolled: 5-line block ×3, first 2 shown]
	v_cmp_ne_u32_e64 s0, 1, v24
	v_cndmask_b32_e64 v9, 0xc61c4000, v9, s0
	v_cmp_ne_u32_e64 s0, 0, v24
	s_delay_alu instid0(VALU_DEP_1)
	v_cndmask_b32_e64 v8, 0xc61c4000, v8, s0
	s_branch .LBB118_8
.LBB118_23:
                                        ; implicit-def: $vgpr8_vgpr9_vgpr10_vgpr11_vgpr12_vgpr13_vgpr14_vgpr15
	s_and_not1_b32 vcc_lo, exec_lo, s8
	s_cbranch_vccz .LBB118_5
	s_branch .LBB118_6
.LBB118_24:
	v_mov_b32_e32 v21, 0
.LBB118_25:
	v_cmp_eq_u32_e64 s0, 0, v17
	s_delay_alu instid0(VALU_DEP_1) | instskip(NEXT) | instid1(SALU_CYCLE_1)
	s_and_b32 s0, s0, vcc_lo
	s_and_b32 exec_lo, exec_lo, s0
	s_cbranch_execz .LBB118_29
; %bb.26:
	s_and_not1_b32 vcc_lo, exec_lo, s3
	s_cbranch_vccnz .LBB118_29
; %bb.27:
	v_mul_lo_u32 v0, v16, s4
	v_cmp_lt_f32_e32 vcc_lo, 0, v21
	v_cndmask_b32_e32 v2, 1.0, v21, vcc_lo
	s_delay_alu instid0(VALU_DEP_3) | instskip(NEXT) | instid1(VALU_DEP_1)
	v_ashrrev_i32_e32 v1, 31, v0
	v_lshlrev_b64 v[0:1], 2, v[0:1]
	s_delay_alu instid0(VALU_DEP_1) | instskip(NEXT) | instid1(VALU_DEP_2)
	v_add_co_u32 v0, vcc_lo, s12, v0
	v_add_co_ci_u32_e32 v1, vcc_lo, s13, v1, vcc_lo
	.p2align	6
.LBB118_28:                             ; =>This Inner Loop Header: Depth=1
	global_load_b32 v3, v[0:1], off
	s_add_i32 s4, s4, -1
	s_delay_alu instid0(SALU_CYCLE_1) | instskip(SKIP_3) | instid1(VALU_DEP_2)
	s_cmp_lg_u32 s4, 0
	s_waitcnt vmcnt(0)
	v_div_scale_f32 v4, null, v2, v2, v3
	v_div_scale_f32 v7, vcc_lo, v3, v2, v3
	v_rcp_f32_e32 v5, v4
	s_waitcnt_depctr 0xfff
	v_fma_f32 v6, -v4, v5, 1.0
	s_delay_alu instid0(VALU_DEP_1) | instskip(NEXT) | instid1(VALU_DEP_1)
	v_fmac_f32_e32 v5, v6, v5
	v_mul_f32_e32 v6, v7, v5
	s_delay_alu instid0(VALU_DEP_1) | instskip(NEXT) | instid1(VALU_DEP_1)
	v_fma_f32 v8, -v4, v6, v7
	v_fmac_f32_e32 v6, v8, v5
	s_delay_alu instid0(VALU_DEP_1) | instskip(NEXT) | instid1(VALU_DEP_1)
	v_fma_f32 v4, -v4, v6, v7
	v_div_fmas_f32 v4, v4, v5, v6
	s_delay_alu instid0(VALU_DEP_1)
	v_div_fixup_f32 v3, v4, v2, v3
	global_store_b32 v[0:1], v3, off
	v_add_co_u32 v0, vcc_lo, v0, 4
	v_add_co_ci_u32_e32 v1, vcc_lo, 0, v1, vcc_lo
	s_cbranch_scc1 .LBB118_28
.LBB118_29:
	s_nop 0
	s_sendmsg sendmsg(MSG_DEALLOC_VGPRS)
	s_endpgm
	.section	.rodata,"a",@progbits
	.p2align	6, 0x0
	.amdhsa_kernel _ZN4vllm3moe10topkGatingILi8ELi32ELi4ELi16ELi32El6__halfLNS0_11ScoringFuncE0EEEvPKT5_PKbPfiPT4_PiiiibPKf
		.amdhsa_group_segment_fixed_size 0
		.amdhsa_private_segment_fixed_size 0
		.amdhsa_kernarg_size 72
		.amdhsa_user_sgpr_count 15
		.amdhsa_user_sgpr_dispatch_ptr 0
		.amdhsa_user_sgpr_queue_ptr 0
		.amdhsa_user_sgpr_kernarg_segment_ptr 1
		.amdhsa_user_sgpr_dispatch_id 0
		.amdhsa_user_sgpr_private_segment_size 0
		.amdhsa_wavefront_size32 1
		.amdhsa_uses_dynamic_stack 0
		.amdhsa_enable_private_segment 0
		.amdhsa_system_sgpr_workgroup_id_x 1
		.amdhsa_system_sgpr_workgroup_id_y 0
		.amdhsa_system_sgpr_workgroup_id_z 0
		.amdhsa_system_sgpr_workgroup_info 0
		.amdhsa_system_vgpr_workitem_id 1
		.amdhsa_next_free_vgpr 36
		.amdhsa_next_free_sgpr 18
		.amdhsa_reserve_vcc 1
		.amdhsa_float_round_mode_32 0
		.amdhsa_float_round_mode_16_64 0
		.amdhsa_float_denorm_mode_32 3
		.amdhsa_float_denorm_mode_16_64 3
		.amdhsa_dx10_clamp 1
		.amdhsa_ieee_mode 1
		.amdhsa_fp16_overflow 0
		.amdhsa_workgroup_processor_mode 1
		.amdhsa_memory_ordered 1
		.amdhsa_forward_progress 0
		.amdhsa_shared_vgpr_count 0
		.amdhsa_exception_fp_ieee_invalid_op 0
		.amdhsa_exception_fp_denorm_src 0
		.amdhsa_exception_fp_ieee_div_zero 0
		.amdhsa_exception_fp_ieee_overflow 0
		.amdhsa_exception_fp_ieee_underflow 0
		.amdhsa_exception_fp_ieee_inexact 0
		.amdhsa_exception_int_div_zero 0
	.end_amdhsa_kernel
	.section	.text._ZN4vllm3moe10topkGatingILi8ELi32ELi4ELi16ELi32El6__halfLNS0_11ScoringFuncE0EEEvPKT5_PKbPfiPT4_PiiiibPKf,"axG",@progbits,_ZN4vllm3moe10topkGatingILi8ELi32ELi4ELi16ELi32El6__halfLNS0_11ScoringFuncE0EEEvPKT5_PKbPfiPT4_PiiiibPKf,comdat
.Lfunc_end118:
	.size	_ZN4vllm3moe10topkGatingILi8ELi32ELi4ELi16ELi32El6__halfLNS0_11ScoringFuncE0EEEvPKT5_PKbPfiPT4_PiiiibPKf, .Lfunc_end118-_ZN4vllm3moe10topkGatingILi8ELi32ELi4ELi16ELi32El6__halfLNS0_11ScoringFuncE0EEEvPKT5_PKbPfiPT4_PiiiibPKf
                                        ; -- End function
	.section	.AMDGPU.csdata,"",@progbits
; Kernel info:
; codeLenInByte = 3008
; NumSgprs: 20
; NumVgprs: 36
; ScratchSize: 0
; MemoryBound: 0
; FloatMode: 240
; IeeeMode: 1
; LDSByteSize: 0 bytes/workgroup (compile time only)
; SGPRBlocks: 2
; VGPRBlocks: 4
; NumSGPRsForWavesPerEU: 20
; NumVGPRsForWavesPerEU: 36
; Occupancy: 16
; WaveLimiterHint : 0
; COMPUTE_PGM_RSRC2:SCRATCH_EN: 0
; COMPUTE_PGM_RSRC2:USER_SGPR: 15
; COMPUTE_PGM_RSRC2:TRAP_HANDLER: 0
; COMPUTE_PGM_RSRC2:TGID_X_EN: 1
; COMPUTE_PGM_RSRC2:TGID_Y_EN: 0
; COMPUTE_PGM_RSRC2:TGID_Z_EN: 0
; COMPUTE_PGM_RSRC2:TIDIG_COMP_CNT: 1
	.section	.text._ZN4vllm3moe10topkGatingILi8ELi64ELi4ELi16ELi64El6__halfLNS0_11ScoringFuncE0EEEvPKT5_PKbPfiPT4_PiiiibPKf,"axG",@progbits,_ZN4vllm3moe10topkGatingILi8ELi64ELi4ELi16ELi64El6__halfLNS0_11ScoringFuncE0EEEvPKT5_PKbPfiPT4_PiiiibPKf,comdat
	.protected	_ZN4vllm3moe10topkGatingILi8ELi64ELi4ELi16ELi64El6__halfLNS0_11ScoringFuncE0EEEvPKT5_PKbPfiPT4_PiiiibPKf ; -- Begin function _ZN4vllm3moe10topkGatingILi8ELi64ELi4ELi16ELi64El6__halfLNS0_11ScoringFuncE0EEEvPKT5_PKbPfiPT4_PiiiibPKf
	.globl	_ZN4vllm3moe10topkGatingILi8ELi64ELi4ELi16ELi64El6__halfLNS0_11ScoringFuncE0EEEvPKT5_PKbPfiPT4_PiiiibPKf
	.p2align	8
	.type	_ZN4vllm3moe10topkGatingILi8ELi64ELi4ELi16ELi64El6__halfLNS0_11ScoringFuncE0EEEvPKT5_PKbPfiPT4_PiiiibPKf,@function
_ZN4vllm3moe10topkGatingILi8ELi64ELi4ELi16ELi64El6__halfLNS0_11ScoringFuncE0EEEvPKT5_PKbPfiPT4_PiiiibPKf: ; @_ZN4vllm3moe10topkGatingILi8ELi64ELi4ELi16ELi64El6__halfLNS0_11ScoringFuncE0EEEvPKT5_PKbPfiPT4_PiiiibPKf
; %bb.0:
	s_load_b32 s14, s[0:1], 0x18
	v_bfe_u32 v1, v0, 10, 10
	v_and_b32_e32 v0, 0x3ff, v0
	s_lshl_b32 s2, s15, 5
	s_delay_alu instid0(VALU_DEP_2) | instskip(NEXT) | instid1(VALU_DEP_2)
	v_lshlrev_b32_e32 v1, 3, v1
	v_lshrrev_b32_e32 v2, 3, v0
	s_delay_alu instid0(VALU_DEP_1) | instskip(SKIP_2) | instid1(VALU_DEP_1)
	v_add3_u32 v16, s2, v1, v2
	s_mov_b32 s2, exec_lo
	s_waitcnt lgkmcnt(0)
	v_cmpx_gt_i32_e64 s14, v16
	s_cbranch_execz .LBB119_33
; %bb.1:
	s_clause 0x1
	s_load_b128 s[4:7], s[0:1], 0x0
	s_load_b64 s[12:13], s[0:1], 0x10
	s_mov_b32 s8, -1
	s_mov_b32 s15, -1
	s_waitcnt lgkmcnt(0)
	s_cmp_eq_u64 s[6:7], 0
	s_cbranch_scc1 .LBB119_3
; %bb.2:
	v_ashrrev_i32_e32 v2, 31, v16
	v_add_co_u32 v1, vcc_lo, s6, v16
	s_delay_alu instid0(VALU_DEP_2) | instskip(SKIP_3) | instid1(VALU_DEP_1)
	v_add_co_ci_u32_e32 v2, vcc_lo, s7, v2, vcc_lo
	global_load_u8 v1, v[1:2], off
	s_waitcnt vmcnt(0)
	v_and_b32_e32 v1, 1, v1
	v_cmp_eq_u32_e32 vcc_lo, 1, v1
	s_xor_b32 s2, vcc_lo, -1
	s_delay_alu instid0(SALU_CYCLE_1)
	s_or_not1_b32 s15, s2, exec_lo
.LBB119_3:
	v_lshlrev_b32_e32 v1, 6, v16
	v_and_b32_e32 v17, 7, v0
	v_mbcnt_lo_u32_b32 v4, -1, 0
	s_load_b64 s[2:3], s[0:1], 0x40
	s_delay_alu instid0(VALU_DEP_3) | instskip(NEXT) | instid1(VALU_DEP_2)
	v_ashrrev_i32_e32 v2, 31, v1
	v_and_b32_e32 v6, 24, v4
	v_xor_b32_e32 v8, 4, v4
	v_xor_b32_e32 v12, 2, v4
	s_delay_alu instid0(VALU_DEP_4) | instskip(SKIP_1) | instid1(VALU_DEP_2)
	v_lshlrev_b64 v[0:1], 1, v[1:2]
	v_lshlrev_b32_e32 v2, 4, v17
	v_add_co_u32 v0, vcc_lo, s4, v0
	s_delay_alu instid0(VALU_DEP_3) | instskip(NEXT) | instid1(VALU_DEP_2)
	v_add_co_ci_u32_e32 v1, vcc_lo, s5, v1, vcc_lo
	v_add_co_u32 v0, vcc_lo, v0, v2
	s_delay_alu instid0(VALU_DEP_2)
	v_add_co_ci_u32_e32 v1, vcc_lo, 0, v1, vcc_lo
	s_waitcnt lgkmcnt(0)
	s_cmp_eq_u64 s[2:3], 0
	global_load_b128 v[0:3], v[0:1], off
	s_waitcnt vmcnt(0)
	v_lshrrev_b32_e32 v5, 16, v0
	v_cvt_f32_f16_e32 v0, v0
	v_lshrrev_b32_e32 v7, 16, v1
	v_cvt_f32_f16_e32 v1, v1
	;; [unrolled: 2-line block ×3, first 2 shown]
	v_add_nc_u32_e32 v6, 8, v6
	v_cvt_f32_f16_e32 v7, v7
	v_cvt_f32_f16_e32 v2, v2
	v_lshrrev_b32_e32 v11, 16, v3
	v_max_f32_e32 v10, v0, v5
	v_cvt_f32_f16_e32 v9, v9
	v_cmp_lt_i32_e32 vcc_lo, v8, v6
	v_cvt_f32_f16_e32 v3, v3
	v_cvt_f32_f16_e32 v11, v11
	v_max3_f32 v10, v10, v1, v7
	v_cndmask_b32_e32 v8, v4, v8, vcc_lo
	v_cmp_lt_i32_e32 vcc_lo, v12, v6
	s_delay_alu instid0(VALU_DEP_3) | instskip(NEXT) | instid1(VALU_DEP_3)
	v_max3_f32 v10, v10, v2, v9
	v_lshlrev_b32_e32 v18, 2, v8
	v_cndmask_b32_e32 v12, v4, v12, vcc_lo
	s_delay_alu instid0(VALU_DEP_3) | instskip(SKIP_4) | instid1(VALU_DEP_2)
	v_max3_f32 v8, v10, v3, v11
	ds_bpermute_b32 v10, v18, v8
	s_waitcnt lgkmcnt(0)
	v_dual_max_f32 v10, v10, v10 :: v_dual_lshlrev_b32 v19, 2, v12
	v_xor_b32_e32 v12, 1, v4
	v_max_f32_e32 v8, v8, v10
	s_delay_alu instid0(VALU_DEP_2) | instskip(SKIP_2) | instid1(VALU_DEP_1)
	v_cmp_lt_i32_e32 vcc_lo, v12, v6
	ds_bpermute_b32 v10, v19, v8
	v_cndmask_b32_e32 v4, v4, v12, vcc_lo
	v_lshlrev_b32_e32 v20, 2, v4
	s_waitcnt lgkmcnt(0)
	v_max_f32_e32 v6, v10, v10
	s_delay_alu instid0(VALU_DEP_1) | instskip(SKIP_3) | instid1(VALU_DEP_1)
	v_max_f32_e32 v4, v8, v6
	ds_bpermute_b32 v6, v20, v4
	s_waitcnt lgkmcnt(0)
	v_max_f32_e32 v6, v6, v6
	v_max_f32_e32 v4, v4, v6
	s_delay_alu instid0(VALU_DEP_1) | instskip(SKIP_2) | instid1(VALU_DEP_3)
	v_sub_f32_e32 v5, v5, v4
	v_sub_f32_e32 v6, v7, v4
	;; [unrolled: 1-line block ×3, first 2 shown]
	v_mul_f32_e32 v9, 0x3fb8aa3b, v5
	s_delay_alu instid0(VALU_DEP_2) | instskip(NEXT) | instid1(VALU_DEP_2)
	v_mul_f32_e32 v13, 0x3fb8aa3b, v7
	v_rndne_f32_e32 v24, v9
	v_fma_f32 v23, 0x3fb8aa3b, v5, -v9
	s_delay_alu instid0(VALU_DEP_3) | instskip(SKIP_1) | instid1(VALU_DEP_4)
	v_rndne_f32_e32 v32, v13
	v_fma_f32 v31, 0x3fb8aa3b, v7, -v13
	v_sub_f32_e32 v9, v9, v24
	v_sub_f32_e32 v3, v3, v4
	;; [unrolled: 1-line block ×3, first 2 shown]
	s_delay_alu instid0(VALU_DEP_4) | instskip(SKIP_1) | instid1(VALU_DEP_4)
	v_fmac_f32_e32 v31, 0x32a5705f, v7
	v_fmac_f32_e32 v23, 0x32a5705f, v5
	v_dual_sub_f32 v13, v13, v32 :: v_dual_mul_f32 v14, 0x3fb8aa3b, v3
	v_cvt_i32_f32_e32 v24, v24
	v_cvt_i32_f32_e32 v32, v32
	s_delay_alu instid0(VALU_DEP_4) | instskip(NEXT) | instid1(VALU_DEP_4)
	v_add_f32_e32 v9, v9, v23
	v_add_f32_e32 v13, v13, v31
	v_fma_f32 v33, 0x3fb8aa3b, v3, -v14
	v_sub_f32_e32 v2, v2, v4
	v_rndne_f32_e32 v34, v14
	v_exp_f32_e32 v9, v9
	v_exp_f32_e32 v13, v13
	v_fmac_f32_e32 v33, 0x32a5705f, v3
	v_mul_f32_e32 v12, 0x3fb8aa3b, v2
	s_delay_alu instid0(VALU_DEP_1) | instskip(SKIP_3) | instid1(VALU_DEP_4)
	v_fma_f32 v29, 0x3fb8aa3b, v2, -v12
	v_sub_f32_e32 v0, v0, v4
	v_dual_sub_f32 v4, v11, v4 :: v_dual_mul_f32 v11, 0x3fb8aa3b, v6
	v_mul_f32_e32 v10, 0x3fb8aa3b, v1
	v_fmac_f32_e32 v29, 0x32a5705f, v2
	s_delay_alu instid0(VALU_DEP_4) | instskip(NEXT) | instid1(VALU_DEP_4)
	v_cmp_ngt_f32_e32 vcc_lo, 0xc2ce8ed0, v0
	v_mul_f32_e32 v15, 0x3fb8aa3b, v4
	v_fma_f32 v27, 0x3fb8aa3b, v6, -v11
	v_rndne_f32_e32 v28, v11
	v_rndne_f32_e32 v26, v10
	v_fma_f32 v25, 0x3fb8aa3b, v1, -v10
	v_fma_f32 v35, 0x3fb8aa3b, v4, -v15
	v_fmac_f32_e32 v27, 0x32a5705f, v6
	v_sub_f32_e32 v11, v11, v28
	v_mul_f32_e32 v8, 0x3fb8aa3b, v0
	v_rndne_f32_e32 v36, v15
	v_dual_sub_f32 v10, v10, v26 :: v_dual_fmac_f32 v35, 0x32a5705f, v4
	s_delay_alu instid0(VALU_DEP_4) | instskip(NEXT) | instid1(VALU_DEP_4)
	v_add_f32_e32 v11, v11, v27
	v_rndne_f32_e32 v22, v8
	s_delay_alu instid0(VALU_DEP_4) | instskip(SKIP_2) | instid1(VALU_DEP_3)
	v_sub_f32_e32 v15, v15, v36
	v_fma_f32 v21, 0x3fb8aa3b, v0, -v8
	v_dual_sub_f32 v14, v14, v34 :: v_dual_fmac_f32 v25, 0x32a5705f, v1
	v_dual_sub_f32 v8, v8, v22 :: v_dual_add_f32 v15, v15, v35
	s_delay_alu instid0(VALU_DEP_3)
	v_fmac_f32_e32 v21, 0x32a5705f, v0
	v_cvt_i32_f32_e32 v23, v36
	v_cvt_i32_f32_e32 v22, v22
	;; [unrolled: 1-line block ×3, first 2 shown]
	v_exp_f32_e32 v15, v15
	v_add_f32_e32 v8, v8, v21
	v_ldexp_f32 v9, v9, v24
	v_rndne_f32_e32 v30, v12
	v_exp_f32_e32 v11, v11
	v_cvt_i32_f32_e32 v28, v28
	v_exp_f32_e32 v8, v8
	v_ldexp_f32 v13, v13, v32
	v_sub_f32_e32 v12, v12, v30
	v_cvt_i32_f32_e32 v30, v30
	v_ldexp_f32 v15, v15, v23
	v_add_f32_e32 v10, v10, v25
	v_add_f32_e32 v14, v14, v33
	;; [unrolled: 1-line block ×3, first 2 shown]
	v_ldexp_f32 v11, v11, v28
	v_cvt_i32_f32_e32 v21, v34
	v_exp_f32_e32 v10, v10
	v_ldexp_f32 v8, v8, v22
	v_exp_f32_e32 v12, v12
	v_exp_f32_e32 v14, v14
	s_delay_alu instid0(VALU_DEP_1) | instskip(SKIP_1) | instid1(TRANS32_DEP_3)
	v_cndmask_b32_e32 v8, 0, v8, vcc_lo
	v_cmp_ngt_f32_e32 vcc_lo, 0xc2ce8ed0, v5
	v_ldexp_f32 v10, v10, v26
	v_cndmask_b32_e32 v9, 0, v9, vcc_lo
	v_cmp_ngt_f32_e32 vcc_lo, 0xc2ce8ed0, v1
	s_delay_alu instid0(TRANS32_DEP_2) | instskip(NEXT) | instid1(TRANS32_DEP_1)
	v_ldexp_f32 v12, v12, v30
	v_ldexp_f32 v14, v14, v21
	v_dual_cndmask_b32 v10, 0, v10 :: v_dual_lshlrev_b32 v21, 3, v17
	v_cmp_nlt_f32_e32 vcc_lo, 0x42b17218, v0
	v_cndmask_b32_e32 v0, 0x7f800000, v8, vcc_lo
	v_cmp_nlt_f32_e32 vcc_lo, 0x42b17218, v5
	v_cndmask_b32_e32 v5, 0x7f800000, v9, vcc_lo
	v_cmp_ngt_f32_e32 vcc_lo, 0xc2ce8ed0, v6
	s_delay_alu instid0(VALU_DEP_2)
	v_dual_add_f32 v9, v0, v5 :: v_dual_cndmask_b32 v8, 0, v11
	v_cmp_nlt_f32_e32 vcc_lo, 0x42b17218, v1
	v_cndmask_b32_e32 v1, 0x7f800000, v10, vcc_lo
	v_cmp_ngt_f32_e32 vcc_lo, 0xc2ce8ed0, v2
	v_cndmask_b32_e32 v10, 0, v12, vcc_lo
	v_cmp_nlt_f32_e32 vcc_lo, 0x42b17218, v6
	v_cndmask_b32_e32 v6, 0x7f800000, v8, vcc_lo
	v_cmp_ngt_f32_e32 vcc_lo, 0xc2ce8ed0, v7
	v_add_f32_e32 v8, v9, v1
	v_cndmask_b32_e32 v9, 0, v13, vcc_lo
	v_cmp_nlt_f32_e32 vcc_lo, 0x42b17218, v2
	s_delay_alu instid0(VALU_DEP_3) | instskip(SKIP_2) | instid1(VALU_DEP_2)
	v_add_f32_e32 v8, v8, v6
	v_cndmask_b32_e32 v2, 0x7f800000, v10, vcc_lo
	v_cmp_ngt_f32_e32 vcc_lo, 0xc2ce8ed0, v3
	v_add_f32_e32 v8, v8, v2
	v_cndmask_b32_e32 v10, 0, v14, vcc_lo
	v_cmp_nlt_f32_e32 vcc_lo, 0x42b17218, v7
	v_cndmask_b32_e32 v7, 0x7f800000, v9, vcc_lo
	v_cmp_ngt_f32_e32 vcc_lo, 0xc2ce8ed0, v4
	s_delay_alu instid0(VALU_DEP_2) | instskip(SKIP_4) | instid1(VALU_DEP_2)
	v_add_f32_e32 v8, v8, v7
	v_cndmask_b32_e32 v9, 0, v15, vcc_lo
	v_cmp_nlt_f32_e32 vcc_lo, 0x42b17218, v3
	v_cndmask_b32_e32 v3, 0x7f800000, v10, vcc_lo
	v_cmp_nlt_f32_e32 vcc_lo, 0x42b17218, v4
	v_add_f32_e32 v8, v8, v3
	v_cndmask_b32_e32 v4, 0x7f800000, v9, vcc_lo
	s_delay_alu instid0(VALU_DEP_1)
	v_add_f32_e32 v8, v8, v4
	ds_bpermute_b32 v9, v18, v8
	s_waitcnt lgkmcnt(0)
	v_add_f32_e32 v8, v8, v9
	ds_bpermute_b32 v9, v19, v8
	s_waitcnt lgkmcnt(0)
	;; [unrolled: 3-line block ×3, first 2 shown]
	v_add_f32_e32 v8, v8, v9
	s_delay_alu instid0(VALU_DEP_1) | instskip(SKIP_1) | instid1(VALU_DEP_2)
	v_div_scale_f32 v9, null, v8, v8, 1.0
	v_div_scale_f32 v12, vcc_lo, 1.0, v8, 1.0
	v_rcp_f32_e32 v10, v9
	s_waitcnt_depctr 0xfff
	v_fma_f32 v11, -v9, v10, 1.0
	s_delay_alu instid0(VALU_DEP_1) | instskip(NEXT) | instid1(VALU_DEP_1)
	v_fmac_f32_e32 v10, v11, v10
	v_mul_f32_e32 v11, v12, v10
	s_delay_alu instid0(VALU_DEP_1) | instskip(NEXT) | instid1(VALU_DEP_1)
	v_fma_f32 v13, -v9, v11, v12
	v_fmac_f32_e32 v11, v13, v10
	s_delay_alu instid0(VALU_DEP_1) | instskip(NEXT) | instid1(VALU_DEP_1)
	v_fma_f32 v9, -v9, v11, v12
	v_div_fmas_f32 v9, v9, v10, v11
	s_delay_alu instid0(VALU_DEP_1) | instskip(NEXT) | instid1(VALU_DEP_1)
	v_div_fixup_f32 v8, v9, v8, 1.0
	v_mul_f32_e32 v0, v8, v0
	v_mul_f32_e32 v5, v8, v5
	v_mul_f32_e32 v9, v8, v1
	v_mul_f32_e32 v6, v8, v6
	v_mul_f32_e32 v10, v8, v2
	v_cmp_class_f32_e64 vcc_lo, v0, 0x1f8
	v_mul_f32_e32 v7, v8, v7
	v_mul_f32_e32 v11, v8, v3
	;; [unrolled: 1-line block ×3, first 2 shown]
	v_cndmask_b32_e32 v0, 0, v0, vcc_lo
	v_cmp_class_f32_e64 vcc_lo, v5, 0x1f8
	v_cndmask_b32_e32 v1, 0, v5, vcc_lo
	v_cmp_class_f32_e64 vcc_lo, v9, 0x1f8
	;; [unrolled: 2-line block ×7, first 2 shown]
	v_cndmask_b32_e32 v7, 0, v8, vcc_lo
	s_cbranch_scc1 .LBB119_27
; %bb.4:
	v_lshlrev_b32_e32 v12, 2, v21
	s_clause 0x1
	global_load_b128 v[8:11], v12, s[2:3]
	global_load_b128 v[12:15], v12, s[2:3] offset:16
	s_waitcnt vmcnt(1)
	v_dual_add_f32 v11, v11, v3 :: v_dual_add_f32 v8, v8, v0
	v_dual_add_f32 v9, v9, v1 :: v_dual_add_f32 v10, v10, v2
	s_waitcnt vmcnt(0)
	v_dual_add_f32 v13, v13, v5 :: v_dual_add_f32 v12, v12, v4
	v_dual_add_f32 v15, v15, v7 :: v_dual_add_f32 v14, v14, v6
	s_cbranch_execnz .LBB119_6
.LBB119_5:
	v_dual_mov_b32 v15, v7 :: v_dual_mov_b32 v14, v6
	v_dual_mov_b32 v13, v5 :: v_dual_mov_b32 v12, v4
	;; [unrolled: 1-line block ×4, first 2 shown]
.LBB119_6:
	s_load_b128 s[4:7], s[0:1], 0x30
	v_cmp_eq_u32_e64 s2, 0, v17
	s_waitcnt lgkmcnt(0)
	s_bitcmp1_b32 s7, 0
	s_mov_b32 s7, 0
	s_cselect_b32 vcc_lo, -1, 0
	s_cmp_gt_i32 s4, 0
	s_cselect_b32 s3, -1, 0
	s_cmp_lt_i32 s4, 1
	s_cbranch_scc1 .LBB119_28
; %bb.7:
	s_load_b128 s[8:11], s[0:1], 0x20
	v_mul_lo_u32 v23, v16, s4
	v_mov_b32_e32 v22, 0
	v_mov_b32_e32 v24, v16
	s_branch .LBB119_10
.LBB119_8:                              ;   in Loop: Header=BB119_10 Depth=1
	s_or_b32 exec_lo, exec_lo, s1
.LBB119_9:                              ;   in Loop: Header=BB119_10 Depth=1
	v_add_nc_u32_e32 v24, s14, v24
	s_cmp_eq_u32 s4, s7
	s_cbranch_scc1 .LBB119_29
.LBB119_10:                             ; =>This Inner Loop Header: Depth=1
	v_cmp_gt_f32_e64 s0, v9, v8
	s_mov_b32 s17, exec_lo
	s_delay_alu instid0(VALU_DEP_1) | instskip(SKIP_2) | instid1(VALU_DEP_3)
	v_cndmask_b32_e64 v25, v8, v9, s0
	v_cndmask_b32_e64 v26, 0, 1, s0
	;; [unrolled: 1-line block ×3, first 2 shown]
	v_cmp_gt_f32_e64 s1, v10, v25
	s_delay_alu instid0(VALU_DEP_1) | instskip(NEXT) | instid1(VALU_DEP_4)
	v_cndmask_b32_e64 v25, v25, v10, s1
	v_cndmask_b32_e64 v26, v26, 2, s1
	s_delay_alu instid0(VALU_DEP_4) | instskip(NEXT) | instid1(VALU_DEP_3)
	v_cndmask_b32_e64 v27, v27, v2, s1
	v_cmp_gt_f32_e64 s0, v11, v25
	s_delay_alu instid0(VALU_DEP_1) | instskip(NEXT) | instid1(VALU_DEP_4)
	v_cndmask_b32_e64 v25, v25, v11, s0
	v_cndmask_b32_e64 v26, v26, 3, s0
	s_delay_alu instid0(VALU_DEP_4) | instskip(NEXT) | instid1(VALU_DEP_3)
	v_cndmask_b32_e64 v27, v27, v3, s0
	;; [unrolled: 6-line block ×4, first 2 shown]
	v_cmp_gt_f32_e64 s1, v14, v25
	s_delay_alu instid0(VALU_DEP_1) | instskip(NEXT) | instid1(VALU_DEP_4)
	v_cndmask_b32_e64 v25, v25, v14, s1
	v_cndmask_b32_e64 v26, v26, 6, s1
	s_waitcnt lgkmcnt(0)
	v_cndmask_b32_e64 v28, v27, v6, s1
	s_delay_alu instid0(VALU_DEP_3) | instskip(NEXT) | instid1(VALU_DEP_1)
	v_cmp_gt_f32_e64 s0, v15, v25
	v_cndmask_b32_e64 v27, v25, v15, s0
	v_cndmask_b32_e64 v25, v26, 7, s0
	s_delay_alu instid0(VALU_DEP_4)
	v_cndmask_b32_e64 v26, v28, v7, s0
	ds_bpermute_b32 v28, v18, v27
	v_or_b32_e32 v25, v21, v25
	ds_bpermute_b32 v30, v18, v26
	ds_bpermute_b32 v29, v18, v25
	s_waitcnt lgkmcnt(0)
	v_cmp_lt_f32_e64 s16, v27, v28
	v_cmpx_nlt_f32_e32 v27, v28
; %bb.11:                               ;   in Loop: Header=BB119_10 Depth=1
	v_cmp_eq_f32_e64 s0, v27, v28
	v_cmp_lt_i32_e64 s1, v29, v25
	s_delay_alu instid0(VALU_DEP_1) | instskip(SKIP_2) | instid1(SALU_CYCLE_1)
	s_and_b32 s0, s0, s1
	s_and_not1_b32 s1, s16, exec_lo
	s_and_b32 s0, s0, exec_lo
	s_or_b32 s16, s1, s0
; %bb.12:                               ;   in Loop: Header=BB119_10 Depth=1
	s_or_b32 exec_lo, exec_lo, s17
	s_and_saveexec_b32 s0, s16
; %bb.13:                               ;   in Loop: Header=BB119_10 Depth=1
	v_dual_mov_b32 v26, v30 :: v_dual_mov_b32 v27, v28
	v_mov_b32_e32 v25, v29
; %bb.14:                               ;   in Loop: Header=BB119_10 Depth=1
	s_or_b32 exec_lo, exec_lo, s0
	ds_bpermute_b32 v29, v19, v27
	ds_bpermute_b32 v30, v19, v26
	;; [unrolled: 1-line block ×3, first 2 shown]
	s_mov_b32 s17, exec_lo
	s_waitcnt lgkmcnt(2)
	v_cmp_lt_f32_e64 s16, v27, v29
	v_cmpx_nlt_f32_e32 v27, v29
	s_cbranch_execz .LBB119_16
; %bb.15:                               ;   in Loop: Header=BB119_10 Depth=1
	v_cmp_eq_f32_e64 s0, v27, v29
	s_waitcnt lgkmcnt(0)
	v_cmp_lt_i32_e64 s1, v28, v25
	s_delay_alu instid0(VALU_DEP_1) | instskip(SKIP_2) | instid1(SALU_CYCLE_1)
	s_and_b32 s0, s0, s1
	s_and_not1_b32 s1, s16, exec_lo
	s_and_b32 s0, s0, exec_lo
	s_or_b32 s16, s1, s0
.LBB119_16:                             ;   in Loop: Header=BB119_10 Depth=1
	s_or_b32 exec_lo, exec_lo, s17
	s_delay_alu instid0(VALU_DEP_2)
	s_and_saveexec_b32 s0, s16
	s_cbranch_execz .LBB119_18
; %bb.17:                               ;   in Loop: Header=BB119_10 Depth=1
	s_waitcnt lgkmcnt(1)
	v_dual_mov_b32 v26, v30 :: v_dual_mov_b32 v27, v29
	s_waitcnt lgkmcnt(0)
	v_mov_b32_e32 v25, v28
.LBB119_18:                             ;   in Loop: Header=BB119_10 Depth=1
	s_or_b32 exec_lo, exec_lo, s0
	s_waitcnt lgkmcnt(1)
	ds_bpermute_b32 v30, v20, v27
	ds_bpermute_b32 v29, v20, v26
	s_waitcnt lgkmcnt(2)
	ds_bpermute_b32 v28, v20, v25
	s_mov_b32 s17, exec_lo
	s_waitcnt lgkmcnt(2)
	v_cmp_lt_f32_e64 s16, v27, v30
	v_cmpx_nlt_f32_e32 v27, v30
	s_cbranch_execnz .LBB119_22
; %bb.19:                               ;   in Loop: Header=BB119_10 Depth=1
	s_or_b32 exec_lo, exec_lo, s17
	s_delay_alu instid0(VALU_DEP_2)
	s_and_saveexec_b32 s0, s16
	s_cbranch_execnz .LBB119_23
.LBB119_20:                             ;   in Loop: Header=BB119_10 Depth=1
	s_or_b32 exec_lo, exec_lo, s0
	s_and_saveexec_b32 s16, s2
	s_cbranch_execnz .LBB119_24
.LBB119_21:                             ;   in Loop: Header=BB119_10 Depth=1
	s_or_b32 exec_lo, exec_lo, s16
	s_add_i32 s7, s7, 1
	s_delay_alu instid0(SALU_CYCLE_1)
	s_cmp_ge_i32 s7, s4
	s_cbranch_scc1 .LBB119_9
	s_branch .LBB119_25
.LBB119_22:                             ;   in Loop: Header=BB119_10 Depth=1
	v_cmp_eq_f32_e64 s0, v27, v30
	s_waitcnt lgkmcnt(0)
	v_cmp_lt_i32_e64 s1, v28, v25
	s_delay_alu instid0(VALU_DEP_1) | instskip(SKIP_2) | instid1(SALU_CYCLE_1)
	s_and_b32 s0, s0, s1
	s_and_not1_b32 s1, s16, exec_lo
	s_and_b32 s0, s0, exec_lo
	s_or_b32 s16, s1, s0
	s_or_b32 exec_lo, exec_lo, s17
	s_and_saveexec_b32 s0, s16
	s_cbranch_execz .LBB119_20
.LBB119_23:                             ;   in Loop: Header=BB119_10 Depth=1
	s_waitcnt lgkmcnt(0)
	v_dual_mov_b32 v26, v29 :: v_dual_mov_b32 v25, v28
	s_or_b32 exec_lo, exec_lo, s0
	s_and_saveexec_b32 s16, s2
	s_cbranch_execz .LBB119_21
.LBB119_24:                             ;   in Loop: Header=BB119_10 Depth=1
	v_add_nc_u32_e32 v27, s7, v23
	v_subrev_nc_u32_e32 v31, s5, v25
	v_cmp_le_i32_e64 s0, s5, v25
	v_cmp_gt_i32_e64 s1, s6, v25
	v_add_f32_e32 v35, v22, v26
	s_waitcnt lgkmcnt(0)
	v_ashrrev_i32_e32 v28, 31, v27
	v_ashrrev_i32_e32 v32, 31, v31
	s_and_b32 s0, s0, s1
	v_cndmask_b32_e32 v22, v22, v35, vcc_lo
	s_delay_alu instid0(VALU_DEP_3) | instskip(SKIP_2) | instid1(SALU_CYCLE_1)
	v_lshlrev_b64 v[29:30], 2, v[27:28]
	v_lshlrev_b64 v[27:28], 3, v[27:28]
	s_and_b32 s0, s15, s0
	v_cndmask_b32_e64 v32, 0, v32, s0
	v_cndmask_b32_e64 v31, 64, v31, s0
	s_delay_alu instid0(VALU_DEP_4) | instskip(NEXT) | instid1(VALU_DEP_1)
	v_add_co_u32 v33, s0, s12, v29
	v_add_co_ci_u32_e64 v34, s0, s13, v30, s0
	v_add_co_u32 v27, s0, s8, v27
	s_delay_alu instid0(VALU_DEP_1) | instskip(SKIP_1) | instid1(VALU_DEP_1)
	v_add_co_ci_u32_e64 v28, s0, s9, v28, s0
	v_add_co_u32 v29, s0, s10, v29
	v_add_co_ci_u32_e64 v30, s0, s11, v30, s0
	global_store_b32 v[33:34], v26, off
	global_store_b64 v[27:28], v[31:32], off
	global_store_b32 v[29:30], v24, off
	s_or_b32 exec_lo, exec_lo, s16
	s_add_i32 s7, s7, 1
	s_delay_alu instid0(SALU_CYCLE_1)
	s_cmp_ge_i32 s7, s4
	s_cbranch_scc1 .LBB119_9
.LBB119_25:                             ;   in Loop: Header=BB119_10 Depth=1
	v_ashrrev_i32_e32 v27, 31, v25
	s_mov_b32 s1, exec_lo
	s_delay_alu instid0(VALU_DEP_1) | instskip(NEXT) | instid1(VALU_DEP_1)
	v_lshrrev_b32_e32 v26, 29, v27
	v_add_nc_u32_e32 v26, v25, v26
	s_delay_alu instid0(VALU_DEP_1) | instskip(SKIP_1) | instid1(VALU_DEP_1)
	v_ashrrev_i32_e32 v26, 3, v26
	s_waitcnt lgkmcnt(0)
	v_lshrrev_b32_e32 v28, 29, v26
	s_delay_alu instid0(VALU_DEP_1) | instskip(NEXT) | instid1(VALU_DEP_1)
	v_add_nc_u32_e32 v28, v26, v28
	v_and_b32_e32 v28, -8, v28
	s_delay_alu instid0(VALU_DEP_1) | instskip(NEXT) | instid1(VALU_DEP_1)
	v_sub_nc_u32_e32 v28, v26, v28
	v_cmpx_eq_u32_e64 v17, v28
	s_cbranch_execz .LBB119_8
; %bb.26:                               ;   in Loop: Header=BB119_10 Depth=1
	v_lshrrev_b32_e32 v27, 26, v27
	v_lshlrev_b32_e32 v26, 3, v26
	s_delay_alu instid0(VALU_DEP_2) | instskip(NEXT) | instid1(VALU_DEP_2)
	v_add_nc_u32_e32 v27, v25, v27
	v_sub_nc_u32_e32 v25, v25, v26
	s_delay_alu instid0(VALU_DEP_2) | instskip(NEXT) | instid1(VALU_DEP_1)
	v_ashrrev_i32_e32 v26, 6, v27
	v_lshl_add_u32 v25, v26, 3, v25
	s_delay_alu instid0(VALU_DEP_1) | instskip(NEXT) | instid1(VALU_DEP_1)
	v_cmp_ne_u32_e64 s0, 7, v25
	v_cndmask_b32_e64 v15, 0xc61c4000, v15, s0
	v_cmp_ne_u32_e64 s0, 6, v25
	s_delay_alu instid0(VALU_DEP_1) | instskip(SKIP_1) | instid1(VALU_DEP_1)
	v_cndmask_b32_e64 v14, 0xc61c4000, v14, s0
	v_cmp_ne_u32_e64 s0, 5, v25
	v_cndmask_b32_e64 v13, 0xc61c4000, v13, s0
	v_cmp_ne_u32_e64 s0, 4, v25
	s_delay_alu instid0(VALU_DEP_1) | instskip(SKIP_1) | instid1(VALU_DEP_1)
	v_cndmask_b32_e64 v12, 0xc61c4000, v12, s0
	;; [unrolled: 5-line block ×3, first 2 shown]
	v_cmp_ne_u32_e64 s0, 1, v25
	v_cndmask_b32_e64 v9, 0xc61c4000, v9, s0
	v_cmp_ne_u32_e64 s0, 0, v25
	s_delay_alu instid0(VALU_DEP_1)
	v_cndmask_b32_e64 v8, 0xc61c4000, v8, s0
	s_branch .LBB119_8
.LBB119_27:
                                        ; implicit-def: $vgpr8_vgpr9_vgpr10_vgpr11_vgpr12_vgpr13_vgpr14_vgpr15
	s_and_not1_b32 vcc_lo, exec_lo, s8
	s_cbranch_vccz .LBB119_5
	s_branch .LBB119_6
.LBB119_28:
	v_mov_b32_e32 v22, 0
.LBB119_29:
	v_cmp_eq_u32_e64 s0, 0, v17
	s_delay_alu instid0(VALU_DEP_1) | instskip(NEXT) | instid1(SALU_CYCLE_1)
	s_and_b32 s0, s0, vcc_lo
	s_and_b32 exec_lo, exec_lo, s0
	s_cbranch_execz .LBB119_33
; %bb.30:
	s_and_not1_b32 vcc_lo, exec_lo, s3
	s_cbranch_vccnz .LBB119_33
; %bb.31:
	v_mul_lo_u32 v0, v16, s4
	v_cmp_lt_f32_e32 vcc_lo, 0, v22
	v_cndmask_b32_e32 v2, 1.0, v22, vcc_lo
	s_delay_alu instid0(VALU_DEP_3) | instskip(NEXT) | instid1(VALU_DEP_1)
	v_ashrrev_i32_e32 v1, 31, v0
	v_lshlrev_b64 v[0:1], 2, v[0:1]
	s_delay_alu instid0(VALU_DEP_1) | instskip(NEXT) | instid1(VALU_DEP_2)
	v_add_co_u32 v0, vcc_lo, s12, v0
	v_add_co_ci_u32_e32 v1, vcc_lo, s13, v1, vcc_lo
	.p2align	6
.LBB119_32:                             ; =>This Inner Loop Header: Depth=1
	global_load_b32 v3, v[0:1], off
	s_add_i32 s4, s4, -1
	s_delay_alu instid0(SALU_CYCLE_1) | instskip(SKIP_3) | instid1(VALU_DEP_2)
	s_cmp_lg_u32 s4, 0
	s_waitcnt vmcnt(0)
	v_div_scale_f32 v4, null, v2, v2, v3
	v_div_scale_f32 v7, vcc_lo, v3, v2, v3
	v_rcp_f32_e32 v5, v4
	s_waitcnt_depctr 0xfff
	v_fma_f32 v6, -v4, v5, 1.0
	s_delay_alu instid0(VALU_DEP_1) | instskip(NEXT) | instid1(VALU_DEP_1)
	v_fmac_f32_e32 v5, v6, v5
	v_mul_f32_e32 v6, v7, v5
	s_delay_alu instid0(VALU_DEP_1) | instskip(NEXT) | instid1(VALU_DEP_1)
	v_fma_f32 v8, -v4, v6, v7
	v_fmac_f32_e32 v6, v8, v5
	s_delay_alu instid0(VALU_DEP_1) | instskip(NEXT) | instid1(VALU_DEP_1)
	v_fma_f32 v4, -v4, v6, v7
	v_div_fmas_f32 v4, v4, v5, v6
	s_delay_alu instid0(VALU_DEP_1)
	v_div_fixup_f32 v3, v4, v2, v3
	global_store_b32 v[0:1], v3, off
	v_add_co_u32 v0, vcc_lo, v0, 4
	v_add_co_ci_u32_e32 v1, vcc_lo, 0, v1, vcc_lo
	s_cbranch_scc1 .LBB119_32
.LBB119_33:
	s_nop 0
	s_sendmsg sendmsg(MSG_DEALLOC_VGPRS)
	s_endpgm
	.section	.rodata,"a",@progbits
	.p2align	6, 0x0
	.amdhsa_kernel _ZN4vllm3moe10topkGatingILi8ELi64ELi4ELi16ELi64El6__halfLNS0_11ScoringFuncE0EEEvPKT5_PKbPfiPT4_PiiiibPKf
		.amdhsa_group_segment_fixed_size 0
		.amdhsa_private_segment_fixed_size 0
		.amdhsa_kernarg_size 72
		.amdhsa_user_sgpr_count 15
		.amdhsa_user_sgpr_dispatch_ptr 0
		.amdhsa_user_sgpr_queue_ptr 0
		.amdhsa_user_sgpr_kernarg_segment_ptr 1
		.amdhsa_user_sgpr_dispatch_id 0
		.amdhsa_user_sgpr_private_segment_size 0
		.amdhsa_wavefront_size32 1
		.amdhsa_uses_dynamic_stack 0
		.amdhsa_enable_private_segment 0
		.amdhsa_system_sgpr_workgroup_id_x 1
		.amdhsa_system_sgpr_workgroup_id_y 0
		.amdhsa_system_sgpr_workgroup_id_z 0
		.amdhsa_system_sgpr_workgroup_info 0
		.amdhsa_system_vgpr_workitem_id 1
		.amdhsa_next_free_vgpr 37
		.amdhsa_next_free_sgpr 18
		.amdhsa_reserve_vcc 1
		.amdhsa_float_round_mode_32 0
		.amdhsa_float_round_mode_16_64 0
		.amdhsa_float_denorm_mode_32 3
		.amdhsa_float_denorm_mode_16_64 3
		.amdhsa_dx10_clamp 1
		.amdhsa_ieee_mode 1
		.amdhsa_fp16_overflow 0
		.amdhsa_workgroup_processor_mode 1
		.amdhsa_memory_ordered 1
		.amdhsa_forward_progress 0
		.amdhsa_shared_vgpr_count 0
		.amdhsa_exception_fp_ieee_invalid_op 0
		.amdhsa_exception_fp_denorm_src 0
		.amdhsa_exception_fp_ieee_div_zero 0
		.amdhsa_exception_fp_ieee_overflow 0
		.amdhsa_exception_fp_ieee_underflow 0
		.amdhsa_exception_fp_ieee_inexact 0
		.amdhsa_exception_int_div_zero 0
	.end_amdhsa_kernel
	.section	.text._ZN4vllm3moe10topkGatingILi8ELi64ELi4ELi16ELi64El6__halfLNS0_11ScoringFuncE0EEEvPKT5_PKbPfiPT4_PiiiibPKf,"axG",@progbits,_ZN4vllm3moe10topkGatingILi8ELi64ELi4ELi16ELi64El6__halfLNS0_11ScoringFuncE0EEEvPKT5_PKbPfiPT4_PiiiibPKf,comdat
.Lfunc_end119:
	.size	_ZN4vllm3moe10topkGatingILi8ELi64ELi4ELi16ELi64El6__halfLNS0_11ScoringFuncE0EEEvPKT5_PKbPfiPT4_PiiiibPKf, .Lfunc_end119-_ZN4vllm3moe10topkGatingILi8ELi64ELi4ELi16ELi64El6__halfLNS0_11ScoringFuncE0EEEvPKT5_PKbPfiPT4_PiiiibPKf
                                        ; -- End function
	.section	.AMDGPU.csdata,"",@progbits
; Kernel info:
; codeLenInByte = 3192
; NumSgprs: 20
; NumVgprs: 37
; ScratchSize: 0
; MemoryBound: 0
; FloatMode: 240
; IeeeMode: 1
; LDSByteSize: 0 bytes/workgroup (compile time only)
; SGPRBlocks: 2
; VGPRBlocks: 4
; NumSGPRsForWavesPerEU: 20
; NumVGPRsForWavesPerEU: 37
; Occupancy: 16
; WaveLimiterHint : 0
; COMPUTE_PGM_RSRC2:SCRATCH_EN: 0
; COMPUTE_PGM_RSRC2:USER_SGPR: 15
; COMPUTE_PGM_RSRC2:TRAP_HANDLER: 0
; COMPUTE_PGM_RSRC2:TGID_X_EN: 1
; COMPUTE_PGM_RSRC2:TGID_Y_EN: 0
; COMPUTE_PGM_RSRC2:TGID_Z_EN: 0
; COMPUTE_PGM_RSRC2:TIDIG_COMP_CNT: 1
	.section	.text._ZN4vllm3moe10topkGatingILi8ELi64ELi4ELi16ELi32El6__halfLNS0_11ScoringFuncE0EEEvPKT5_PKbPfiPT4_PiiiibPKf,"axG",@progbits,_ZN4vllm3moe10topkGatingILi8ELi64ELi4ELi16ELi32El6__halfLNS0_11ScoringFuncE0EEEvPKT5_PKbPfiPT4_PiiiibPKf,comdat
	.protected	_ZN4vllm3moe10topkGatingILi8ELi64ELi4ELi16ELi32El6__halfLNS0_11ScoringFuncE0EEEvPKT5_PKbPfiPT4_PiiiibPKf ; -- Begin function _ZN4vllm3moe10topkGatingILi8ELi64ELi4ELi16ELi32El6__halfLNS0_11ScoringFuncE0EEEvPKT5_PKbPfiPT4_PiiiibPKf
	.globl	_ZN4vllm3moe10topkGatingILi8ELi64ELi4ELi16ELi32El6__halfLNS0_11ScoringFuncE0EEEvPKT5_PKbPfiPT4_PiiiibPKf
	.p2align	8
	.type	_ZN4vllm3moe10topkGatingILi8ELi64ELi4ELi16ELi32El6__halfLNS0_11ScoringFuncE0EEEvPKT5_PKbPfiPT4_PiiiibPKf,@function
_ZN4vllm3moe10topkGatingILi8ELi64ELi4ELi16ELi32El6__halfLNS0_11ScoringFuncE0EEEvPKT5_PKbPfiPT4_PiiiibPKf: ; @_ZN4vllm3moe10topkGatingILi8ELi64ELi4ELi16ELi32El6__halfLNS0_11ScoringFuncE0EEEvPKT5_PKbPfiPT4_PiiiibPKf
; %bb.0:
	s_load_b32 s14, s[0:1], 0x18
	v_bfe_u32 v1, v0, 10, 10
	v_and_b32_e32 v0, 0x3ff, v0
	s_lshl_b32 s2, s15, 4
	s_delay_alu instid0(VALU_DEP_2) | instskip(NEXT) | instid1(VALU_DEP_2)
	v_lshlrev_b32_e32 v1, 2, v1
	v_lshrrev_b32_e32 v2, 3, v0
	s_delay_alu instid0(VALU_DEP_1) | instskip(SKIP_2) | instid1(VALU_DEP_1)
	v_add3_u32 v16, s2, v1, v2
	s_mov_b32 s2, exec_lo
	s_waitcnt lgkmcnt(0)
	v_cmpx_gt_i32_e64 s14, v16
	s_cbranch_execz .LBB120_33
; %bb.1:
	s_clause 0x1
	s_load_b128 s[4:7], s[0:1], 0x0
	s_load_b64 s[12:13], s[0:1], 0x10
	s_mov_b32 s8, -1
	s_mov_b32 s15, -1
	s_waitcnt lgkmcnt(0)
	s_cmp_eq_u64 s[6:7], 0
	s_cbranch_scc1 .LBB120_3
; %bb.2:
	v_ashrrev_i32_e32 v2, 31, v16
	v_add_co_u32 v1, vcc_lo, s6, v16
	s_delay_alu instid0(VALU_DEP_2) | instskip(SKIP_3) | instid1(VALU_DEP_1)
	v_add_co_ci_u32_e32 v2, vcc_lo, s7, v2, vcc_lo
	global_load_u8 v1, v[1:2], off
	s_waitcnt vmcnt(0)
	v_and_b32_e32 v1, 1, v1
	v_cmp_eq_u32_e32 vcc_lo, 1, v1
	s_xor_b32 s2, vcc_lo, -1
	s_delay_alu instid0(SALU_CYCLE_1)
	s_or_not1_b32 s15, s2, exec_lo
.LBB120_3:
	v_lshlrev_b32_e32 v1, 6, v16
	v_and_b32_e32 v17, 7, v0
	v_mbcnt_lo_u32_b32 v4, -1, 0
	s_load_b64 s[2:3], s[0:1], 0x40
	s_delay_alu instid0(VALU_DEP_3) | instskip(NEXT) | instid1(VALU_DEP_2)
	v_ashrrev_i32_e32 v2, 31, v1
	v_and_b32_e32 v6, 24, v4
	v_xor_b32_e32 v8, 4, v4
	v_xor_b32_e32 v12, 2, v4
	s_delay_alu instid0(VALU_DEP_4) | instskip(SKIP_1) | instid1(VALU_DEP_2)
	v_lshlrev_b64 v[0:1], 1, v[1:2]
	v_lshlrev_b32_e32 v2, 4, v17
	v_add_co_u32 v0, vcc_lo, s4, v0
	s_delay_alu instid0(VALU_DEP_3) | instskip(NEXT) | instid1(VALU_DEP_2)
	v_add_co_ci_u32_e32 v1, vcc_lo, s5, v1, vcc_lo
	v_add_co_u32 v0, vcc_lo, v0, v2
	s_delay_alu instid0(VALU_DEP_2)
	v_add_co_ci_u32_e32 v1, vcc_lo, 0, v1, vcc_lo
	s_waitcnt lgkmcnt(0)
	s_cmp_eq_u64 s[2:3], 0
	global_load_b128 v[0:3], v[0:1], off
	s_waitcnt vmcnt(0)
	v_lshrrev_b32_e32 v5, 16, v0
	v_cvt_f32_f16_e32 v0, v0
	v_lshrrev_b32_e32 v7, 16, v1
	v_cvt_f32_f16_e32 v1, v1
	v_lshrrev_b32_e32 v9, 16, v2
	v_cvt_f32_f16_e32 v5, v5
	v_add_nc_u32_e32 v6, 8, v6
	v_cvt_f32_f16_e32 v7, v7
	v_cvt_f32_f16_e32 v2, v2
	v_lshrrev_b32_e32 v11, 16, v3
	v_max_f32_e32 v10, v0, v5
	v_cvt_f32_f16_e32 v9, v9
	v_cmp_lt_i32_e32 vcc_lo, v8, v6
	v_cvt_f32_f16_e32 v3, v3
	v_cvt_f32_f16_e32 v11, v11
	v_max3_f32 v10, v10, v1, v7
	v_cndmask_b32_e32 v8, v4, v8, vcc_lo
	v_cmp_lt_i32_e32 vcc_lo, v12, v6
	s_delay_alu instid0(VALU_DEP_3) | instskip(NEXT) | instid1(VALU_DEP_3)
	v_max3_f32 v10, v10, v2, v9
	v_lshlrev_b32_e32 v18, 2, v8
	v_cndmask_b32_e32 v12, v4, v12, vcc_lo
	s_delay_alu instid0(VALU_DEP_3) | instskip(SKIP_4) | instid1(VALU_DEP_2)
	v_max3_f32 v8, v10, v3, v11
	ds_bpermute_b32 v10, v18, v8
	s_waitcnt lgkmcnt(0)
	v_dual_max_f32 v10, v10, v10 :: v_dual_lshlrev_b32 v19, 2, v12
	v_xor_b32_e32 v12, 1, v4
	v_max_f32_e32 v8, v8, v10
	s_delay_alu instid0(VALU_DEP_2) | instskip(SKIP_2) | instid1(VALU_DEP_1)
	v_cmp_lt_i32_e32 vcc_lo, v12, v6
	ds_bpermute_b32 v10, v19, v8
	v_cndmask_b32_e32 v4, v4, v12, vcc_lo
	v_lshlrev_b32_e32 v20, 2, v4
	s_waitcnt lgkmcnt(0)
	v_max_f32_e32 v6, v10, v10
	s_delay_alu instid0(VALU_DEP_1) | instskip(SKIP_3) | instid1(VALU_DEP_1)
	v_max_f32_e32 v4, v8, v6
	ds_bpermute_b32 v6, v20, v4
	s_waitcnt lgkmcnt(0)
	v_max_f32_e32 v6, v6, v6
	v_max_f32_e32 v4, v4, v6
	s_delay_alu instid0(VALU_DEP_1) | instskip(SKIP_2) | instid1(VALU_DEP_3)
	v_sub_f32_e32 v5, v5, v4
	v_sub_f32_e32 v6, v7, v4
	;; [unrolled: 1-line block ×3, first 2 shown]
	v_mul_f32_e32 v9, 0x3fb8aa3b, v5
	s_delay_alu instid0(VALU_DEP_2) | instskip(NEXT) | instid1(VALU_DEP_2)
	v_mul_f32_e32 v13, 0x3fb8aa3b, v7
	v_rndne_f32_e32 v24, v9
	v_fma_f32 v23, 0x3fb8aa3b, v5, -v9
	s_delay_alu instid0(VALU_DEP_3) | instskip(SKIP_1) | instid1(VALU_DEP_4)
	v_rndne_f32_e32 v32, v13
	v_fma_f32 v31, 0x3fb8aa3b, v7, -v13
	v_sub_f32_e32 v9, v9, v24
	v_sub_f32_e32 v3, v3, v4
	;; [unrolled: 1-line block ×3, first 2 shown]
	s_delay_alu instid0(VALU_DEP_4) | instskip(SKIP_1) | instid1(VALU_DEP_4)
	v_fmac_f32_e32 v31, 0x32a5705f, v7
	v_fmac_f32_e32 v23, 0x32a5705f, v5
	v_dual_sub_f32 v13, v13, v32 :: v_dual_mul_f32 v14, 0x3fb8aa3b, v3
	v_cvt_i32_f32_e32 v24, v24
	v_cvt_i32_f32_e32 v32, v32
	s_delay_alu instid0(VALU_DEP_4) | instskip(NEXT) | instid1(VALU_DEP_4)
	v_add_f32_e32 v9, v9, v23
	v_add_f32_e32 v13, v13, v31
	v_fma_f32 v33, 0x3fb8aa3b, v3, -v14
	v_sub_f32_e32 v2, v2, v4
	v_rndne_f32_e32 v34, v14
	v_exp_f32_e32 v9, v9
	v_exp_f32_e32 v13, v13
	v_fmac_f32_e32 v33, 0x32a5705f, v3
	v_mul_f32_e32 v12, 0x3fb8aa3b, v2
	s_delay_alu instid0(VALU_DEP_1) | instskip(SKIP_3) | instid1(VALU_DEP_4)
	v_fma_f32 v29, 0x3fb8aa3b, v2, -v12
	v_sub_f32_e32 v0, v0, v4
	v_dual_sub_f32 v4, v11, v4 :: v_dual_mul_f32 v11, 0x3fb8aa3b, v6
	v_mul_f32_e32 v10, 0x3fb8aa3b, v1
	v_fmac_f32_e32 v29, 0x32a5705f, v2
	s_delay_alu instid0(VALU_DEP_4) | instskip(NEXT) | instid1(VALU_DEP_4)
	v_cmp_ngt_f32_e32 vcc_lo, 0xc2ce8ed0, v0
	v_mul_f32_e32 v15, 0x3fb8aa3b, v4
	v_fma_f32 v27, 0x3fb8aa3b, v6, -v11
	v_rndne_f32_e32 v28, v11
	v_rndne_f32_e32 v26, v10
	v_fma_f32 v25, 0x3fb8aa3b, v1, -v10
	v_fma_f32 v35, 0x3fb8aa3b, v4, -v15
	v_fmac_f32_e32 v27, 0x32a5705f, v6
	v_sub_f32_e32 v11, v11, v28
	v_mul_f32_e32 v8, 0x3fb8aa3b, v0
	v_rndne_f32_e32 v36, v15
	v_dual_sub_f32 v10, v10, v26 :: v_dual_fmac_f32 v35, 0x32a5705f, v4
	s_delay_alu instid0(VALU_DEP_4) | instskip(NEXT) | instid1(VALU_DEP_4)
	v_add_f32_e32 v11, v11, v27
	v_rndne_f32_e32 v22, v8
	s_delay_alu instid0(VALU_DEP_4) | instskip(SKIP_2) | instid1(VALU_DEP_3)
	v_sub_f32_e32 v15, v15, v36
	v_fma_f32 v21, 0x3fb8aa3b, v0, -v8
	v_dual_sub_f32 v14, v14, v34 :: v_dual_fmac_f32 v25, 0x32a5705f, v1
	v_dual_sub_f32 v8, v8, v22 :: v_dual_add_f32 v15, v15, v35
	s_delay_alu instid0(VALU_DEP_3)
	v_fmac_f32_e32 v21, 0x32a5705f, v0
	v_cvt_i32_f32_e32 v23, v36
	v_cvt_i32_f32_e32 v22, v22
	;; [unrolled: 1-line block ×3, first 2 shown]
	v_exp_f32_e32 v15, v15
	v_add_f32_e32 v8, v8, v21
	v_ldexp_f32 v9, v9, v24
	v_rndne_f32_e32 v30, v12
	v_exp_f32_e32 v11, v11
	v_cvt_i32_f32_e32 v28, v28
	v_exp_f32_e32 v8, v8
	v_ldexp_f32 v13, v13, v32
	v_sub_f32_e32 v12, v12, v30
	v_cvt_i32_f32_e32 v30, v30
	v_ldexp_f32 v15, v15, v23
	v_add_f32_e32 v10, v10, v25
	v_add_f32_e32 v14, v14, v33
	;; [unrolled: 1-line block ×3, first 2 shown]
	v_ldexp_f32 v11, v11, v28
	v_cvt_i32_f32_e32 v21, v34
	v_exp_f32_e32 v10, v10
	v_ldexp_f32 v8, v8, v22
	v_exp_f32_e32 v12, v12
	v_exp_f32_e32 v14, v14
	s_delay_alu instid0(VALU_DEP_1) | instskip(SKIP_1) | instid1(TRANS32_DEP_3)
	v_cndmask_b32_e32 v8, 0, v8, vcc_lo
	v_cmp_ngt_f32_e32 vcc_lo, 0xc2ce8ed0, v5
	v_ldexp_f32 v10, v10, v26
	v_cndmask_b32_e32 v9, 0, v9, vcc_lo
	v_cmp_ngt_f32_e32 vcc_lo, 0xc2ce8ed0, v1
	s_delay_alu instid0(TRANS32_DEP_2) | instskip(NEXT) | instid1(TRANS32_DEP_1)
	v_ldexp_f32 v12, v12, v30
	v_ldexp_f32 v14, v14, v21
	v_dual_cndmask_b32 v10, 0, v10 :: v_dual_lshlrev_b32 v21, 3, v17
	v_cmp_nlt_f32_e32 vcc_lo, 0x42b17218, v0
	v_cndmask_b32_e32 v0, 0x7f800000, v8, vcc_lo
	v_cmp_nlt_f32_e32 vcc_lo, 0x42b17218, v5
	v_cndmask_b32_e32 v5, 0x7f800000, v9, vcc_lo
	v_cmp_ngt_f32_e32 vcc_lo, 0xc2ce8ed0, v6
	s_delay_alu instid0(VALU_DEP_2)
	v_dual_add_f32 v9, v0, v5 :: v_dual_cndmask_b32 v8, 0, v11
	v_cmp_nlt_f32_e32 vcc_lo, 0x42b17218, v1
	v_cndmask_b32_e32 v1, 0x7f800000, v10, vcc_lo
	v_cmp_ngt_f32_e32 vcc_lo, 0xc2ce8ed0, v2
	v_cndmask_b32_e32 v10, 0, v12, vcc_lo
	v_cmp_nlt_f32_e32 vcc_lo, 0x42b17218, v6
	v_cndmask_b32_e32 v6, 0x7f800000, v8, vcc_lo
	v_cmp_ngt_f32_e32 vcc_lo, 0xc2ce8ed0, v7
	v_add_f32_e32 v8, v9, v1
	v_cndmask_b32_e32 v9, 0, v13, vcc_lo
	v_cmp_nlt_f32_e32 vcc_lo, 0x42b17218, v2
	s_delay_alu instid0(VALU_DEP_3) | instskip(SKIP_2) | instid1(VALU_DEP_2)
	v_add_f32_e32 v8, v8, v6
	v_cndmask_b32_e32 v2, 0x7f800000, v10, vcc_lo
	v_cmp_ngt_f32_e32 vcc_lo, 0xc2ce8ed0, v3
	v_add_f32_e32 v8, v8, v2
	v_cndmask_b32_e32 v10, 0, v14, vcc_lo
	v_cmp_nlt_f32_e32 vcc_lo, 0x42b17218, v7
	v_cndmask_b32_e32 v7, 0x7f800000, v9, vcc_lo
	v_cmp_ngt_f32_e32 vcc_lo, 0xc2ce8ed0, v4
	s_delay_alu instid0(VALU_DEP_2) | instskip(SKIP_4) | instid1(VALU_DEP_2)
	v_add_f32_e32 v8, v8, v7
	v_cndmask_b32_e32 v9, 0, v15, vcc_lo
	v_cmp_nlt_f32_e32 vcc_lo, 0x42b17218, v3
	v_cndmask_b32_e32 v3, 0x7f800000, v10, vcc_lo
	v_cmp_nlt_f32_e32 vcc_lo, 0x42b17218, v4
	v_add_f32_e32 v8, v8, v3
	v_cndmask_b32_e32 v4, 0x7f800000, v9, vcc_lo
	s_delay_alu instid0(VALU_DEP_1)
	v_add_f32_e32 v8, v8, v4
	ds_bpermute_b32 v9, v18, v8
	s_waitcnt lgkmcnt(0)
	v_add_f32_e32 v8, v8, v9
	ds_bpermute_b32 v9, v19, v8
	s_waitcnt lgkmcnt(0)
	;; [unrolled: 3-line block ×3, first 2 shown]
	v_add_f32_e32 v8, v8, v9
	s_delay_alu instid0(VALU_DEP_1) | instskip(SKIP_1) | instid1(VALU_DEP_2)
	v_div_scale_f32 v9, null, v8, v8, 1.0
	v_div_scale_f32 v12, vcc_lo, 1.0, v8, 1.0
	v_rcp_f32_e32 v10, v9
	s_waitcnt_depctr 0xfff
	v_fma_f32 v11, -v9, v10, 1.0
	s_delay_alu instid0(VALU_DEP_1) | instskip(NEXT) | instid1(VALU_DEP_1)
	v_fmac_f32_e32 v10, v11, v10
	v_mul_f32_e32 v11, v12, v10
	s_delay_alu instid0(VALU_DEP_1) | instskip(NEXT) | instid1(VALU_DEP_1)
	v_fma_f32 v13, -v9, v11, v12
	v_fmac_f32_e32 v11, v13, v10
	s_delay_alu instid0(VALU_DEP_1) | instskip(NEXT) | instid1(VALU_DEP_1)
	v_fma_f32 v9, -v9, v11, v12
	v_div_fmas_f32 v9, v9, v10, v11
	s_delay_alu instid0(VALU_DEP_1) | instskip(NEXT) | instid1(VALU_DEP_1)
	v_div_fixup_f32 v8, v9, v8, 1.0
	v_mul_f32_e32 v0, v8, v0
	v_mul_f32_e32 v5, v8, v5
	;; [unrolled: 1-line block ×5, first 2 shown]
	v_cmp_class_f32_e64 vcc_lo, v0, 0x1f8
	v_mul_f32_e32 v7, v8, v7
	v_mul_f32_e32 v11, v8, v3
	;; [unrolled: 1-line block ×3, first 2 shown]
	v_cndmask_b32_e32 v0, 0, v0, vcc_lo
	v_cmp_class_f32_e64 vcc_lo, v5, 0x1f8
	v_cndmask_b32_e32 v1, 0, v5, vcc_lo
	v_cmp_class_f32_e64 vcc_lo, v9, 0x1f8
	v_cndmask_b32_e32 v2, 0, v9, vcc_lo
	v_cmp_class_f32_e64 vcc_lo, v6, 0x1f8
	v_cndmask_b32_e32 v3, 0, v6, vcc_lo
	v_cmp_class_f32_e64 vcc_lo, v10, 0x1f8
	v_cndmask_b32_e32 v4, 0, v10, vcc_lo
	v_cmp_class_f32_e64 vcc_lo, v7, 0x1f8
	v_cndmask_b32_e32 v5, 0, v7, vcc_lo
	v_cmp_class_f32_e64 vcc_lo, v11, 0x1f8
	v_cndmask_b32_e32 v6, 0, v11, vcc_lo
	v_cmp_class_f32_e64 vcc_lo, v8, 0x1f8
	v_cndmask_b32_e32 v7, 0, v8, vcc_lo
	s_cbranch_scc1 .LBB120_27
; %bb.4:
	v_lshlrev_b32_e32 v12, 2, v21
	s_clause 0x1
	global_load_b128 v[8:11], v12, s[2:3]
	global_load_b128 v[12:15], v12, s[2:3] offset:16
	s_waitcnt vmcnt(1)
	v_dual_add_f32 v11, v11, v3 :: v_dual_add_f32 v8, v8, v0
	v_dual_add_f32 v9, v9, v1 :: v_dual_add_f32 v10, v10, v2
	s_waitcnt vmcnt(0)
	v_dual_add_f32 v13, v13, v5 :: v_dual_add_f32 v12, v12, v4
	v_dual_add_f32 v15, v15, v7 :: v_dual_add_f32 v14, v14, v6
	s_cbranch_execnz .LBB120_6
.LBB120_5:
	v_dual_mov_b32 v15, v7 :: v_dual_mov_b32 v14, v6
	v_dual_mov_b32 v13, v5 :: v_dual_mov_b32 v12, v4
	;; [unrolled: 1-line block ×4, first 2 shown]
.LBB120_6:
	s_load_b128 s[4:7], s[0:1], 0x30
	v_cmp_eq_u32_e64 s2, 0, v17
	s_waitcnt lgkmcnt(0)
	s_bitcmp1_b32 s7, 0
	s_mov_b32 s7, 0
	s_cselect_b32 vcc_lo, -1, 0
	s_cmp_gt_i32 s4, 0
	s_cselect_b32 s3, -1, 0
	s_cmp_lt_i32 s4, 1
	s_cbranch_scc1 .LBB120_28
; %bb.7:
	s_load_b128 s[8:11], s[0:1], 0x20
	v_mul_lo_u32 v23, v16, s4
	v_mov_b32_e32 v22, 0
	v_mov_b32_e32 v24, v16
	s_branch .LBB120_10
.LBB120_8:                              ;   in Loop: Header=BB120_10 Depth=1
	s_or_b32 exec_lo, exec_lo, s1
.LBB120_9:                              ;   in Loop: Header=BB120_10 Depth=1
	v_add_nc_u32_e32 v24, s14, v24
	s_cmp_eq_u32 s4, s7
	s_cbranch_scc1 .LBB120_29
.LBB120_10:                             ; =>This Inner Loop Header: Depth=1
	v_cmp_gt_f32_e64 s0, v9, v8
	s_mov_b32 s17, exec_lo
	s_delay_alu instid0(VALU_DEP_1) | instskip(SKIP_2) | instid1(VALU_DEP_3)
	v_cndmask_b32_e64 v25, v8, v9, s0
	v_cndmask_b32_e64 v26, 0, 1, s0
	;; [unrolled: 1-line block ×3, first 2 shown]
	v_cmp_gt_f32_e64 s1, v10, v25
	s_delay_alu instid0(VALU_DEP_1) | instskip(NEXT) | instid1(VALU_DEP_4)
	v_cndmask_b32_e64 v25, v25, v10, s1
	v_cndmask_b32_e64 v26, v26, 2, s1
	s_delay_alu instid0(VALU_DEP_4) | instskip(NEXT) | instid1(VALU_DEP_3)
	v_cndmask_b32_e64 v27, v27, v2, s1
	v_cmp_gt_f32_e64 s0, v11, v25
	s_delay_alu instid0(VALU_DEP_1) | instskip(NEXT) | instid1(VALU_DEP_4)
	v_cndmask_b32_e64 v25, v25, v11, s0
	v_cndmask_b32_e64 v26, v26, 3, s0
	s_delay_alu instid0(VALU_DEP_4) | instskip(NEXT) | instid1(VALU_DEP_3)
	v_cndmask_b32_e64 v27, v27, v3, s0
	;; [unrolled: 6-line block ×4, first 2 shown]
	v_cmp_gt_f32_e64 s1, v14, v25
	s_delay_alu instid0(VALU_DEP_1) | instskip(NEXT) | instid1(VALU_DEP_4)
	v_cndmask_b32_e64 v25, v25, v14, s1
	v_cndmask_b32_e64 v26, v26, 6, s1
	s_waitcnt lgkmcnt(0)
	v_cndmask_b32_e64 v28, v27, v6, s1
	s_delay_alu instid0(VALU_DEP_3) | instskip(NEXT) | instid1(VALU_DEP_1)
	v_cmp_gt_f32_e64 s0, v15, v25
	v_cndmask_b32_e64 v27, v25, v15, s0
	v_cndmask_b32_e64 v25, v26, 7, s0
	s_delay_alu instid0(VALU_DEP_4)
	v_cndmask_b32_e64 v26, v28, v7, s0
	ds_bpermute_b32 v28, v18, v27
	v_or_b32_e32 v25, v21, v25
	ds_bpermute_b32 v30, v18, v26
	ds_bpermute_b32 v29, v18, v25
	s_waitcnt lgkmcnt(0)
	v_cmp_lt_f32_e64 s16, v27, v28
	v_cmpx_nlt_f32_e32 v27, v28
; %bb.11:                               ;   in Loop: Header=BB120_10 Depth=1
	v_cmp_eq_f32_e64 s0, v27, v28
	v_cmp_lt_i32_e64 s1, v29, v25
	s_delay_alu instid0(VALU_DEP_1) | instskip(SKIP_2) | instid1(SALU_CYCLE_1)
	s_and_b32 s0, s0, s1
	s_and_not1_b32 s1, s16, exec_lo
	s_and_b32 s0, s0, exec_lo
	s_or_b32 s16, s1, s0
; %bb.12:                               ;   in Loop: Header=BB120_10 Depth=1
	s_or_b32 exec_lo, exec_lo, s17
	s_and_saveexec_b32 s0, s16
; %bb.13:                               ;   in Loop: Header=BB120_10 Depth=1
	v_dual_mov_b32 v26, v30 :: v_dual_mov_b32 v27, v28
	v_mov_b32_e32 v25, v29
; %bb.14:                               ;   in Loop: Header=BB120_10 Depth=1
	s_or_b32 exec_lo, exec_lo, s0
	ds_bpermute_b32 v29, v19, v27
	ds_bpermute_b32 v30, v19, v26
	;; [unrolled: 1-line block ×3, first 2 shown]
	s_mov_b32 s17, exec_lo
	s_waitcnt lgkmcnt(2)
	v_cmp_lt_f32_e64 s16, v27, v29
	v_cmpx_nlt_f32_e32 v27, v29
	s_cbranch_execz .LBB120_16
; %bb.15:                               ;   in Loop: Header=BB120_10 Depth=1
	v_cmp_eq_f32_e64 s0, v27, v29
	s_waitcnt lgkmcnt(0)
	v_cmp_lt_i32_e64 s1, v28, v25
	s_delay_alu instid0(VALU_DEP_1) | instskip(SKIP_2) | instid1(SALU_CYCLE_1)
	s_and_b32 s0, s0, s1
	s_and_not1_b32 s1, s16, exec_lo
	s_and_b32 s0, s0, exec_lo
	s_or_b32 s16, s1, s0
.LBB120_16:                             ;   in Loop: Header=BB120_10 Depth=1
	s_or_b32 exec_lo, exec_lo, s17
	s_delay_alu instid0(VALU_DEP_2)
	s_and_saveexec_b32 s0, s16
	s_cbranch_execz .LBB120_18
; %bb.17:                               ;   in Loop: Header=BB120_10 Depth=1
	s_waitcnt lgkmcnt(1)
	v_dual_mov_b32 v26, v30 :: v_dual_mov_b32 v27, v29
	s_waitcnt lgkmcnt(0)
	v_mov_b32_e32 v25, v28
.LBB120_18:                             ;   in Loop: Header=BB120_10 Depth=1
	s_or_b32 exec_lo, exec_lo, s0
	s_waitcnt lgkmcnt(1)
	ds_bpermute_b32 v30, v20, v27
	ds_bpermute_b32 v29, v20, v26
	s_waitcnt lgkmcnt(2)
	ds_bpermute_b32 v28, v20, v25
	s_mov_b32 s17, exec_lo
	s_waitcnt lgkmcnt(2)
	v_cmp_lt_f32_e64 s16, v27, v30
	v_cmpx_nlt_f32_e32 v27, v30
	s_cbranch_execnz .LBB120_22
; %bb.19:                               ;   in Loop: Header=BB120_10 Depth=1
	s_or_b32 exec_lo, exec_lo, s17
	s_delay_alu instid0(VALU_DEP_2)
	s_and_saveexec_b32 s0, s16
	s_cbranch_execnz .LBB120_23
.LBB120_20:                             ;   in Loop: Header=BB120_10 Depth=1
	s_or_b32 exec_lo, exec_lo, s0
	s_and_saveexec_b32 s16, s2
	s_cbranch_execnz .LBB120_24
.LBB120_21:                             ;   in Loop: Header=BB120_10 Depth=1
	s_or_b32 exec_lo, exec_lo, s16
	s_add_i32 s7, s7, 1
	s_delay_alu instid0(SALU_CYCLE_1)
	s_cmp_ge_i32 s7, s4
	s_cbranch_scc1 .LBB120_9
	s_branch .LBB120_25
.LBB120_22:                             ;   in Loop: Header=BB120_10 Depth=1
	v_cmp_eq_f32_e64 s0, v27, v30
	s_waitcnt lgkmcnt(0)
	v_cmp_lt_i32_e64 s1, v28, v25
	s_delay_alu instid0(VALU_DEP_1) | instskip(SKIP_2) | instid1(SALU_CYCLE_1)
	s_and_b32 s0, s0, s1
	s_and_not1_b32 s1, s16, exec_lo
	s_and_b32 s0, s0, exec_lo
	s_or_b32 s16, s1, s0
	s_or_b32 exec_lo, exec_lo, s17
	s_and_saveexec_b32 s0, s16
	s_cbranch_execz .LBB120_20
.LBB120_23:                             ;   in Loop: Header=BB120_10 Depth=1
	s_waitcnt lgkmcnt(0)
	v_dual_mov_b32 v26, v29 :: v_dual_mov_b32 v25, v28
	s_or_b32 exec_lo, exec_lo, s0
	s_and_saveexec_b32 s16, s2
	s_cbranch_execz .LBB120_21
.LBB120_24:                             ;   in Loop: Header=BB120_10 Depth=1
	v_add_nc_u32_e32 v27, s7, v23
	v_subrev_nc_u32_e32 v31, s5, v25
	v_cmp_le_i32_e64 s0, s5, v25
	v_cmp_gt_i32_e64 s1, s6, v25
	v_add_f32_e32 v35, v22, v26
	s_waitcnt lgkmcnt(0)
	v_ashrrev_i32_e32 v28, 31, v27
	v_ashrrev_i32_e32 v32, 31, v31
	s_and_b32 s0, s0, s1
	v_cndmask_b32_e32 v22, v22, v35, vcc_lo
	s_delay_alu instid0(VALU_DEP_3) | instskip(SKIP_2) | instid1(SALU_CYCLE_1)
	v_lshlrev_b64 v[29:30], 2, v[27:28]
	v_lshlrev_b64 v[27:28], 3, v[27:28]
	s_and_b32 s0, s15, s0
	v_cndmask_b32_e64 v32, 0, v32, s0
	v_cndmask_b32_e64 v31, 64, v31, s0
	s_delay_alu instid0(VALU_DEP_4) | instskip(NEXT) | instid1(VALU_DEP_1)
	v_add_co_u32 v33, s0, s12, v29
	v_add_co_ci_u32_e64 v34, s0, s13, v30, s0
	v_add_co_u32 v27, s0, s8, v27
	s_delay_alu instid0(VALU_DEP_1) | instskip(SKIP_1) | instid1(VALU_DEP_1)
	v_add_co_ci_u32_e64 v28, s0, s9, v28, s0
	v_add_co_u32 v29, s0, s10, v29
	v_add_co_ci_u32_e64 v30, s0, s11, v30, s0
	global_store_b32 v[33:34], v26, off
	global_store_b64 v[27:28], v[31:32], off
	global_store_b32 v[29:30], v24, off
	s_or_b32 exec_lo, exec_lo, s16
	s_add_i32 s7, s7, 1
	s_delay_alu instid0(SALU_CYCLE_1)
	s_cmp_ge_i32 s7, s4
	s_cbranch_scc1 .LBB120_9
.LBB120_25:                             ;   in Loop: Header=BB120_10 Depth=1
	v_ashrrev_i32_e32 v27, 31, v25
	s_mov_b32 s1, exec_lo
	s_delay_alu instid0(VALU_DEP_1) | instskip(NEXT) | instid1(VALU_DEP_1)
	v_lshrrev_b32_e32 v26, 29, v27
	v_add_nc_u32_e32 v26, v25, v26
	s_delay_alu instid0(VALU_DEP_1) | instskip(SKIP_1) | instid1(VALU_DEP_1)
	v_ashrrev_i32_e32 v26, 3, v26
	s_waitcnt lgkmcnt(0)
	v_lshrrev_b32_e32 v28, 29, v26
	s_delay_alu instid0(VALU_DEP_1) | instskip(NEXT) | instid1(VALU_DEP_1)
	v_add_nc_u32_e32 v28, v26, v28
	v_and_b32_e32 v28, -8, v28
	s_delay_alu instid0(VALU_DEP_1) | instskip(NEXT) | instid1(VALU_DEP_1)
	v_sub_nc_u32_e32 v28, v26, v28
	v_cmpx_eq_u32_e64 v17, v28
	s_cbranch_execz .LBB120_8
; %bb.26:                               ;   in Loop: Header=BB120_10 Depth=1
	v_lshrrev_b32_e32 v27, 26, v27
	v_lshlrev_b32_e32 v26, 3, v26
	s_delay_alu instid0(VALU_DEP_2) | instskip(NEXT) | instid1(VALU_DEP_2)
	v_add_nc_u32_e32 v27, v25, v27
	v_sub_nc_u32_e32 v25, v25, v26
	s_delay_alu instid0(VALU_DEP_2) | instskip(NEXT) | instid1(VALU_DEP_1)
	v_ashrrev_i32_e32 v26, 6, v27
	v_lshl_add_u32 v25, v26, 3, v25
	s_delay_alu instid0(VALU_DEP_1) | instskip(NEXT) | instid1(VALU_DEP_1)
	v_cmp_ne_u32_e64 s0, 7, v25
	v_cndmask_b32_e64 v15, 0xc61c4000, v15, s0
	v_cmp_ne_u32_e64 s0, 6, v25
	s_delay_alu instid0(VALU_DEP_1) | instskip(SKIP_1) | instid1(VALU_DEP_1)
	v_cndmask_b32_e64 v14, 0xc61c4000, v14, s0
	v_cmp_ne_u32_e64 s0, 5, v25
	v_cndmask_b32_e64 v13, 0xc61c4000, v13, s0
	v_cmp_ne_u32_e64 s0, 4, v25
	s_delay_alu instid0(VALU_DEP_1) | instskip(SKIP_1) | instid1(VALU_DEP_1)
	v_cndmask_b32_e64 v12, 0xc61c4000, v12, s0
	;; [unrolled: 5-line block ×3, first 2 shown]
	v_cmp_ne_u32_e64 s0, 1, v25
	v_cndmask_b32_e64 v9, 0xc61c4000, v9, s0
	v_cmp_ne_u32_e64 s0, 0, v25
	s_delay_alu instid0(VALU_DEP_1)
	v_cndmask_b32_e64 v8, 0xc61c4000, v8, s0
	s_branch .LBB120_8
.LBB120_27:
                                        ; implicit-def: $vgpr8_vgpr9_vgpr10_vgpr11_vgpr12_vgpr13_vgpr14_vgpr15
	s_and_not1_b32 vcc_lo, exec_lo, s8
	s_cbranch_vccz .LBB120_5
	s_branch .LBB120_6
.LBB120_28:
	v_mov_b32_e32 v22, 0
.LBB120_29:
	v_cmp_eq_u32_e64 s0, 0, v17
	s_delay_alu instid0(VALU_DEP_1) | instskip(NEXT) | instid1(SALU_CYCLE_1)
	s_and_b32 s0, s0, vcc_lo
	s_and_b32 exec_lo, exec_lo, s0
	s_cbranch_execz .LBB120_33
; %bb.30:
	s_and_not1_b32 vcc_lo, exec_lo, s3
	s_cbranch_vccnz .LBB120_33
; %bb.31:
	v_mul_lo_u32 v0, v16, s4
	v_cmp_lt_f32_e32 vcc_lo, 0, v22
	v_cndmask_b32_e32 v2, 1.0, v22, vcc_lo
	s_delay_alu instid0(VALU_DEP_3) | instskip(NEXT) | instid1(VALU_DEP_1)
	v_ashrrev_i32_e32 v1, 31, v0
	v_lshlrev_b64 v[0:1], 2, v[0:1]
	s_delay_alu instid0(VALU_DEP_1) | instskip(NEXT) | instid1(VALU_DEP_2)
	v_add_co_u32 v0, vcc_lo, s12, v0
	v_add_co_ci_u32_e32 v1, vcc_lo, s13, v1, vcc_lo
	.p2align	6
.LBB120_32:                             ; =>This Inner Loop Header: Depth=1
	global_load_b32 v3, v[0:1], off
	s_add_i32 s4, s4, -1
	s_delay_alu instid0(SALU_CYCLE_1) | instskip(SKIP_3) | instid1(VALU_DEP_2)
	s_cmp_lg_u32 s4, 0
	s_waitcnt vmcnt(0)
	v_div_scale_f32 v4, null, v2, v2, v3
	v_div_scale_f32 v7, vcc_lo, v3, v2, v3
	v_rcp_f32_e32 v5, v4
	s_waitcnt_depctr 0xfff
	v_fma_f32 v6, -v4, v5, 1.0
	s_delay_alu instid0(VALU_DEP_1) | instskip(NEXT) | instid1(VALU_DEP_1)
	v_fmac_f32_e32 v5, v6, v5
	v_mul_f32_e32 v6, v7, v5
	s_delay_alu instid0(VALU_DEP_1) | instskip(NEXT) | instid1(VALU_DEP_1)
	v_fma_f32 v8, -v4, v6, v7
	v_fmac_f32_e32 v6, v8, v5
	s_delay_alu instid0(VALU_DEP_1) | instskip(NEXT) | instid1(VALU_DEP_1)
	v_fma_f32 v4, -v4, v6, v7
	v_div_fmas_f32 v4, v4, v5, v6
	s_delay_alu instid0(VALU_DEP_1)
	v_div_fixup_f32 v3, v4, v2, v3
	global_store_b32 v[0:1], v3, off
	v_add_co_u32 v0, vcc_lo, v0, 4
	v_add_co_ci_u32_e32 v1, vcc_lo, 0, v1, vcc_lo
	s_cbranch_scc1 .LBB120_32
.LBB120_33:
	s_nop 0
	s_sendmsg sendmsg(MSG_DEALLOC_VGPRS)
	s_endpgm
	.section	.rodata,"a",@progbits
	.p2align	6, 0x0
	.amdhsa_kernel _ZN4vllm3moe10topkGatingILi8ELi64ELi4ELi16ELi32El6__halfLNS0_11ScoringFuncE0EEEvPKT5_PKbPfiPT4_PiiiibPKf
		.amdhsa_group_segment_fixed_size 0
		.amdhsa_private_segment_fixed_size 0
		.amdhsa_kernarg_size 72
		.amdhsa_user_sgpr_count 15
		.amdhsa_user_sgpr_dispatch_ptr 0
		.amdhsa_user_sgpr_queue_ptr 0
		.amdhsa_user_sgpr_kernarg_segment_ptr 1
		.amdhsa_user_sgpr_dispatch_id 0
		.amdhsa_user_sgpr_private_segment_size 0
		.amdhsa_wavefront_size32 1
		.amdhsa_uses_dynamic_stack 0
		.amdhsa_enable_private_segment 0
		.amdhsa_system_sgpr_workgroup_id_x 1
		.amdhsa_system_sgpr_workgroup_id_y 0
		.amdhsa_system_sgpr_workgroup_id_z 0
		.amdhsa_system_sgpr_workgroup_info 0
		.amdhsa_system_vgpr_workitem_id 1
		.amdhsa_next_free_vgpr 37
		.amdhsa_next_free_sgpr 18
		.amdhsa_reserve_vcc 1
		.amdhsa_float_round_mode_32 0
		.amdhsa_float_round_mode_16_64 0
		.amdhsa_float_denorm_mode_32 3
		.amdhsa_float_denorm_mode_16_64 3
		.amdhsa_dx10_clamp 1
		.amdhsa_ieee_mode 1
		.amdhsa_fp16_overflow 0
		.amdhsa_workgroup_processor_mode 1
		.amdhsa_memory_ordered 1
		.amdhsa_forward_progress 0
		.amdhsa_shared_vgpr_count 0
		.amdhsa_exception_fp_ieee_invalid_op 0
		.amdhsa_exception_fp_denorm_src 0
		.amdhsa_exception_fp_ieee_div_zero 0
		.amdhsa_exception_fp_ieee_overflow 0
		.amdhsa_exception_fp_ieee_underflow 0
		.amdhsa_exception_fp_ieee_inexact 0
		.amdhsa_exception_int_div_zero 0
	.end_amdhsa_kernel
	.section	.text._ZN4vllm3moe10topkGatingILi8ELi64ELi4ELi16ELi32El6__halfLNS0_11ScoringFuncE0EEEvPKT5_PKbPfiPT4_PiiiibPKf,"axG",@progbits,_ZN4vllm3moe10topkGatingILi8ELi64ELi4ELi16ELi32El6__halfLNS0_11ScoringFuncE0EEEvPKT5_PKbPfiPT4_PiiiibPKf,comdat
.Lfunc_end120:
	.size	_ZN4vllm3moe10topkGatingILi8ELi64ELi4ELi16ELi32El6__halfLNS0_11ScoringFuncE0EEEvPKT5_PKbPfiPT4_PiiiibPKf, .Lfunc_end120-_ZN4vllm3moe10topkGatingILi8ELi64ELi4ELi16ELi32El6__halfLNS0_11ScoringFuncE0EEEvPKT5_PKbPfiPT4_PiiiibPKf
                                        ; -- End function
	.section	.AMDGPU.csdata,"",@progbits
; Kernel info:
; codeLenInByte = 3192
; NumSgprs: 20
; NumVgprs: 37
; ScratchSize: 0
; MemoryBound: 0
; FloatMode: 240
; IeeeMode: 1
; LDSByteSize: 0 bytes/workgroup (compile time only)
; SGPRBlocks: 2
; VGPRBlocks: 4
; NumSGPRsForWavesPerEU: 20
; NumVGPRsForWavesPerEU: 37
; Occupancy: 16
; WaveLimiterHint : 0
; COMPUTE_PGM_RSRC2:SCRATCH_EN: 0
; COMPUTE_PGM_RSRC2:USER_SGPR: 15
; COMPUTE_PGM_RSRC2:TRAP_HANDLER: 0
; COMPUTE_PGM_RSRC2:TGID_X_EN: 1
; COMPUTE_PGM_RSRC2:TGID_Y_EN: 0
; COMPUTE_PGM_RSRC2:TGID_Z_EN: 0
; COMPUTE_PGM_RSRC2:TIDIG_COMP_CNT: 1
	.section	.text._ZN4vllm3moe10topkGatingILi8ELi128ELi4ELi16ELi64El6__halfLNS0_11ScoringFuncE0EEEvPKT5_PKbPfiPT4_PiiiibPKf,"axG",@progbits,_ZN4vllm3moe10topkGatingILi8ELi128ELi4ELi16ELi64El6__halfLNS0_11ScoringFuncE0EEEvPKT5_PKbPfiPT4_PiiiibPKf,comdat
	.protected	_ZN4vllm3moe10topkGatingILi8ELi128ELi4ELi16ELi64El6__halfLNS0_11ScoringFuncE0EEEvPKT5_PKbPfiPT4_PiiiibPKf ; -- Begin function _ZN4vllm3moe10topkGatingILi8ELi128ELi4ELi16ELi64El6__halfLNS0_11ScoringFuncE0EEEvPKT5_PKbPfiPT4_PiiiibPKf
	.globl	_ZN4vllm3moe10topkGatingILi8ELi128ELi4ELi16ELi64El6__halfLNS0_11ScoringFuncE0EEEvPKT5_PKbPfiPT4_PiiiibPKf
	.p2align	8
	.type	_ZN4vllm3moe10topkGatingILi8ELi128ELi4ELi16ELi64El6__halfLNS0_11ScoringFuncE0EEEvPKT5_PKbPfiPT4_PiiiibPKf,@function
_ZN4vllm3moe10topkGatingILi8ELi128ELi4ELi16ELi64El6__halfLNS0_11ScoringFuncE0EEEvPKT5_PKbPfiPT4_PiiiibPKf: ; @_ZN4vllm3moe10topkGatingILi8ELi128ELi4ELi16ELi64El6__halfLNS0_11ScoringFuncE0EEEvPKT5_PKbPfiPT4_PiiiibPKf
; %bb.0:
	s_load_b32 s14, s[0:1], 0x18
	v_bfe_u32 v1, v0, 10, 10
	v_and_b32_e32 v0, 0x3ff, v0
	s_lshl_b32 s2, s15, 4
	s_delay_alu instid0(VALU_DEP_2) | instskip(NEXT) | instid1(VALU_DEP_2)
	v_lshlrev_b32_e32 v1, 2, v1
	v_lshrrev_b32_e32 v2, 4, v0
	s_delay_alu instid0(VALU_DEP_1) | instskip(SKIP_2) | instid1(VALU_DEP_1)
	v_add3_u32 v16, s2, v1, v2
	s_mov_b32 s2, exec_lo
	s_waitcnt lgkmcnt(0)
	v_cmpx_gt_i32_e64 s14, v16
	s_cbranch_execz .LBB121_37
; %bb.1:
	s_clause 0x1
	s_load_b128 s[4:7], s[0:1], 0x0
	s_load_b64 s[12:13], s[0:1], 0x10
	s_mov_b32 s8, -1
	s_mov_b32 s15, -1
	s_waitcnt lgkmcnt(0)
	s_cmp_eq_u64 s[6:7], 0
	s_cbranch_scc1 .LBB121_3
; %bb.2:
	v_ashrrev_i32_e32 v2, 31, v16
	v_add_co_u32 v1, vcc_lo, s6, v16
	s_delay_alu instid0(VALU_DEP_2) | instskip(SKIP_3) | instid1(VALU_DEP_1)
	v_add_co_ci_u32_e32 v2, vcc_lo, s7, v2, vcc_lo
	global_load_u8 v1, v[1:2], off
	s_waitcnt vmcnt(0)
	v_and_b32_e32 v1, 1, v1
	v_cmp_eq_u32_e32 vcc_lo, 1, v1
	s_xor_b32 s2, vcc_lo, -1
	s_delay_alu instid0(SALU_CYCLE_1)
	s_or_not1_b32 s15, s2, exec_lo
.LBB121_3:
	v_lshlrev_b32_e32 v1, 7, v16
	v_and_b32_e32 v17, 15, v0
	v_mbcnt_lo_u32_b32 v4, -1, 0
	s_load_b64 s[2:3], s[0:1], 0x40
	s_delay_alu instid0(VALU_DEP_3) | instskip(NEXT) | instid1(VALU_DEP_2)
	v_ashrrev_i32_e32 v2, 31, v1
	v_and_b32_e32 v6, 16, v4
	v_xor_b32_e32 v8, 8, v4
	v_xor_b32_e32 v12, 4, v4
	s_delay_alu instid0(VALU_DEP_4) | instskip(SKIP_1) | instid1(VALU_DEP_2)
	v_lshlrev_b64 v[0:1], 1, v[1:2]
	v_lshlrev_b32_e32 v2, 4, v17
	v_add_co_u32 v0, vcc_lo, s4, v0
	s_delay_alu instid0(VALU_DEP_3) | instskip(NEXT) | instid1(VALU_DEP_2)
	v_add_co_ci_u32_e32 v1, vcc_lo, s5, v1, vcc_lo
	v_add_co_u32 v0, vcc_lo, v0, v2
	s_delay_alu instid0(VALU_DEP_2)
	v_add_co_ci_u32_e32 v1, vcc_lo, 0, v1, vcc_lo
	s_waitcnt lgkmcnt(0)
	s_cmp_eq_u64 s[2:3], 0
	global_load_b128 v[0:3], v[0:1], off
	s_waitcnt vmcnt(0)
	v_lshrrev_b32_e32 v5, 16, v0
	v_cvt_f32_f16_e32 v0, v0
	v_lshrrev_b32_e32 v7, 16, v1
	v_cvt_f32_f16_e32 v1, v1
	;; [unrolled: 2-line block ×3, first 2 shown]
	v_add_nc_u32_e32 v6, 16, v6
	v_cvt_f32_f16_e32 v7, v7
	v_cvt_f32_f16_e32 v2, v2
	v_lshrrev_b32_e32 v11, 16, v3
	v_max_f32_e32 v10, v0, v5
	v_cvt_f32_f16_e32 v9, v9
	v_cmp_lt_i32_e32 vcc_lo, v8, v6
	v_cvt_f32_f16_e32 v3, v3
	v_cvt_f32_f16_e32 v11, v11
	v_max3_f32 v10, v10, v1, v7
	v_cndmask_b32_e32 v8, v4, v8, vcc_lo
	v_cmp_lt_i32_e32 vcc_lo, v12, v6
	s_delay_alu instid0(VALU_DEP_3) | instskip(NEXT) | instid1(VALU_DEP_3)
	v_max3_f32 v10, v10, v2, v9
	v_lshlrev_b32_e32 v18, 2, v8
	v_cndmask_b32_e32 v12, v4, v12, vcc_lo
	s_delay_alu instid0(VALU_DEP_3) | instskip(SKIP_4) | instid1(VALU_DEP_2)
	v_max3_f32 v8, v10, v3, v11
	ds_bpermute_b32 v10, v18, v8
	s_waitcnt lgkmcnt(0)
	v_dual_max_f32 v10, v10, v10 :: v_dual_lshlrev_b32 v19, 2, v12
	v_xor_b32_e32 v12, 2, v4
	v_max_f32_e32 v8, v8, v10
	s_delay_alu instid0(VALU_DEP_2) | instskip(SKIP_2) | instid1(VALU_DEP_1)
	v_cmp_lt_i32_e32 vcc_lo, v12, v6
	ds_bpermute_b32 v10, v19, v8
	v_cndmask_b32_e32 v12, v4, v12, vcc_lo
	v_lshlrev_b32_e32 v20, 2, v12
	v_xor_b32_e32 v12, 1, v4
	s_delay_alu instid0(VALU_DEP_1) | instskip(SKIP_2) | instid1(VALU_DEP_1)
	v_cmp_lt_i32_e32 vcc_lo, v12, v6
	v_cndmask_b32_e32 v4, v4, v12, vcc_lo
	s_waitcnt lgkmcnt(0)
	v_dual_max_f32 v10, v10, v10 :: v_dual_lshlrev_b32 v21, 2, v4
	s_delay_alu instid0(VALU_DEP_1) | instskip(SKIP_3) | instid1(VALU_DEP_1)
	v_max_f32_e32 v8, v8, v10
	ds_bpermute_b32 v10, v20, v8
	s_waitcnt lgkmcnt(0)
	v_max_f32_e32 v6, v10, v10
	v_max_f32_e32 v4, v8, v6
	ds_bpermute_b32 v6, v21, v4
	s_waitcnt lgkmcnt(0)
	v_max_f32_e32 v6, v6, v6
	s_delay_alu instid0(VALU_DEP_1) | instskip(NEXT) | instid1(VALU_DEP_1)
	v_max_f32_e32 v4, v4, v6
	v_sub_f32_e32 v5, v5, v4
	v_sub_f32_e32 v6, v7, v4
	;; [unrolled: 1-line block ×5, first 2 shown]
	v_mul_f32_e32 v9, 0x3fb8aa3b, v5
	s_delay_alu instid0(VALU_DEP_4) | instskip(NEXT) | instid1(VALU_DEP_3)
	v_mul_f32_e32 v13, 0x3fb8aa3b, v7
	v_mul_f32_e32 v14, 0x3fb8aa3b, v3
	s_delay_alu instid0(VALU_DEP_3) | instskip(SKIP_1) | instid1(VALU_DEP_4)
	v_fma_f32 v24, 0x3fb8aa3b, v5, -v9
	v_rndne_f32_e32 v25, v9
	v_fma_f32 v32, 0x3fb8aa3b, v7, -v13
	v_rndne_f32_e32 v33, v13
	v_fma_f32 v34, 0x3fb8aa3b, v3, -v14
	v_fmac_f32_e32 v24, 0x32a5705f, v5
	s_delay_alu instid0(VALU_DEP_4) | instskip(NEXT) | instid1(VALU_DEP_4)
	v_dual_sub_f32 v9, v9, v25 :: v_dual_fmac_f32 v32, 0x32a5705f, v7
	v_sub_f32_e32 v13, v13, v33
	v_mul_f32_e32 v10, 0x3fb8aa3b, v1
	v_cvt_i32_f32_e32 v25, v25
	s_delay_alu instid0(VALU_DEP_4)
	v_add_f32_e32 v9, v9, v24
	v_cvt_i32_f32_e32 v33, v33
	v_add_f32_e32 v13, v13, v32
	v_fma_f32 v26, 0x3fb8aa3b, v1, -v10
	v_rndne_f32_e32 v27, v10
	v_exp_f32_e32 v9, v9
	v_rndne_f32_e32 v35, v14
	v_exp_f32_e32 v13, v13
	v_fmac_f32_e32 v26, 0x32a5705f, v1
	v_sub_f32_e32 v10, v10, v27
	v_cvt_i32_f32_e32 v27, v27
	v_fmac_f32_e32 v34, 0x32a5705f, v3
	v_sub_f32_e32 v14, v14, v35
	s_delay_alu instid0(VALU_DEP_4) | instskip(NEXT) | instid1(TRANS32_DEP_2)
	v_add_f32_e32 v10, v10, v26
	v_ldexp_f32 v9, v9, v25
	v_sub_f32_e32 v0, v0, v4
	s_delay_alu instid0(TRANS32_DEP_1) | instskip(SKIP_2) | instid1(VALU_DEP_3)
	v_ldexp_f32 v13, v13, v33
	v_add_f32_e32 v14, v14, v34
	v_exp_f32_e32 v10, v10
	v_mul_f32_e32 v8, 0x3fb8aa3b, v0
	v_cmp_ngt_f32_e32 vcc_lo, 0xc2ce8ed0, v0
	s_delay_alu instid0(VALU_DEP_3) | instskip(NEXT) | instid1(VALU_DEP_2)
	v_exp_f32_e32 v14, v14
	v_fma_f32 v22, 0x3fb8aa3b, v0, -v8
	v_rndne_f32_e32 v23, v8
	s_waitcnt_depctr 0xfff
	v_ldexp_f32 v10, v10, v27
	v_fmac_f32_e32 v22, 0x32a5705f, v0
	v_sub_f32_e32 v8, v8, v23
	v_cvt_i32_f32_e32 v23, v23
	s_delay_alu instid0(VALU_DEP_2) | instskip(SKIP_1) | instid1(VALU_DEP_2)
	v_add_f32_e32 v8, v8, v22
	v_cvt_i32_f32_e32 v22, v35
	v_exp_f32_e32 v8, v8
	s_delay_alu instid0(VALU_DEP_1) | instskip(SKIP_3) | instid1(VALU_DEP_1)
	v_ldexp_f32 v14, v14, v22
	v_lshlrev_b32_e32 v22, 3, v17
	s_waitcnt_depctr 0xfff
	v_ldexp_f32 v8, v8, v23
	v_cndmask_b32_e32 v8, 0, v8, vcc_lo
	v_cmp_ngt_f32_e32 vcc_lo, 0xc2ce8ed0, v5
	v_cndmask_b32_e32 v9, 0, v9, vcc_lo
	v_cmp_ngt_f32_e32 vcc_lo, 0xc2ce8ed0, v1
	v_cndmask_b32_e32 v10, 0, v10, vcc_lo
	v_cmp_nlt_f32_e32 vcc_lo, 0x42b17218, v0
	v_sub_f32_e32 v2, v2, v4
	v_cndmask_b32_e32 v0, 0x7f800000, v8, vcc_lo
	v_cmp_nlt_f32_e32 vcc_lo, 0x42b17218, v5
	v_dual_cndmask_b32 v5, 0x7f800000, v9 :: v_dual_sub_f32 v4, v11, v4
	v_mul_f32_e32 v11, 0x3fb8aa3b, v6
	v_cmp_ngt_f32_e32 vcc_lo, 0xc2ce8ed0, v6
	s_delay_alu instid0(VALU_DEP_3) | instskip(NEXT) | instid1(VALU_DEP_4)
	v_add_f32_e32 v9, v0, v5
	v_mul_f32_e32 v15, 0x3fb8aa3b, v4
	s_delay_alu instid0(VALU_DEP_4) | instskip(SKIP_1) | instid1(VALU_DEP_3)
	v_fma_f32 v28, 0x3fb8aa3b, v6, -v11
	v_rndne_f32_e32 v29, v11
	v_fma_f32 v36, 0x3fb8aa3b, v4, -v15
	s_delay_alu instid0(VALU_DEP_2) | instskip(SKIP_2) | instid1(VALU_DEP_4)
	v_dual_fmac_f32 v28, 0x32a5705f, v6 :: v_dual_sub_f32 v11, v11, v29
	v_cvt_i32_f32_e32 v29, v29
	v_rndne_f32_e32 v37, v15
	v_fmac_f32_e32 v36, 0x32a5705f, v4
	s_delay_alu instid0(VALU_DEP_4) | instskip(NEXT) | instid1(VALU_DEP_3)
	v_add_f32_e32 v11, v11, v28
	v_sub_f32_e32 v15, v15, v37
	v_cvt_i32_f32_e32 v24, v37
	s_delay_alu instid0(VALU_DEP_3) | instskip(NEXT) | instid1(VALU_DEP_2)
	v_exp_f32_e32 v11, v11
	v_add_f32_e32 v15, v15, v36
	s_delay_alu instid0(VALU_DEP_1) | instskip(SKIP_2) | instid1(VALU_DEP_1)
	v_exp_f32_e32 v15, v15
	s_waitcnt_depctr 0xfff
	v_ldexp_f32 v11, v11, v29
	v_cndmask_b32_e32 v8, 0, v11, vcc_lo
	v_cmp_nlt_f32_e32 vcc_lo, 0x42b17218, v1
	v_ldexp_f32 v15, v15, v24
	v_cndmask_b32_e32 v1, 0x7f800000, v10, vcc_lo
	v_mul_f32_e32 v12, 0x3fb8aa3b, v2
	v_cmp_ngt_f32_e32 vcc_lo, 0xc2ce8ed0, v2
	s_delay_alu instid0(VALU_DEP_2) | instskip(SKIP_1) | instid1(VALU_DEP_2)
	v_fma_f32 v30, 0x3fb8aa3b, v2, -v12
	v_rndne_f32_e32 v31, v12
	v_fmac_f32_e32 v30, 0x32a5705f, v2
	s_delay_alu instid0(VALU_DEP_2) | instskip(SKIP_1) | instid1(VALU_DEP_2)
	v_sub_f32_e32 v12, v12, v31
	v_cvt_i32_f32_e32 v31, v31
	v_add_f32_e32 v12, v12, v30
	s_delay_alu instid0(VALU_DEP_1) | instskip(SKIP_2) | instid1(VALU_DEP_1)
	v_exp_f32_e32 v12, v12
	s_waitcnt_depctr 0xfff
	v_ldexp_f32 v12, v12, v31
	v_cndmask_b32_e32 v10, 0, v12, vcc_lo
	v_cmp_nlt_f32_e32 vcc_lo, 0x42b17218, v6
	v_cndmask_b32_e32 v6, 0x7f800000, v8, vcc_lo
	v_cmp_ngt_f32_e32 vcc_lo, 0xc2ce8ed0, v7
	v_add_f32_e32 v8, v9, v1
	v_cndmask_b32_e32 v9, 0, v13, vcc_lo
	v_cmp_nlt_f32_e32 vcc_lo, 0x42b17218, v2
	s_delay_alu instid0(VALU_DEP_3) | instskip(SKIP_2) | instid1(VALU_DEP_2)
	v_add_f32_e32 v8, v8, v6
	v_cndmask_b32_e32 v2, 0x7f800000, v10, vcc_lo
	v_cmp_ngt_f32_e32 vcc_lo, 0xc2ce8ed0, v3
	v_add_f32_e32 v8, v8, v2
	v_cndmask_b32_e32 v10, 0, v14, vcc_lo
	v_cmp_nlt_f32_e32 vcc_lo, 0x42b17218, v7
	v_cndmask_b32_e32 v7, 0x7f800000, v9, vcc_lo
	v_cmp_ngt_f32_e32 vcc_lo, 0xc2ce8ed0, v4
	s_delay_alu instid0(VALU_DEP_2) | instskip(SKIP_4) | instid1(VALU_DEP_2)
	v_add_f32_e32 v8, v8, v7
	v_cndmask_b32_e32 v9, 0, v15, vcc_lo
	v_cmp_nlt_f32_e32 vcc_lo, 0x42b17218, v3
	v_cndmask_b32_e32 v3, 0x7f800000, v10, vcc_lo
	v_cmp_nlt_f32_e32 vcc_lo, 0x42b17218, v4
	v_add_f32_e32 v8, v8, v3
	v_cndmask_b32_e32 v4, 0x7f800000, v9, vcc_lo
	s_delay_alu instid0(VALU_DEP_1)
	v_add_f32_e32 v8, v8, v4
	ds_bpermute_b32 v9, v18, v8
	s_waitcnt lgkmcnt(0)
	v_add_f32_e32 v8, v8, v9
	ds_bpermute_b32 v9, v19, v8
	s_waitcnt lgkmcnt(0)
	v_add_f32_e32 v8, v8, v9
	ds_bpermute_b32 v9, v20, v8
	s_waitcnt lgkmcnt(0)
	v_add_f32_e32 v8, v8, v9
	ds_bpermute_b32 v9, v21, v8
	s_waitcnt lgkmcnt(0)
	v_add_f32_e32 v8, v8, v9
	s_delay_alu instid0(VALU_DEP_1) | instskip(SKIP_1) | instid1(VALU_DEP_2)
	v_div_scale_f32 v9, null, v8, v8, 1.0
	v_div_scale_f32 v12, vcc_lo, 1.0, v8, 1.0
	v_rcp_f32_e32 v10, v9
	s_waitcnt_depctr 0xfff
	v_fma_f32 v11, -v9, v10, 1.0
	s_delay_alu instid0(VALU_DEP_1) | instskip(NEXT) | instid1(VALU_DEP_1)
	v_fmac_f32_e32 v10, v11, v10
	v_mul_f32_e32 v11, v12, v10
	s_delay_alu instid0(VALU_DEP_1) | instskip(NEXT) | instid1(VALU_DEP_1)
	v_fma_f32 v13, -v9, v11, v12
	v_fmac_f32_e32 v11, v13, v10
	s_delay_alu instid0(VALU_DEP_1) | instskip(NEXT) | instid1(VALU_DEP_1)
	v_fma_f32 v9, -v9, v11, v12
	v_div_fmas_f32 v9, v9, v10, v11
	s_delay_alu instid0(VALU_DEP_1) | instskip(NEXT) | instid1(VALU_DEP_1)
	v_div_fixup_f32 v8, v9, v8, 1.0
	v_mul_f32_e32 v0, v8, v0
	v_mul_f32_e32 v5, v8, v5
	;; [unrolled: 1-line block ×5, first 2 shown]
	v_cmp_class_f32_e64 vcc_lo, v0, 0x1f8
	v_mul_f32_e32 v7, v8, v7
	v_mul_f32_e32 v11, v8, v3
	;; [unrolled: 1-line block ×3, first 2 shown]
	v_cndmask_b32_e32 v0, 0, v0, vcc_lo
	v_cmp_class_f32_e64 vcc_lo, v5, 0x1f8
	v_cndmask_b32_e32 v1, 0, v5, vcc_lo
	v_cmp_class_f32_e64 vcc_lo, v9, 0x1f8
	;; [unrolled: 2-line block ×7, first 2 shown]
	v_cndmask_b32_e32 v7, 0, v8, vcc_lo
	s_cbranch_scc1 .LBB121_31
; %bb.4:
	v_lshlrev_b32_e32 v12, 2, v22
	s_clause 0x1
	global_load_b128 v[8:11], v12, s[2:3]
	global_load_b128 v[12:15], v12, s[2:3] offset:16
	s_waitcnt vmcnt(1)
	v_dual_add_f32 v9, v9, v1 :: v_dual_add_f32 v8, v8, v0
	v_dual_add_f32 v11, v11, v3 :: v_dual_add_f32 v10, v10, v2
	s_waitcnt vmcnt(0)
	v_dual_add_f32 v13, v13, v5 :: v_dual_add_f32 v12, v12, v4
	v_dual_add_f32 v15, v15, v7 :: v_dual_add_f32 v14, v14, v6
	s_cbranch_execnz .LBB121_6
.LBB121_5:
	v_dual_mov_b32 v15, v7 :: v_dual_mov_b32 v14, v6
	v_dual_mov_b32 v13, v5 :: v_dual_mov_b32 v12, v4
	;; [unrolled: 1-line block ×4, first 2 shown]
.LBB121_6:
	s_load_b128 s[4:7], s[0:1], 0x30
	v_cmp_eq_u32_e64 s2, 0, v17
	s_waitcnt lgkmcnt(0)
	s_bitcmp1_b32 s7, 0
	s_mov_b32 s7, 0
	s_cselect_b32 vcc_lo, -1, 0
	s_cmp_gt_i32 s4, 0
	s_cselect_b32 s3, -1, 0
	s_cmp_lt_i32 s4, 1
	s_cbranch_scc1 .LBB121_32
; %bb.7:
	s_load_b128 s[8:11], s[0:1], 0x20
	v_mul_lo_u32 v24, v16, s4
	v_mov_b32_e32 v23, 0
	v_mov_b32_e32 v25, v16
	s_branch .LBB121_10
.LBB121_8:                              ;   in Loop: Header=BB121_10 Depth=1
	s_or_b32 exec_lo, exec_lo, s1
.LBB121_9:                              ;   in Loop: Header=BB121_10 Depth=1
	v_add_nc_u32_e32 v25, s14, v25
	s_cmp_eq_u32 s4, s7
	s_cbranch_scc1 .LBB121_33
.LBB121_10:                             ; =>This Inner Loop Header: Depth=1
	v_cmp_gt_f32_e64 s0, v9, v8
	s_mov_b32 s17, exec_lo
	s_delay_alu instid0(VALU_DEP_1) | instskip(SKIP_2) | instid1(VALU_DEP_3)
	v_cndmask_b32_e64 v26, v8, v9, s0
	v_cndmask_b32_e64 v27, 0, 1, s0
	;; [unrolled: 1-line block ×3, first 2 shown]
	v_cmp_gt_f32_e64 s1, v10, v26
	s_delay_alu instid0(VALU_DEP_1) | instskip(NEXT) | instid1(VALU_DEP_4)
	v_cndmask_b32_e64 v26, v26, v10, s1
	v_cndmask_b32_e64 v27, v27, 2, s1
	s_delay_alu instid0(VALU_DEP_4) | instskip(NEXT) | instid1(VALU_DEP_3)
	v_cndmask_b32_e64 v28, v28, v2, s1
	v_cmp_gt_f32_e64 s0, v11, v26
	s_delay_alu instid0(VALU_DEP_1) | instskip(NEXT) | instid1(VALU_DEP_4)
	v_cndmask_b32_e64 v26, v26, v11, s0
	v_cndmask_b32_e64 v27, v27, 3, s0
	s_delay_alu instid0(VALU_DEP_4) | instskip(NEXT) | instid1(VALU_DEP_3)
	v_cndmask_b32_e64 v28, v28, v3, s0
	;; [unrolled: 6-line block ×4, first 2 shown]
	v_cmp_gt_f32_e64 s1, v14, v26
	s_delay_alu instid0(VALU_DEP_1) | instskip(NEXT) | instid1(VALU_DEP_4)
	v_cndmask_b32_e64 v26, v26, v14, s1
	v_cndmask_b32_e64 v27, v27, 6, s1
	s_waitcnt lgkmcnt(0)
	v_cndmask_b32_e64 v29, v28, v6, s1
	s_delay_alu instid0(VALU_DEP_3) | instskip(NEXT) | instid1(VALU_DEP_1)
	v_cmp_gt_f32_e64 s0, v15, v26
	v_cndmask_b32_e64 v28, v26, v15, s0
	v_cndmask_b32_e64 v26, v27, 7, s0
	s_delay_alu instid0(VALU_DEP_4)
	v_cndmask_b32_e64 v27, v29, v7, s0
	ds_bpermute_b32 v29, v18, v28
	v_or_b32_e32 v26, v22, v26
	ds_bpermute_b32 v31, v18, v27
	ds_bpermute_b32 v30, v18, v26
	s_waitcnt lgkmcnt(0)
	v_cmp_lt_f32_e64 s16, v28, v29
	v_cmpx_nlt_f32_e32 v28, v29
; %bb.11:                               ;   in Loop: Header=BB121_10 Depth=1
	v_cmp_eq_f32_e64 s0, v28, v29
	v_cmp_lt_i32_e64 s1, v30, v26
	s_delay_alu instid0(VALU_DEP_1) | instskip(SKIP_2) | instid1(SALU_CYCLE_1)
	s_and_b32 s0, s0, s1
	s_and_not1_b32 s1, s16, exec_lo
	s_and_b32 s0, s0, exec_lo
	s_or_b32 s16, s1, s0
; %bb.12:                               ;   in Loop: Header=BB121_10 Depth=1
	s_or_b32 exec_lo, exec_lo, s17
	s_and_saveexec_b32 s0, s16
; %bb.13:                               ;   in Loop: Header=BB121_10 Depth=1
	v_dual_mov_b32 v27, v31 :: v_dual_mov_b32 v28, v29
	v_mov_b32_e32 v26, v30
; %bb.14:                               ;   in Loop: Header=BB121_10 Depth=1
	s_or_b32 exec_lo, exec_lo, s0
	ds_bpermute_b32 v30, v19, v28
	ds_bpermute_b32 v31, v19, v27
	ds_bpermute_b32 v29, v19, v26
	s_mov_b32 s17, exec_lo
	s_waitcnt lgkmcnt(2)
	v_cmp_lt_f32_e64 s16, v28, v30
	v_cmpx_nlt_f32_e32 v28, v30
	s_cbranch_execz .LBB121_16
; %bb.15:                               ;   in Loop: Header=BB121_10 Depth=1
	v_cmp_eq_f32_e64 s0, v28, v30
	s_waitcnt lgkmcnt(0)
	v_cmp_lt_i32_e64 s1, v29, v26
	s_delay_alu instid0(VALU_DEP_1) | instskip(SKIP_2) | instid1(SALU_CYCLE_1)
	s_and_b32 s0, s0, s1
	s_and_not1_b32 s1, s16, exec_lo
	s_and_b32 s0, s0, exec_lo
	s_or_b32 s16, s1, s0
.LBB121_16:                             ;   in Loop: Header=BB121_10 Depth=1
	s_or_b32 exec_lo, exec_lo, s17
	s_delay_alu instid0(VALU_DEP_2)
	s_and_saveexec_b32 s0, s16
	s_cbranch_execz .LBB121_18
; %bb.17:                               ;   in Loop: Header=BB121_10 Depth=1
	s_waitcnt lgkmcnt(1)
	v_dual_mov_b32 v27, v31 :: v_dual_mov_b32 v28, v30
	s_waitcnt lgkmcnt(0)
	v_mov_b32_e32 v26, v29
.LBB121_18:                             ;   in Loop: Header=BB121_10 Depth=1
	s_or_b32 exec_lo, exec_lo, s0
	ds_bpermute_b32 v30, v20, v28
	s_waitcnt lgkmcnt(2)
	ds_bpermute_b32 v31, v20, v27
	s_waitcnt lgkmcnt(2)
	ds_bpermute_b32 v29, v20, v26
	s_mov_b32 s17, exec_lo
	s_waitcnt lgkmcnt(2)
	v_cmp_lt_f32_e64 s16, v28, v30
	v_cmpx_nlt_f32_e32 v28, v30
	s_cbranch_execz .LBB121_20
; %bb.19:                               ;   in Loop: Header=BB121_10 Depth=1
	v_cmp_eq_f32_e64 s0, v28, v30
	s_waitcnt lgkmcnt(0)
	v_cmp_lt_i32_e64 s1, v29, v26
	s_delay_alu instid0(VALU_DEP_1) | instskip(SKIP_2) | instid1(SALU_CYCLE_1)
	s_and_b32 s0, s0, s1
	s_and_not1_b32 s1, s16, exec_lo
	s_and_b32 s0, s0, exec_lo
	s_or_b32 s16, s1, s0
.LBB121_20:                             ;   in Loop: Header=BB121_10 Depth=1
	s_or_b32 exec_lo, exec_lo, s17
	s_delay_alu instid0(VALU_DEP_2)
	s_and_saveexec_b32 s0, s16
	s_cbranch_execz .LBB121_22
; %bb.21:                               ;   in Loop: Header=BB121_10 Depth=1
	s_waitcnt lgkmcnt(1)
	v_dual_mov_b32 v27, v31 :: v_dual_mov_b32 v28, v30
	s_waitcnt lgkmcnt(0)
	v_mov_b32_e32 v26, v29
.LBB121_22:                             ;   in Loop: Header=BB121_10 Depth=1
	s_or_b32 exec_lo, exec_lo, s0
	s_waitcnt lgkmcnt(1)
	ds_bpermute_b32 v31, v21, v28
	ds_bpermute_b32 v30, v21, v27
	s_waitcnt lgkmcnt(2)
	ds_bpermute_b32 v29, v21, v26
	s_mov_b32 s17, exec_lo
	s_waitcnt lgkmcnt(2)
	v_cmp_lt_f32_e64 s16, v28, v31
	v_cmpx_nlt_f32_e32 v28, v31
	s_cbranch_execnz .LBB121_26
; %bb.23:                               ;   in Loop: Header=BB121_10 Depth=1
	s_or_b32 exec_lo, exec_lo, s17
	s_delay_alu instid0(VALU_DEP_2)
	s_and_saveexec_b32 s0, s16
	s_cbranch_execnz .LBB121_27
.LBB121_24:                             ;   in Loop: Header=BB121_10 Depth=1
	s_or_b32 exec_lo, exec_lo, s0
	s_and_saveexec_b32 s16, s2
	s_cbranch_execnz .LBB121_28
.LBB121_25:                             ;   in Loop: Header=BB121_10 Depth=1
	s_or_b32 exec_lo, exec_lo, s16
	s_add_i32 s7, s7, 1
	s_delay_alu instid0(SALU_CYCLE_1)
	s_cmp_ge_i32 s7, s4
	s_cbranch_scc1 .LBB121_9
	s_branch .LBB121_29
.LBB121_26:                             ;   in Loop: Header=BB121_10 Depth=1
	v_cmp_eq_f32_e64 s0, v28, v31
	s_waitcnt lgkmcnt(0)
	v_cmp_lt_i32_e64 s1, v29, v26
	s_delay_alu instid0(VALU_DEP_1) | instskip(SKIP_2) | instid1(SALU_CYCLE_1)
	s_and_b32 s0, s0, s1
	s_and_not1_b32 s1, s16, exec_lo
	s_and_b32 s0, s0, exec_lo
	s_or_b32 s16, s1, s0
	s_or_b32 exec_lo, exec_lo, s17
	s_and_saveexec_b32 s0, s16
	s_cbranch_execz .LBB121_24
.LBB121_27:                             ;   in Loop: Header=BB121_10 Depth=1
	s_waitcnt lgkmcnt(0)
	v_dual_mov_b32 v27, v30 :: v_dual_mov_b32 v26, v29
	s_or_b32 exec_lo, exec_lo, s0
	s_and_saveexec_b32 s16, s2
	s_cbranch_execz .LBB121_25
.LBB121_28:                             ;   in Loop: Header=BB121_10 Depth=1
	v_add_nc_u32_e32 v28, s7, v24
	v_subrev_nc_u32_e32 v32, s5, v26
	v_cmp_le_i32_e64 s0, s5, v26
	v_cmp_gt_i32_e64 s1, s6, v26
	v_add_f32_e32 v36, v23, v27
	s_waitcnt lgkmcnt(0)
	v_ashrrev_i32_e32 v29, 31, v28
	v_ashrrev_i32_e32 v33, 31, v32
	s_and_b32 s0, s0, s1
	v_cndmask_b32_e32 v23, v23, v36, vcc_lo
	s_delay_alu instid0(VALU_DEP_3) | instskip(SKIP_2) | instid1(SALU_CYCLE_1)
	v_lshlrev_b64 v[30:31], 2, v[28:29]
	v_lshlrev_b64 v[28:29], 3, v[28:29]
	s_and_b32 s0, s15, s0
	v_cndmask_b32_e64 v33, 0, v33, s0
	v_cndmask_b32_e64 v32, 0x80, v32, s0
	s_delay_alu instid0(VALU_DEP_4) | instskip(NEXT) | instid1(VALU_DEP_1)
	v_add_co_u32 v34, s0, s12, v30
	v_add_co_ci_u32_e64 v35, s0, s13, v31, s0
	v_add_co_u32 v28, s0, s8, v28
	s_delay_alu instid0(VALU_DEP_1) | instskip(SKIP_1) | instid1(VALU_DEP_1)
	v_add_co_ci_u32_e64 v29, s0, s9, v29, s0
	v_add_co_u32 v30, s0, s10, v30
	v_add_co_ci_u32_e64 v31, s0, s11, v31, s0
	global_store_b32 v[34:35], v27, off
	global_store_b64 v[28:29], v[32:33], off
	global_store_b32 v[30:31], v25, off
	s_or_b32 exec_lo, exec_lo, s16
	s_add_i32 s7, s7, 1
	s_delay_alu instid0(SALU_CYCLE_1)
	s_cmp_ge_i32 s7, s4
	s_cbranch_scc1 .LBB121_9
.LBB121_29:                             ;   in Loop: Header=BB121_10 Depth=1
	v_ashrrev_i32_e32 v28, 31, v26
	s_mov_b32 s1, exec_lo
	s_delay_alu instid0(VALU_DEP_1) | instskip(NEXT) | instid1(VALU_DEP_1)
	v_lshrrev_b32_e32 v27, 29, v28
	v_add_nc_u32_e32 v27, v26, v27
	s_delay_alu instid0(VALU_DEP_1) | instskip(SKIP_1) | instid1(VALU_DEP_1)
	v_ashrrev_i32_e32 v27, 3, v27
	s_waitcnt lgkmcnt(0)
	v_lshrrev_b32_e32 v29, 28, v27
	s_delay_alu instid0(VALU_DEP_1) | instskip(NEXT) | instid1(VALU_DEP_1)
	v_add_nc_u32_e32 v29, v27, v29
	v_and_b32_e32 v29, -16, v29
	s_delay_alu instid0(VALU_DEP_1) | instskip(NEXT) | instid1(VALU_DEP_1)
	v_sub_nc_u32_e32 v29, v27, v29
	v_cmpx_eq_u32_e64 v17, v29
	s_cbranch_execz .LBB121_8
; %bb.30:                               ;   in Loop: Header=BB121_10 Depth=1
	v_lshrrev_b32_e32 v28, 25, v28
	v_lshlrev_b32_e32 v27, 3, v27
	s_delay_alu instid0(VALU_DEP_2) | instskip(NEXT) | instid1(VALU_DEP_2)
	v_add_nc_u32_e32 v28, v26, v28
	v_sub_nc_u32_e32 v26, v26, v27
	s_delay_alu instid0(VALU_DEP_2) | instskip(NEXT) | instid1(VALU_DEP_1)
	v_ashrrev_i32_e32 v27, 7, v28
	v_lshl_add_u32 v26, v27, 3, v26
	s_delay_alu instid0(VALU_DEP_1) | instskip(NEXT) | instid1(VALU_DEP_1)
	v_cmp_ne_u32_e64 s0, 7, v26
	v_cndmask_b32_e64 v15, 0xc61c4000, v15, s0
	v_cmp_ne_u32_e64 s0, 6, v26
	s_delay_alu instid0(VALU_DEP_1) | instskip(SKIP_1) | instid1(VALU_DEP_1)
	v_cndmask_b32_e64 v14, 0xc61c4000, v14, s0
	v_cmp_ne_u32_e64 s0, 5, v26
	v_cndmask_b32_e64 v13, 0xc61c4000, v13, s0
	v_cmp_ne_u32_e64 s0, 4, v26
	s_delay_alu instid0(VALU_DEP_1) | instskip(SKIP_1) | instid1(VALU_DEP_1)
	v_cndmask_b32_e64 v12, 0xc61c4000, v12, s0
	;; [unrolled: 5-line block ×3, first 2 shown]
	v_cmp_ne_u32_e64 s0, 1, v26
	v_cndmask_b32_e64 v9, 0xc61c4000, v9, s0
	v_cmp_ne_u32_e64 s0, 0, v26
	s_delay_alu instid0(VALU_DEP_1)
	v_cndmask_b32_e64 v8, 0xc61c4000, v8, s0
	s_branch .LBB121_8
.LBB121_31:
                                        ; implicit-def: $vgpr8_vgpr9_vgpr10_vgpr11_vgpr12_vgpr13_vgpr14_vgpr15
	s_and_not1_b32 vcc_lo, exec_lo, s8
	s_cbranch_vccz .LBB121_5
	s_branch .LBB121_6
.LBB121_32:
	v_mov_b32_e32 v23, 0
.LBB121_33:
	v_cmp_eq_u32_e64 s0, 0, v17
	s_delay_alu instid0(VALU_DEP_1) | instskip(NEXT) | instid1(SALU_CYCLE_1)
	s_and_b32 s0, s0, vcc_lo
	s_and_b32 exec_lo, exec_lo, s0
	s_cbranch_execz .LBB121_37
; %bb.34:
	s_and_not1_b32 vcc_lo, exec_lo, s3
	s_cbranch_vccnz .LBB121_37
; %bb.35:
	v_mul_lo_u32 v0, v16, s4
	v_cmp_lt_f32_e32 vcc_lo, 0, v23
	v_cndmask_b32_e32 v2, 1.0, v23, vcc_lo
	s_delay_alu instid0(VALU_DEP_3) | instskip(NEXT) | instid1(VALU_DEP_1)
	v_ashrrev_i32_e32 v1, 31, v0
	v_lshlrev_b64 v[0:1], 2, v[0:1]
	s_delay_alu instid0(VALU_DEP_1) | instskip(NEXT) | instid1(VALU_DEP_2)
	v_add_co_u32 v0, vcc_lo, s12, v0
	v_add_co_ci_u32_e32 v1, vcc_lo, s13, v1, vcc_lo
	.p2align	6
.LBB121_36:                             ; =>This Inner Loop Header: Depth=1
	global_load_b32 v3, v[0:1], off
	s_add_i32 s4, s4, -1
	s_delay_alu instid0(SALU_CYCLE_1) | instskip(SKIP_3) | instid1(VALU_DEP_2)
	s_cmp_lg_u32 s4, 0
	s_waitcnt vmcnt(0)
	v_div_scale_f32 v4, null, v2, v2, v3
	v_div_scale_f32 v7, vcc_lo, v3, v2, v3
	v_rcp_f32_e32 v5, v4
	s_waitcnt_depctr 0xfff
	v_fma_f32 v6, -v4, v5, 1.0
	s_delay_alu instid0(VALU_DEP_1) | instskip(NEXT) | instid1(VALU_DEP_1)
	v_fmac_f32_e32 v5, v6, v5
	v_mul_f32_e32 v6, v7, v5
	s_delay_alu instid0(VALU_DEP_1) | instskip(NEXT) | instid1(VALU_DEP_1)
	v_fma_f32 v8, -v4, v6, v7
	v_fmac_f32_e32 v6, v8, v5
	s_delay_alu instid0(VALU_DEP_1) | instskip(NEXT) | instid1(VALU_DEP_1)
	v_fma_f32 v4, -v4, v6, v7
	v_div_fmas_f32 v4, v4, v5, v6
	s_delay_alu instid0(VALU_DEP_1)
	v_div_fixup_f32 v3, v4, v2, v3
	global_store_b32 v[0:1], v3, off
	v_add_co_u32 v0, vcc_lo, v0, 4
	v_add_co_ci_u32_e32 v1, vcc_lo, 0, v1, vcc_lo
	s_cbranch_scc1 .LBB121_36
.LBB121_37:
	s_nop 0
	s_sendmsg sendmsg(MSG_DEALLOC_VGPRS)
	s_endpgm
	.section	.rodata,"a",@progbits
	.p2align	6, 0x0
	.amdhsa_kernel _ZN4vllm3moe10topkGatingILi8ELi128ELi4ELi16ELi64El6__halfLNS0_11ScoringFuncE0EEEvPKT5_PKbPfiPT4_PiiiibPKf
		.amdhsa_group_segment_fixed_size 0
		.amdhsa_private_segment_fixed_size 0
		.amdhsa_kernarg_size 72
		.amdhsa_user_sgpr_count 15
		.amdhsa_user_sgpr_dispatch_ptr 0
		.amdhsa_user_sgpr_queue_ptr 0
		.amdhsa_user_sgpr_kernarg_segment_ptr 1
		.amdhsa_user_sgpr_dispatch_id 0
		.amdhsa_user_sgpr_private_segment_size 0
		.amdhsa_wavefront_size32 1
		.amdhsa_uses_dynamic_stack 0
		.amdhsa_enable_private_segment 0
		.amdhsa_system_sgpr_workgroup_id_x 1
		.amdhsa_system_sgpr_workgroup_id_y 0
		.amdhsa_system_sgpr_workgroup_id_z 0
		.amdhsa_system_sgpr_workgroup_info 0
		.amdhsa_system_vgpr_workitem_id 1
		.amdhsa_next_free_vgpr 38
		.amdhsa_next_free_sgpr 18
		.amdhsa_reserve_vcc 1
		.amdhsa_float_round_mode_32 0
		.amdhsa_float_round_mode_16_64 0
		.amdhsa_float_denorm_mode_32 3
		.amdhsa_float_denorm_mode_16_64 3
		.amdhsa_dx10_clamp 1
		.amdhsa_ieee_mode 1
		.amdhsa_fp16_overflow 0
		.amdhsa_workgroup_processor_mode 1
		.amdhsa_memory_ordered 1
		.amdhsa_forward_progress 0
		.amdhsa_shared_vgpr_count 0
		.amdhsa_exception_fp_ieee_invalid_op 0
		.amdhsa_exception_fp_denorm_src 0
		.amdhsa_exception_fp_ieee_div_zero 0
		.amdhsa_exception_fp_ieee_overflow 0
		.amdhsa_exception_fp_ieee_underflow 0
		.amdhsa_exception_fp_ieee_inexact 0
		.amdhsa_exception_int_div_zero 0
	.end_amdhsa_kernel
	.section	.text._ZN4vllm3moe10topkGatingILi8ELi128ELi4ELi16ELi64El6__halfLNS0_11ScoringFuncE0EEEvPKT5_PKbPfiPT4_PiiiibPKf,"axG",@progbits,_ZN4vllm3moe10topkGatingILi8ELi128ELi4ELi16ELi64El6__halfLNS0_11ScoringFuncE0EEEvPKT5_PKbPfiPT4_PiiiibPKf,comdat
.Lfunc_end121:
	.size	_ZN4vllm3moe10topkGatingILi8ELi128ELi4ELi16ELi64El6__halfLNS0_11ScoringFuncE0EEEvPKT5_PKbPfiPT4_PiiiibPKf, .Lfunc_end121-_ZN4vllm3moe10topkGatingILi8ELi128ELi4ELi16ELi64El6__halfLNS0_11ScoringFuncE0EEEvPKT5_PKbPfiPT4_PiiiibPKf
                                        ; -- End function
	.section	.AMDGPU.csdata,"",@progbits
; Kernel info:
; codeLenInByte = 3428
; NumSgprs: 20
; NumVgprs: 38
; ScratchSize: 0
; MemoryBound: 0
; FloatMode: 240
; IeeeMode: 1
; LDSByteSize: 0 bytes/workgroup (compile time only)
; SGPRBlocks: 2
; VGPRBlocks: 4
; NumSGPRsForWavesPerEU: 20
; NumVGPRsForWavesPerEU: 38
; Occupancy: 16
; WaveLimiterHint : 0
; COMPUTE_PGM_RSRC2:SCRATCH_EN: 0
; COMPUTE_PGM_RSRC2:USER_SGPR: 15
; COMPUTE_PGM_RSRC2:TRAP_HANDLER: 0
; COMPUTE_PGM_RSRC2:TGID_X_EN: 1
; COMPUTE_PGM_RSRC2:TGID_Y_EN: 0
; COMPUTE_PGM_RSRC2:TGID_Z_EN: 0
; COMPUTE_PGM_RSRC2:TIDIG_COMP_CNT: 1
	.section	.text._ZN4vllm3moe10topkGatingILi8ELi128ELi4ELi16ELi32El6__halfLNS0_11ScoringFuncE0EEEvPKT5_PKbPfiPT4_PiiiibPKf,"axG",@progbits,_ZN4vllm3moe10topkGatingILi8ELi128ELi4ELi16ELi32El6__halfLNS0_11ScoringFuncE0EEEvPKT5_PKbPfiPT4_PiiiibPKf,comdat
	.protected	_ZN4vllm3moe10topkGatingILi8ELi128ELi4ELi16ELi32El6__halfLNS0_11ScoringFuncE0EEEvPKT5_PKbPfiPT4_PiiiibPKf ; -- Begin function _ZN4vllm3moe10topkGatingILi8ELi128ELi4ELi16ELi32El6__halfLNS0_11ScoringFuncE0EEEvPKT5_PKbPfiPT4_PiiiibPKf
	.globl	_ZN4vllm3moe10topkGatingILi8ELi128ELi4ELi16ELi32El6__halfLNS0_11ScoringFuncE0EEEvPKT5_PKbPfiPT4_PiiiibPKf
	.p2align	8
	.type	_ZN4vllm3moe10topkGatingILi8ELi128ELi4ELi16ELi32El6__halfLNS0_11ScoringFuncE0EEEvPKT5_PKbPfiPT4_PiiiibPKf,@function
_ZN4vllm3moe10topkGatingILi8ELi128ELi4ELi16ELi32El6__halfLNS0_11ScoringFuncE0EEEvPKT5_PKbPfiPT4_PiiiibPKf: ; @_ZN4vllm3moe10topkGatingILi8ELi128ELi4ELi16ELi32El6__halfLNS0_11ScoringFuncE0EEEvPKT5_PKbPfiPT4_PiiiibPKf
; %bb.0:
	s_load_b32 s14, s[0:1], 0x18
	v_bfe_u32 v1, v0, 10, 10
	v_and_b32_e32 v0, 0x3ff, v0
	s_lshl_b32 s2, s15, 3
	s_delay_alu instid0(VALU_DEP_2) | instskip(NEXT) | instid1(VALU_DEP_2)
	v_lshlrev_b32_e32 v1, 1, v1
	v_lshrrev_b32_e32 v2, 4, v0
	s_delay_alu instid0(VALU_DEP_1) | instskip(SKIP_2) | instid1(VALU_DEP_1)
	v_add3_u32 v16, s2, v1, v2
	s_mov_b32 s2, exec_lo
	s_waitcnt lgkmcnt(0)
	v_cmpx_gt_i32_e64 s14, v16
	s_cbranch_execz .LBB122_37
; %bb.1:
	s_clause 0x1
	s_load_b128 s[4:7], s[0:1], 0x0
	s_load_b64 s[12:13], s[0:1], 0x10
	s_mov_b32 s8, -1
	s_mov_b32 s15, -1
	s_waitcnt lgkmcnt(0)
	s_cmp_eq_u64 s[6:7], 0
	s_cbranch_scc1 .LBB122_3
; %bb.2:
	v_ashrrev_i32_e32 v2, 31, v16
	v_add_co_u32 v1, vcc_lo, s6, v16
	s_delay_alu instid0(VALU_DEP_2) | instskip(SKIP_3) | instid1(VALU_DEP_1)
	v_add_co_ci_u32_e32 v2, vcc_lo, s7, v2, vcc_lo
	global_load_u8 v1, v[1:2], off
	s_waitcnt vmcnt(0)
	v_and_b32_e32 v1, 1, v1
	v_cmp_eq_u32_e32 vcc_lo, 1, v1
	s_xor_b32 s2, vcc_lo, -1
	s_delay_alu instid0(SALU_CYCLE_1)
	s_or_not1_b32 s15, s2, exec_lo
.LBB122_3:
	v_lshlrev_b32_e32 v1, 7, v16
	v_and_b32_e32 v17, 15, v0
	v_mbcnt_lo_u32_b32 v4, -1, 0
	s_load_b64 s[2:3], s[0:1], 0x40
	s_delay_alu instid0(VALU_DEP_3) | instskip(NEXT) | instid1(VALU_DEP_2)
	v_ashrrev_i32_e32 v2, 31, v1
	v_and_b32_e32 v6, 16, v4
	v_xor_b32_e32 v8, 8, v4
	v_xor_b32_e32 v12, 4, v4
	s_delay_alu instid0(VALU_DEP_4) | instskip(SKIP_1) | instid1(VALU_DEP_2)
	v_lshlrev_b64 v[0:1], 1, v[1:2]
	v_lshlrev_b32_e32 v2, 4, v17
	v_add_co_u32 v0, vcc_lo, s4, v0
	s_delay_alu instid0(VALU_DEP_3) | instskip(NEXT) | instid1(VALU_DEP_2)
	v_add_co_ci_u32_e32 v1, vcc_lo, s5, v1, vcc_lo
	v_add_co_u32 v0, vcc_lo, v0, v2
	s_delay_alu instid0(VALU_DEP_2)
	v_add_co_ci_u32_e32 v1, vcc_lo, 0, v1, vcc_lo
	s_waitcnt lgkmcnt(0)
	s_cmp_eq_u64 s[2:3], 0
	global_load_b128 v[0:3], v[0:1], off
	s_waitcnt vmcnt(0)
	v_lshrrev_b32_e32 v5, 16, v0
	v_cvt_f32_f16_e32 v0, v0
	v_lshrrev_b32_e32 v7, 16, v1
	v_cvt_f32_f16_e32 v1, v1
	;; [unrolled: 2-line block ×3, first 2 shown]
	v_add_nc_u32_e32 v6, 16, v6
	v_cvt_f32_f16_e32 v7, v7
	v_cvt_f32_f16_e32 v2, v2
	v_lshrrev_b32_e32 v11, 16, v3
	v_max_f32_e32 v10, v0, v5
	v_cvt_f32_f16_e32 v9, v9
	v_cmp_lt_i32_e32 vcc_lo, v8, v6
	v_cvt_f32_f16_e32 v3, v3
	v_cvt_f32_f16_e32 v11, v11
	v_max3_f32 v10, v10, v1, v7
	v_cndmask_b32_e32 v8, v4, v8, vcc_lo
	v_cmp_lt_i32_e32 vcc_lo, v12, v6
	s_delay_alu instid0(VALU_DEP_3) | instskip(NEXT) | instid1(VALU_DEP_3)
	v_max3_f32 v10, v10, v2, v9
	v_lshlrev_b32_e32 v18, 2, v8
	v_cndmask_b32_e32 v12, v4, v12, vcc_lo
	s_delay_alu instid0(VALU_DEP_3) | instskip(SKIP_4) | instid1(VALU_DEP_2)
	v_max3_f32 v8, v10, v3, v11
	ds_bpermute_b32 v10, v18, v8
	s_waitcnt lgkmcnt(0)
	v_dual_max_f32 v10, v10, v10 :: v_dual_lshlrev_b32 v19, 2, v12
	v_xor_b32_e32 v12, 2, v4
	v_max_f32_e32 v8, v8, v10
	s_delay_alu instid0(VALU_DEP_2) | instskip(SKIP_2) | instid1(VALU_DEP_1)
	v_cmp_lt_i32_e32 vcc_lo, v12, v6
	ds_bpermute_b32 v10, v19, v8
	v_cndmask_b32_e32 v12, v4, v12, vcc_lo
	v_lshlrev_b32_e32 v20, 2, v12
	v_xor_b32_e32 v12, 1, v4
	s_delay_alu instid0(VALU_DEP_1) | instskip(SKIP_2) | instid1(VALU_DEP_1)
	v_cmp_lt_i32_e32 vcc_lo, v12, v6
	v_cndmask_b32_e32 v4, v4, v12, vcc_lo
	s_waitcnt lgkmcnt(0)
	v_dual_max_f32 v10, v10, v10 :: v_dual_lshlrev_b32 v21, 2, v4
	s_delay_alu instid0(VALU_DEP_1) | instskip(SKIP_3) | instid1(VALU_DEP_1)
	v_max_f32_e32 v8, v8, v10
	ds_bpermute_b32 v10, v20, v8
	s_waitcnt lgkmcnt(0)
	v_max_f32_e32 v6, v10, v10
	v_max_f32_e32 v4, v8, v6
	ds_bpermute_b32 v6, v21, v4
	s_waitcnt lgkmcnt(0)
	v_max_f32_e32 v6, v6, v6
	s_delay_alu instid0(VALU_DEP_1) | instskip(NEXT) | instid1(VALU_DEP_1)
	v_max_f32_e32 v4, v4, v6
	v_sub_f32_e32 v5, v5, v4
	v_sub_f32_e32 v6, v7, v4
	;; [unrolled: 1-line block ×5, first 2 shown]
	v_mul_f32_e32 v9, 0x3fb8aa3b, v5
	s_delay_alu instid0(VALU_DEP_4) | instskip(NEXT) | instid1(VALU_DEP_3)
	v_mul_f32_e32 v13, 0x3fb8aa3b, v7
	v_mul_f32_e32 v14, 0x3fb8aa3b, v3
	s_delay_alu instid0(VALU_DEP_3) | instskip(SKIP_1) | instid1(VALU_DEP_4)
	v_fma_f32 v24, 0x3fb8aa3b, v5, -v9
	v_rndne_f32_e32 v25, v9
	v_fma_f32 v32, 0x3fb8aa3b, v7, -v13
	v_rndne_f32_e32 v33, v13
	v_fma_f32 v34, 0x3fb8aa3b, v3, -v14
	v_fmac_f32_e32 v24, 0x32a5705f, v5
	s_delay_alu instid0(VALU_DEP_4) | instskip(NEXT) | instid1(VALU_DEP_4)
	v_dual_sub_f32 v9, v9, v25 :: v_dual_fmac_f32 v32, 0x32a5705f, v7
	v_sub_f32_e32 v13, v13, v33
	v_mul_f32_e32 v10, 0x3fb8aa3b, v1
	v_cvt_i32_f32_e32 v25, v25
	s_delay_alu instid0(VALU_DEP_4)
	v_add_f32_e32 v9, v9, v24
	v_cvt_i32_f32_e32 v33, v33
	v_add_f32_e32 v13, v13, v32
	v_fma_f32 v26, 0x3fb8aa3b, v1, -v10
	v_rndne_f32_e32 v27, v10
	v_exp_f32_e32 v9, v9
	v_rndne_f32_e32 v35, v14
	v_exp_f32_e32 v13, v13
	v_fmac_f32_e32 v26, 0x32a5705f, v1
	v_sub_f32_e32 v10, v10, v27
	v_cvt_i32_f32_e32 v27, v27
	v_fmac_f32_e32 v34, 0x32a5705f, v3
	v_sub_f32_e32 v14, v14, v35
	s_delay_alu instid0(VALU_DEP_4) | instskip(NEXT) | instid1(TRANS32_DEP_2)
	v_add_f32_e32 v10, v10, v26
	v_ldexp_f32 v9, v9, v25
	v_sub_f32_e32 v0, v0, v4
	s_delay_alu instid0(TRANS32_DEP_1) | instskip(SKIP_2) | instid1(VALU_DEP_3)
	v_ldexp_f32 v13, v13, v33
	v_add_f32_e32 v14, v14, v34
	v_exp_f32_e32 v10, v10
	v_mul_f32_e32 v8, 0x3fb8aa3b, v0
	v_cmp_ngt_f32_e32 vcc_lo, 0xc2ce8ed0, v0
	s_delay_alu instid0(VALU_DEP_3) | instskip(NEXT) | instid1(VALU_DEP_2)
	v_exp_f32_e32 v14, v14
	v_fma_f32 v22, 0x3fb8aa3b, v0, -v8
	v_rndne_f32_e32 v23, v8
	s_waitcnt_depctr 0xfff
	v_ldexp_f32 v10, v10, v27
	v_fmac_f32_e32 v22, 0x32a5705f, v0
	v_sub_f32_e32 v8, v8, v23
	v_cvt_i32_f32_e32 v23, v23
	s_delay_alu instid0(VALU_DEP_2) | instskip(SKIP_1) | instid1(VALU_DEP_2)
	v_add_f32_e32 v8, v8, v22
	v_cvt_i32_f32_e32 v22, v35
	v_exp_f32_e32 v8, v8
	s_delay_alu instid0(VALU_DEP_1) | instskip(SKIP_3) | instid1(VALU_DEP_1)
	v_ldexp_f32 v14, v14, v22
	v_lshlrev_b32_e32 v22, 3, v17
	s_waitcnt_depctr 0xfff
	v_ldexp_f32 v8, v8, v23
	v_cndmask_b32_e32 v8, 0, v8, vcc_lo
	v_cmp_ngt_f32_e32 vcc_lo, 0xc2ce8ed0, v5
	v_cndmask_b32_e32 v9, 0, v9, vcc_lo
	v_cmp_ngt_f32_e32 vcc_lo, 0xc2ce8ed0, v1
	v_cndmask_b32_e32 v10, 0, v10, vcc_lo
	v_cmp_nlt_f32_e32 vcc_lo, 0x42b17218, v0
	v_sub_f32_e32 v2, v2, v4
	v_cndmask_b32_e32 v0, 0x7f800000, v8, vcc_lo
	v_cmp_nlt_f32_e32 vcc_lo, 0x42b17218, v5
	v_dual_cndmask_b32 v5, 0x7f800000, v9 :: v_dual_sub_f32 v4, v11, v4
	v_mul_f32_e32 v11, 0x3fb8aa3b, v6
	v_cmp_ngt_f32_e32 vcc_lo, 0xc2ce8ed0, v6
	s_delay_alu instid0(VALU_DEP_3) | instskip(NEXT) | instid1(VALU_DEP_4)
	v_add_f32_e32 v9, v0, v5
	v_mul_f32_e32 v15, 0x3fb8aa3b, v4
	s_delay_alu instid0(VALU_DEP_4) | instskip(SKIP_1) | instid1(VALU_DEP_3)
	v_fma_f32 v28, 0x3fb8aa3b, v6, -v11
	v_rndne_f32_e32 v29, v11
	v_fma_f32 v36, 0x3fb8aa3b, v4, -v15
	s_delay_alu instid0(VALU_DEP_2) | instskip(SKIP_2) | instid1(VALU_DEP_4)
	v_dual_fmac_f32 v28, 0x32a5705f, v6 :: v_dual_sub_f32 v11, v11, v29
	v_cvt_i32_f32_e32 v29, v29
	v_rndne_f32_e32 v37, v15
	v_fmac_f32_e32 v36, 0x32a5705f, v4
	s_delay_alu instid0(VALU_DEP_4) | instskip(NEXT) | instid1(VALU_DEP_3)
	v_add_f32_e32 v11, v11, v28
	v_sub_f32_e32 v15, v15, v37
	v_cvt_i32_f32_e32 v24, v37
	s_delay_alu instid0(VALU_DEP_3) | instskip(NEXT) | instid1(VALU_DEP_2)
	v_exp_f32_e32 v11, v11
	v_add_f32_e32 v15, v15, v36
	s_delay_alu instid0(VALU_DEP_1) | instskip(SKIP_2) | instid1(VALU_DEP_1)
	v_exp_f32_e32 v15, v15
	s_waitcnt_depctr 0xfff
	v_ldexp_f32 v11, v11, v29
	v_cndmask_b32_e32 v8, 0, v11, vcc_lo
	v_cmp_nlt_f32_e32 vcc_lo, 0x42b17218, v1
	v_ldexp_f32 v15, v15, v24
	v_cndmask_b32_e32 v1, 0x7f800000, v10, vcc_lo
	v_mul_f32_e32 v12, 0x3fb8aa3b, v2
	v_cmp_ngt_f32_e32 vcc_lo, 0xc2ce8ed0, v2
	s_delay_alu instid0(VALU_DEP_2) | instskip(SKIP_1) | instid1(VALU_DEP_2)
	v_fma_f32 v30, 0x3fb8aa3b, v2, -v12
	v_rndne_f32_e32 v31, v12
	v_fmac_f32_e32 v30, 0x32a5705f, v2
	s_delay_alu instid0(VALU_DEP_2) | instskip(SKIP_1) | instid1(VALU_DEP_2)
	v_sub_f32_e32 v12, v12, v31
	v_cvt_i32_f32_e32 v31, v31
	v_add_f32_e32 v12, v12, v30
	s_delay_alu instid0(VALU_DEP_1) | instskip(SKIP_2) | instid1(VALU_DEP_1)
	v_exp_f32_e32 v12, v12
	s_waitcnt_depctr 0xfff
	v_ldexp_f32 v12, v12, v31
	v_cndmask_b32_e32 v10, 0, v12, vcc_lo
	v_cmp_nlt_f32_e32 vcc_lo, 0x42b17218, v6
	v_cndmask_b32_e32 v6, 0x7f800000, v8, vcc_lo
	v_cmp_ngt_f32_e32 vcc_lo, 0xc2ce8ed0, v7
	v_add_f32_e32 v8, v9, v1
	v_cndmask_b32_e32 v9, 0, v13, vcc_lo
	v_cmp_nlt_f32_e32 vcc_lo, 0x42b17218, v2
	s_delay_alu instid0(VALU_DEP_3) | instskip(SKIP_2) | instid1(VALU_DEP_2)
	v_add_f32_e32 v8, v8, v6
	v_cndmask_b32_e32 v2, 0x7f800000, v10, vcc_lo
	v_cmp_ngt_f32_e32 vcc_lo, 0xc2ce8ed0, v3
	v_add_f32_e32 v8, v8, v2
	v_cndmask_b32_e32 v10, 0, v14, vcc_lo
	v_cmp_nlt_f32_e32 vcc_lo, 0x42b17218, v7
	v_cndmask_b32_e32 v7, 0x7f800000, v9, vcc_lo
	v_cmp_ngt_f32_e32 vcc_lo, 0xc2ce8ed0, v4
	s_delay_alu instid0(VALU_DEP_2) | instskip(SKIP_4) | instid1(VALU_DEP_2)
	v_add_f32_e32 v8, v8, v7
	v_cndmask_b32_e32 v9, 0, v15, vcc_lo
	v_cmp_nlt_f32_e32 vcc_lo, 0x42b17218, v3
	v_cndmask_b32_e32 v3, 0x7f800000, v10, vcc_lo
	v_cmp_nlt_f32_e32 vcc_lo, 0x42b17218, v4
	v_add_f32_e32 v8, v8, v3
	v_cndmask_b32_e32 v4, 0x7f800000, v9, vcc_lo
	s_delay_alu instid0(VALU_DEP_1)
	v_add_f32_e32 v8, v8, v4
	ds_bpermute_b32 v9, v18, v8
	s_waitcnt lgkmcnt(0)
	v_add_f32_e32 v8, v8, v9
	ds_bpermute_b32 v9, v19, v8
	s_waitcnt lgkmcnt(0)
	;; [unrolled: 3-line block ×4, first 2 shown]
	v_add_f32_e32 v8, v8, v9
	s_delay_alu instid0(VALU_DEP_1) | instskip(SKIP_1) | instid1(VALU_DEP_2)
	v_div_scale_f32 v9, null, v8, v8, 1.0
	v_div_scale_f32 v12, vcc_lo, 1.0, v8, 1.0
	v_rcp_f32_e32 v10, v9
	s_waitcnt_depctr 0xfff
	v_fma_f32 v11, -v9, v10, 1.0
	s_delay_alu instid0(VALU_DEP_1) | instskip(NEXT) | instid1(VALU_DEP_1)
	v_fmac_f32_e32 v10, v11, v10
	v_mul_f32_e32 v11, v12, v10
	s_delay_alu instid0(VALU_DEP_1) | instskip(NEXT) | instid1(VALU_DEP_1)
	v_fma_f32 v13, -v9, v11, v12
	v_fmac_f32_e32 v11, v13, v10
	s_delay_alu instid0(VALU_DEP_1) | instskip(NEXT) | instid1(VALU_DEP_1)
	v_fma_f32 v9, -v9, v11, v12
	v_div_fmas_f32 v9, v9, v10, v11
	s_delay_alu instid0(VALU_DEP_1) | instskip(NEXT) | instid1(VALU_DEP_1)
	v_div_fixup_f32 v8, v9, v8, 1.0
	v_mul_f32_e32 v0, v8, v0
	v_mul_f32_e32 v5, v8, v5
	;; [unrolled: 1-line block ×5, first 2 shown]
	v_cmp_class_f32_e64 vcc_lo, v0, 0x1f8
	v_mul_f32_e32 v7, v8, v7
	v_mul_f32_e32 v11, v8, v3
	;; [unrolled: 1-line block ×3, first 2 shown]
	v_cndmask_b32_e32 v0, 0, v0, vcc_lo
	v_cmp_class_f32_e64 vcc_lo, v5, 0x1f8
	v_cndmask_b32_e32 v1, 0, v5, vcc_lo
	v_cmp_class_f32_e64 vcc_lo, v9, 0x1f8
	;; [unrolled: 2-line block ×7, first 2 shown]
	v_cndmask_b32_e32 v7, 0, v8, vcc_lo
	s_cbranch_scc1 .LBB122_31
; %bb.4:
	v_lshlrev_b32_e32 v12, 2, v22
	s_clause 0x1
	global_load_b128 v[8:11], v12, s[2:3]
	global_load_b128 v[12:15], v12, s[2:3] offset:16
	s_waitcnt vmcnt(1)
	v_dual_add_f32 v9, v9, v1 :: v_dual_add_f32 v8, v8, v0
	v_dual_add_f32 v11, v11, v3 :: v_dual_add_f32 v10, v10, v2
	s_waitcnt vmcnt(0)
	v_dual_add_f32 v13, v13, v5 :: v_dual_add_f32 v12, v12, v4
	v_dual_add_f32 v15, v15, v7 :: v_dual_add_f32 v14, v14, v6
	s_cbranch_execnz .LBB122_6
.LBB122_5:
	v_dual_mov_b32 v15, v7 :: v_dual_mov_b32 v14, v6
	v_dual_mov_b32 v13, v5 :: v_dual_mov_b32 v12, v4
	;; [unrolled: 1-line block ×4, first 2 shown]
.LBB122_6:
	s_load_b128 s[4:7], s[0:1], 0x30
	v_cmp_eq_u32_e64 s2, 0, v17
	s_waitcnt lgkmcnt(0)
	s_bitcmp1_b32 s7, 0
	s_mov_b32 s7, 0
	s_cselect_b32 vcc_lo, -1, 0
	s_cmp_gt_i32 s4, 0
	s_cselect_b32 s3, -1, 0
	s_cmp_lt_i32 s4, 1
	s_cbranch_scc1 .LBB122_32
; %bb.7:
	s_load_b128 s[8:11], s[0:1], 0x20
	v_mul_lo_u32 v24, v16, s4
	v_mov_b32_e32 v23, 0
	v_mov_b32_e32 v25, v16
	s_branch .LBB122_10
.LBB122_8:                              ;   in Loop: Header=BB122_10 Depth=1
	s_or_b32 exec_lo, exec_lo, s1
.LBB122_9:                              ;   in Loop: Header=BB122_10 Depth=1
	v_add_nc_u32_e32 v25, s14, v25
	s_cmp_eq_u32 s4, s7
	s_cbranch_scc1 .LBB122_33
.LBB122_10:                             ; =>This Inner Loop Header: Depth=1
	v_cmp_gt_f32_e64 s0, v9, v8
	s_mov_b32 s17, exec_lo
	s_delay_alu instid0(VALU_DEP_1) | instskip(SKIP_2) | instid1(VALU_DEP_3)
	v_cndmask_b32_e64 v26, v8, v9, s0
	v_cndmask_b32_e64 v27, 0, 1, s0
	;; [unrolled: 1-line block ×3, first 2 shown]
	v_cmp_gt_f32_e64 s1, v10, v26
	s_delay_alu instid0(VALU_DEP_1) | instskip(NEXT) | instid1(VALU_DEP_4)
	v_cndmask_b32_e64 v26, v26, v10, s1
	v_cndmask_b32_e64 v27, v27, 2, s1
	s_delay_alu instid0(VALU_DEP_4) | instskip(NEXT) | instid1(VALU_DEP_3)
	v_cndmask_b32_e64 v28, v28, v2, s1
	v_cmp_gt_f32_e64 s0, v11, v26
	s_delay_alu instid0(VALU_DEP_1) | instskip(NEXT) | instid1(VALU_DEP_4)
	v_cndmask_b32_e64 v26, v26, v11, s0
	v_cndmask_b32_e64 v27, v27, 3, s0
	s_delay_alu instid0(VALU_DEP_4) | instskip(NEXT) | instid1(VALU_DEP_3)
	v_cndmask_b32_e64 v28, v28, v3, s0
	;; [unrolled: 6-line block ×4, first 2 shown]
	v_cmp_gt_f32_e64 s1, v14, v26
	s_delay_alu instid0(VALU_DEP_1) | instskip(NEXT) | instid1(VALU_DEP_4)
	v_cndmask_b32_e64 v26, v26, v14, s1
	v_cndmask_b32_e64 v27, v27, 6, s1
	s_waitcnt lgkmcnt(0)
	v_cndmask_b32_e64 v29, v28, v6, s1
	s_delay_alu instid0(VALU_DEP_3) | instskip(NEXT) | instid1(VALU_DEP_1)
	v_cmp_gt_f32_e64 s0, v15, v26
	v_cndmask_b32_e64 v28, v26, v15, s0
	v_cndmask_b32_e64 v26, v27, 7, s0
	s_delay_alu instid0(VALU_DEP_4)
	v_cndmask_b32_e64 v27, v29, v7, s0
	ds_bpermute_b32 v29, v18, v28
	v_or_b32_e32 v26, v22, v26
	ds_bpermute_b32 v31, v18, v27
	ds_bpermute_b32 v30, v18, v26
	s_waitcnt lgkmcnt(0)
	v_cmp_lt_f32_e64 s16, v28, v29
	v_cmpx_nlt_f32_e32 v28, v29
; %bb.11:                               ;   in Loop: Header=BB122_10 Depth=1
	v_cmp_eq_f32_e64 s0, v28, v29
	v_cmp_lt_i32_e64 s1, v30, v26
	s_delay_alu instid0(VALU_DEP_1) | instskip(SKIP_2) | instid1(SALU_CYCLE_1)
	s_and_b32 s0, s0, s1
	s_and_not1_b32 s1, s16, exec_lo
	s_and_b32 s0, s0, exec_lo
	s_or_b32 s16, s1, s0
; %bb.12:                               ;   in Loop: Header=BB122_10 Depth=1
	s_or_b32 exec_lo, exec_lo, s17
	s_and_saveexec_b32 s0, s16
; %bb.13:                               ;   in Loop: Header=BB122_10 Depth=1
	v_dual_mov_b32 v27, v31 :: v_dual_mov_b32 v28, v29
	v_mov_b32_e32 v26, v30
; %bb.14:                               ;   in Loop: Header=BB122_10 Depth=1
	s_or_b32 exec_lo, exec_lo, s0
	ds_bpermute_b32 v30, v19, v28
	ds_bpermute_b32 v31, v19, v27
	;; [unrolled: 1-line block ×3, first 2 shown]
	s_mov_b32 s17, exec_lo
	s_waitcnt lgkmcnt(2)
	v_cmp_lt_f32_e64 s16, v28, v30
	v_cmpx_nlt_f32_e32 v28, v30
	s_cbranch_execz .LBB122_16
; %bb.15:                               ;   in Loop: Header=BB122_10 Depth=1
	v_cmp_eq_f32_e64 s0, v28, v30
	s_waitcnt lgkmcnt(0)
	v_cmp_lt_i32_e64 s1, v29, v26
	s_delay_alu instid0(VALU_DEP_1) | instskip(SKIP_2) | instid1(SALU_CYCLE_1)
	s_and_b32 s0, s0, s1
	s_and_not1_b32 s1, s16, exec_lo
	s_and_b32 s0, s0, exec_lo
	s_or_b32 s16, s1, s0
.LBB122_16:                             ;   in Loop: Header=BB122_10 Depth=1
	s_or_b32 exec_lo, exec_lo, s17
	s_delay_alu instid0(VALU_DEP_2)
	s_and_saveexec_b32 s0, s16
	s_cbranch_execz .LBB122_18
; %bb.17:                               ;   in Loop: Header=BB122_10 Depth=1
	s_waitcnt lgkmcnt(1)
	v_dual_mov_b32 v27, v31 :: v_dual_mov_b32 v28, v30
	s_waitcnt lgkmcnt(0)
	v_mov_b32_e32 v26, v29
.LBB122_18:                             ;   in Loop: Header=BB122_10 Depth=1
	s_or_b32 exec_lo, exec_lo, s0
	ds_bpermute_b32 v30, v20, v28
	s_waitcnt lgkmcnt(2)
	ds_bpermute_b32 v31, v20, v27
	s_waitcnt lgkmcnt(2)
	ds_bpermute_b32 v29, v20, v26
	s_mov_b32 s17, exec_lo
	s_waitcnt lgkmcnt(2)
	v_cmp_lt_f32_e64 s16, v28, v30
	v_cmpx_nlt_f32_e32 v28, v30
	s_cbranch_execz .LBB122_20
; %bb.19:                               ;   in Loop: Header=BB122_10 Depth=1
	v_cmp_eq_f32_e64 s0, v28, v30
	s_waitcnt lgkmcnt(0)
	v_cmp_lt_i32_e64 s1, v29, v26
	s_delay_alu instid0(VALU_DEP_1) | instskip(SKIP_2) | instid1(SALU_CYCLE_1)
	s_and_b32 s0, s0, s1
	s_and_not1_b32 s1, s16, exec_lo
	s_and_b32 s0, s0, exec_lo
	s_or_b32 s16, s1, s0
.LBB122_20:                             ;   in Loop: Header=BB122_10 Depth=1
	s_or_b32 exec_lo, exec_lo, s17
	s_delay_alu instid0(VALU_DEP_2)
	s_and_saveexec_b32 s0, s16
	s_cbranch_execz .LBB122_22
; %bb.21:                               ;   in Loop: Header=BB122_10 Depth=1
	s_waitcnt lgkmcnt(1)
	v_dual_mov_b32 v27, v31 :: v_dual_mov_b32 v28, v30
	s_waitcnt lgkmcnt(0)
	v_mov_b32_e32 v26, v29
.LBB122_22:                             ;   in Loop: Header=BB122_10 Depth=1
	s_or_b32 exec_lo, exec_lo, s0
	s_waitcnt lgkmcnt(1)
	ds_bpermute_b32 v31, v21, v28
	ds_bpermute_b32 v30, v21, v27
	s_waitcnt lgkmcnt(2)
	ds_bpermute_b32 v29, v21, v26
	s_mov_b32 s17, exec_lo
	s_waitcnt lgkmcnt(2)
	v_cmp_lt_f32_e64 s16, v28, v31
	v_cmpx_nlt_f32_e32 v28, v31
	s_cbranch_execnz .LBB122_26
; %bb.23:                               ;   in Loop: Header=BB122_10 Depth=1
	s_or_b32 exec_lo, exec_lo, s17
	s_delay_alu instid0(VALU_DEP_2)
	s_and_saveexec_b32 s0, s16
	s_cbranch_execnz .LBB122_27
.LBB122_24:                             ;   in Loop: Header=BB122_10 Depth=1
	s_or_b32 exec_lo, exec_lo, s0
	s_and_saveexec_b32 s16, s2
	s_cbranch_execnz .LBB122_28
.LBB122_25:                             ;   in Loop: Header=BB122_10 Depth=1
	s_or_b32 exec_lo, exec_lo, s16
	s_add_i32 s7, s7, 1
	s_delay_alu instid0(SALU_CYCLE_1)
	s_cmp_ge_i32 s7, s4
	s_cbranch_scc1 .LBB122_9
	s_branch .LBB122_29
.LBB122_26:                             ;   in Loop: Header=BB122_10 Depth=1
	v_cmp_eq_f32_e64 s0, v28, v31
	s_waitcnt lgkmcnt(0)
	v_cmp_lt_i32_e64 s1, v29, v26
	s_delay_alu instid0(VALU_DEP_1) | instskip(SKIP_2) | instid1(SALU_CYCLE_1)
	s_and_b32 s0, s0, s1
	s_and_not1_b32 s1, s16, exec_lo
	s_and_b32 s0, s0, exec_lo
	s_or_b32 s16, s1, s0
	s_or_b32 exec_lo, exec_lo, s17
	s_and_saveexec_b32 s0, s16
	s_cbranch_execz .LBB122_24
.LBB122_27:                             ;   in Loop: Header=BB122_10 Depth=1
	s_waitcnt lgkmcnt(0)
	v_dual_mov_b32 v27, v30 :: v_dual_mov_b32 v26, v29
	s_or_b32 exec_lo, exec_lo, s0
	s_and_saveexec_b32 s16, s2
	s_cbranch_execz .LBB122_25
.LBB122_28:                             ;   in Loop: Header=BB122_10 Depth=1
	v_add_nc_u32_e32 v28, s7, v24
	v_subrev_nc_u32_e32 v32, s5, v26
	v_cmp_le_i32_e64 s0, s5, v26
	v_cmp_gt_i32_e64 s1, s6, v26
	v_add_f32_e32 v36, v23, v27
	s_waitcnt lgkmcnt(0)
	v_ashrrev_i32_e32 v29, 31, v28
	v_ashrrev_i32_e32 v33, 31, v32
	s_and_b32 s0, s0, s1
	v_cndmask_b32_e32 v23, v23, v36, vcc_lo
	s_delay_alu instid0(VALU_DEP_3) | instskip(SKIP_2) | instid1(SALU_CYCLE_1)
	v_lshlrev_b64 v[30:31], 2, v[28:29]
	v_lshlrev_b64 v[28:29], 3, v[28:29]
	s_and_b32 s0, s15, s0
	v_cndmask_b32_e64 v33, 0, v33, s0
	v_cndmask_b32_e64 v32, 0x80, v32, s0
	s_delay_alu instid0(VALU_DEP_4) | instskip(NEXT) | instid1(VALU_DEP_1)
	v_add_co_u32 v34, s0, s12, v30
	v_add_co_ci_u32_e64 v35, s0, s13, v31, s0
	v_add_co_u32 v28, s0, s8, v28
	s_delay_alu instid0(VALU_DEP_1) | instskip(SKIP_1) | instid1(VALU_DEP_1)
	v_add_co_ci_u32_e64 v29, s0, s9, v29, s0
	v_add_co_u32 v30, s0, s10, v30
	v_add_co_ci_u32_e64 v31, s0, s11, v31, s0
	global_store_b32 v[34:35], v27, off
	global_store_b64 v[28:29], v[32:33], off
	global_store_b32 v[30:31], v25, off
	s_or_b32 exec_lo, exec_lo, s16
	s_add_i32 s7, s7, 1
	s_delay_alu instid0(SALU_CYCLE_1)
	s_cmp_ge_i32 s7, s4
	s_cbranch_scc1 .LBB122_9
.LBB122_29:                             ;   in Loop: Header=BB122_10 Depth=1
	v_ashrrev_i32_e32 v28, 31, v26
	s_mov_b32 s1, exec_lo
	s_delay_alu instid0(VALU_DEP_1) | instskip(NEXT) | instid1(VALU_DEP_1)
	v_lshrrev_b32_e32 v27, 29, v28
	v_add_nc_u32_e32 v27, v26, v27
	s_delay_alu instid0(VALU_DEP_1) | instskip(SKIP_1) | instid1(VALU_DEP_1)
	v_ashrrev_i32_e32 v27, 3, v27
	s_waitcnt lgkmcnt(0)
	v_lshrrev_b32_e32 v29, 28, v27
	s_delay_alu instid0(VALU_DEP_1) | instskip(NEXT) | instid1(VALU_DEP_1)
	v_add_nc_u32_e32 v29, v27, v29
	v_and_b32_e32 v29, -16, v29
	s_delay_alu instid0(VALU_DEP_1) | instskip(NEXT) | instid1(VALU_DEP_1)
	v_sub_nc_u32_e32 v29, v27, v29
	v_cmpx_eq_u32_e64 v17, v29
	s_cbranch_execz .LBB122_8
; %bb.30:                               ;   in Loop: Header=BB122_10 Depth=1
	v_lshrrev_b32_e32 v28, 25, v28
	v_lshlrev_b32_e32 v27, 3, v27
	s_delay_alu instid0(VALU_DEP_2) | instskip(NEXT) | instid1(VALU_DEP_2)
	v_add_nc_u32_e32 v28, v26, v28
	v_sub_nc_u32_e32 v26, v26, v27
	s_delay_alu instid0(VALU_DEP_2) | instskip(NEXT) | instid1(VALU_DEP_1)
	v_ashrrev_i32_e32 v27, 7, v28
	v_lshl_add_u32 v26, v27, 3, v26
	s_delay_alu instid0(VALU_DEP_1) | instskip(NEXT) | instid1(VALU_DEP_1)
	v_cmp_ne_u32_e64 s0, 7, v26
	v_cndmask_b32_e64 v15, 0xc61c4000, v15, s0
	v_cmp_ne_u32_e64 s0, 6, v26
	s_delay_alu instid0(VALU_DEP_1) | instskip(SKIP_1) | instid1(VALU_DEP_1)
	v_cndmask_b32_e64 v14, 0xc61c4000, v14, s0
	v_cmp_ne_u32_e64 s0, 5, v26
	v_cndmask_b32_e64 v13, 0xc61c4000, v13, s0
	v_cmp_ne_u32_e64 s0, 4, v26
	s_delay_alu instid0(VALU_DEP_1) | instskip(SKIP_1) | instid1(VALU_DEP_1)
	v_cndmask_b32_e64 v12, 0xc61c4000, v12, s0
	;; [unrolled: 5-line block ×3, first 2 shown]
	v_cmp_ne_u32_e64 s0, 1, v26
	v_cndmask_b32_e64 v9, 0xc61c4000, v9, s0
	v_cmp_ne_u32_e64 s0, 0, v26
	s_delay_alu instid0(VALU_DEP_1)
	v_cndmask_b32_e64 v8, 0xc61c4000, v8, s0
	s_branch .LBB122_8
.LBB122_31:
                                        ; implicit-def: $vgpr8_vgpr9_vgpr10_vgpr11_vgpr12_vgpr13_vgpr14_vgpr15
	s_and_not1_b32 vcc_lo, exec_lo, s8
	s_cbranch_vccz .LBB122_5
	s_branch .LBB122_6
.LBB122_32:
	v_mov_b32_e32 v23, 0
.LBB122_33:
	v_cmp_eq_u32_e64 s0, 0, v17
	s_delay_alu instid0(VALU_DEP_1) | instskip(NEXT) | instid1(SALU_CYCLE_1)
	s_and_b32 s0, s0, vcc_lo
	s_and_b32 exec_lo, exec_lo, s0
	s_cbranch_execz .LBB122_37
; %bb.34:
	s_and_not1_b32 vcc_lo, exec_lo, s3
	s_cbranch_vccnz .LBB122_37
; %bb.35:
	v_mul_lo_u32 v0, v16, s4
	v_cmp_lt_f32_e32 vcc_lo, 0, v23
	v_cndmask_b32_e32 v2, 1.0, v23, vcc_lo
	s_delay_alu instid0(VALU_DEP_3) | instskip(NEXT) | instid1(VALU_DEP_1)
	v_ashrrev_i32_e32 v1, 31, v0
	v_lshlrev_b64 v[0:1], 2, v[0:1]
	s_delay_alu instid0(VALU_DEP_1) | instskip(NEXT) | instid1(VALU_DEP_2)
	v_add_co_u32 v0, vcc_lo, s12, v0
	v_add_co_ci_u32_e32 v1, vcc_lo, s13, v1, vcc_lo
	.p2align	6
.LBB122_36:                             ; =>This Inner Loop Header: Depth=1
	global_load_b32 v3, v[0:1], off
	s_add_i32 s4, s4, -1
	s_delay_alu instid0(SALU_CYCLE_1) | instskip(SKIP_3) | instid1(VALU_DEP_2)
	s_cmp_lg_u32 s4, 0
	s_waitcnt vmcnt(0)
	v_div_scale_f32 v4, null, v2, v2, v3
	v_div_scale_f32 v7, vcc_lo, v3, v2, v3
	v_rcp_f32_e32 v5, v4
	s_waitcnt_depctr 0xfff
	v_fma_f32 v6, -v4, v5, 1.0
	s_delay_alu instid0(VALU_DEP_1) | instskip(NEXT) | instid1(VALU_DEP_1)
	v_fmac_f32_e32 v5, v6, v5
	v_mul_f32_e32 v6, v7, v5
	s_delay_alu instid0(VALU_DEP_1) | instskip(NEXT) | instid1(VALU_DEP_1)
	v_fma_f32 v8, -v4, v6, v7
	v_fmac_f32_e32 v6, v8, v5
	s_delay_alu instid0(VALU_DEP_1) | instskip(NEXT) | instid1(VALU_DEP_1)
	v_fma_f32 v4, -v4, v6, v7
	v_div_fmas_f32 v4, v4, v5, v6
	s_delay_alu instid0(VALU_DEP_1)
	v_div_fixup_f32 v3, v4, v2, v3
	global_store_b32 v[0:1], v3, off
	v_add_co_u32 v0, vcc_lo, v0, 4
	v_add_co_ci_u32_e32 v1, vcc_lo, 0, v1, vcc_lo
	s_cbranch_scc1 .LBB122_36
.LBB122_37:
	s_nop 0
	s_sendmsg sendmsg(MSG_DEALLOC_VGPRS)
	s_endpgm
	.section	.rodata,"a",@progbits
	.p2align	6, 0x0
	.amdhsa_kernel _ZN4vllm3moe10topkGatingILi8ELi128ELi4ELi16ELi32El6__halfLNS0_11ScoringFuncE0EEEvPKT5_PKbPfiPT4_PiiiibPKf
		.amdhsa_group_segment_fixed_size 0
		.amdhsa_private_segment_fixed_size 0
		.amdhsa_kernarg_size 72
		.amdhsa_user_sgpr_count 15
		.amdhsa_user_sgpr_dispatch_ptr 0
		.amdhsa_user_sgpr_queue_ptr 0
		.amdhsa_user_sgpr_kernarg_segment_ptr 1
		.amdhsa_user_sgpr_dispatch_id 0
		.amdhsa_user_sgpr_private_segment_size 0
		.amdhsa_wavefront_size32 1
		.amdhsa_uses_dynamic_stack 0
		.amdhsa_enable_private_segment 0
		.amdhsa_system_sgpr_workgroup_id_x 1
		.amdhsa_system_sgpr_workgroup_id_y 0
		.amdhsa_system_sgpr_workgroup_id_z 0
		.amdhsa_system_sgpr_workgroup_info 0
		.amdhsa_system_vgpr_workitem_id 1
		.amdhsa_next_free_vgpr 38
		.amdhsa_next_free_sgpr 18
		.amdhsa_reserve_vcc 1
		.amdhsa_float_round_mode_32 0
		.amdhsa_float_round_mode_16_64 0
		.amdhsa_float_denorm_mode_32 3
		.amdhsa_float_denorm_mode_16_64 3
		.amdhsa_dx10_clamp 1
		.amdhsa_ieee_mode 1
		.amdhsa_fp16_overflow 0
		.amdhsa_workgroup_processor_mode 1
		.amdhsa_memory_ordered 1
		.amdhsa_forward_progress 0
		.amdhsa_shared_vgpr_count 0
		.amdhsa_exception_fp_ieee_invalid_op 0
		.amdhsa_exception_fp_denorm_src 0
		.amdhsa_exception_fp_ieee_div_zero 0
		.amdhsa_exception_fp_ieee_overflow 0
		.amdhsa_exception_fp_ieee_underflow 0
		.amdhsa_exception_fp_ieee_inexact 0
		.amdhsa_exception_int_div_zero 0
	.end_amdhsa_kernel
	.section	.text._ZN4vllm3moe10topkGatingILi8ELi128ELi4ELi16ELi32El6__halfLNS0_11ScoringFuncE0EEEvPKT5_PKbPfiPT4_PiiiibPKf,"axG",@progbits,_ZN4vllm3moe10topkGatingILi8ELi128ELi4ELi16ELi32El6__halfLNS0_11ScoringFuncE0EEEvPKT5_PKbPfiPT4_PiiiibPKf,comdat
.Lfunc_end122:
	.size	_ZN4vllm3moe10topkGatingILi8ELi128ELi4ELi16ELi32El6__halfLNS0_11ScoringFuncE0EEEvPKT5_PKbPfiPT4_PiiiibPKf, .Lfunc_end122-_ZN4vllm3moe10topkGatingILi8ELi128ELi4ELi16ELi32El6__halfLNS0_11ScoringFuncE0EEEvPKT5_PKbPfiPT4_PiiiibPKf
                                        ; -- End function
	.section	.AMDGPU.csdata,"",@progbits
; Kernel info:
; codeLenInByte = 3428
; NumSgprs: 20
; NumVgprs: 38
; ScratchSize: 0
; MemoryBound: 0
; FloatMode: 240
; IeeeMode: 1
; LDSByteSize: 0 bytes/workgroup (compile time only)
; SGPRBlocks: 2
; VGPRBlocks: 4
; NumSGPRsForWavesPerEU: 20
; NumVGPRsForWavesPerEU: 38
; Occupancy: 16
; WaveLimiterHint : 0
; COMPUTE_PGM_RSRC2:SCRATCH_EN: 0
; COMPUTE_PGM_RSRC2:USER_SGPR: 15
; COMPUTE_PGM_RSRC2:TRAP_HANDLER: 0
; COMPUTE_PGM_RSRC2:TGID_X_EN: 1
; COMPUTE_PGM_RSRC2:TGID_Y_EN: 0
; COMPUTE_PGM_RSRC2:TGID_Z_EN: 0
; COMPUTE_PGM_RSRC2:TIDIG_COMP_CNT: 1
	.section	.text._ZN4vllm3moe10topkGatingILi8ELi256ELi4ELi16ELi64El6__halfLNS0_11ScoringFuncE0EEEvPKT5_PKbPfiPT4_PiiiibPKf,"axG",@progbits,_ZN4vllm3moe10topkGatingILi8ELi256ELi4ELi16ELi64El6__halfLNS0_11ScoringFuncE0EEEvPKT5_PKbPfiPT4_PiiiibPKf,comdat
	.protected	_ZN4vllm3moe10topkGatingILi8ELi256ELi4ELi16ELi64El6__halfLNS0_11ScoringFuncE0EEEvPKT5_PKbPfiPT4_PiiiibPKf ; -- Begin function _ZN4vllm3moe10topkGatingILi8ELi256ELi4ELi16ELi64El6__halfLNS0_11ScoringFuncE0EEEvPKT5_PKbPfiPT4_PiiiibPKf
	.globl	_ZN4vllm3moe10topkGatingILi8ELi256ELi4ELi16ELi64El6__halfLNS0_11ScoringFuncE0EEEvPKT5_PKbPfiPT4_PiiiibPKf
	.p2align	8
	.type	_ZN4vllm3moe10topkGatingILi8ELi256ELi4ELi16ELi64El6__halfLNS0_11ScoringFuncE0EEEvPKT5_PKbPfiPT4_PiiiibPKf,@function
_ZN4vllm3moe10topkGatingILi8ELi256ELi4ELi16ELi64El6__halfLNS0_11ScoringFuncE0EEEvPKT5_PKbPfiPT4_PiiiibPKf: ; @_ZN4vllm3moe10topkGatingILi8ELi256ELi4ELi16ELi64El6__halfLNS0_11ScoringFuncE0EEEvPKT5_PKbPfiPT4_PiiiibPKf
; %bb.0:
	s_load_b32 s14, s[0:1], 0x18
	v_bfe_u32 v1, v0, 10, 10
	v_and_b32_e32 v0, 0x3ff, v0
	s_lshl_b32 s2, s15, 3
	s_delay_alu instid0(VALU_DEP_2) | instskip(NEXT) | instid1(VALU_DEP_2)
	v_lshlrev_b32_e32 v1, 1, v1
	v_lshrrev_b32_e32 v2, 5, v0
	s_delay_alu instid0(VALU_DEP_1) | instskip(SKIP_2) | instid1(VALU_DEP_1)
	v_add3_u32 v16, s2, v1, v2
	s_mov_b32 s2, exec_lo
	s_waitcnt lgkmcnt(0)
	v_cmpx_gt_i32_e64 s14, v16
	s_cbranch_execz .LBB123_41
; %bb.1:
	s_clause 0x1
	s_load_b128 s[4:7], s[0:1], 0x0
	s_load_b64 s[12:13], s[0:1], 0x10
	s_mov_b32 s8, -1
	s_mov_b32 s15, -1
	s_waitcnt lgkmcnt(0)
	s_cmp_eq_u64 s[6:7], 0
	s_cbranch_scc1 .LBB123_3
; %bb.2:
	v_ashrrev_i32_e32 v2, 31, v16
	v_add_co_u32 v1, vcc_lo, s6, v16
	s_delay_alu instid0(VALU_DEP_2) | instskip(SKIP_3) | instid1(VALU_DEP_1)
	v_add_co_ci_u32_e32 v2, vcc_lo, s7, v2, vcc_lo
	global_load_u8 v1, v[1:2], off
	s_waitcnt vmcnt(0)
	v_and_b32_e32 v1, 1, v1
	v_cmp_eq_u32_e32 vcc_lo, 1, v1
	s_xor_b32 s2, vcc_lo, -1
	s_delay_alu instid0(SALU_CYCLE_1)
	s_or_not1_b32 s15, s2, exec_lo
.LBB123_3:
	v_lshlrev_b32_e32 v1, 8, v16
	v_and_b32_e32 v17, 31, v0
	v_mbcnt_lo_u32_b32 v6, -1, 0
	s_load_b64 s[2:3], s[0:1], 0x40
	s_delay_alu instid0(VALU_DEP_3) | instskip(NEXT) | instid1(VALU_DEP_2)
	v_ashrrev_i32_e32 v2, 31, v1
	v_xor_b32_e32 v11, 8, v6
	v_xor_b32_e32 v9, 16, v6
	s_delay_alu instid0(VALU_DEP_3) | instskip(SKIP_1) | instid1(VALU_DEP_2)
	v_lshlrev_b64 v[0:1], 1, v[1:2]
	v_lshlrev_b32_e32 v2, 4, v17
	v_add_co_u32 v0, vcc_lo, s4, v0
	s_delay_alu instid0(VALU_DEP_3) | instskip(NEXT) | instid1(VALU_DEP_2)
	v_add_co_ci_u32_e32 v1, vcc_lo, s5, v1, vcc_lo
	v_add_co_u32 v0, vcc_lo, v0, v2
	s_delay_alu instid0(VALU_DEP_2)
	v_add_co_ci_u32_e32 v1, vcc_lo, 0, v1, vcc_lo
	v_cmp_gt_i32_e32 vcc_lo, 32, v9
	s_waitcnt lgkmcnt(0)
	s_cmp_eq_u64 s[2:3], 0
	global_load_b128 v[0:3], v[0:1], off
	v_cndmask_b32_e32 v9, v6, v9, vcc_lo
	v_cmp_gt_i32_e32 vcc_lo, 32, v11
	v_cndmask_b32_e32 v11, v6, v11, vcc_lo
	s_delay_alu instid0(VALU_DEP_1) | instskip(SKIP_1) | instid1(VALU_DEP_1)
	v_lshlrev_b32_e32 v19, 2, v11
	v_xor_b32_e32 v11, 4, v6
	v_cmp_gt_i32_e32 vcc_lo, 32, v11
	v_dual_cndmask_b32 v11, v6, v11 :: v_dual_lshlrev_b32 v18, 2, v9
	s_delay_alu instid0(VALU_DEP_1) | instskip(SKIP_1) | instid1(VALU_DEP_1)
	v_lshlrev_b32_e32 v20, 2, v11
	v_xor_b32_e32 v11, 2, v6
	v_cmp_gt_i32_e32 vcc_lo, 32, v11
	v_cndmask_b32_e32 v11, v6, v11, vcc_lo
	s_delay_alu instid0(VALU_DEP_1) | instskip(SKIP_1) | instid1(VALU_DEP_1)
	v_lshlrev_b32_e32 v21, 2, v11
	v_xor_b32_e32 v11, 1, v6
	v_cmp_gt_i32_e32 vcc_lo, 32, v11
	v_cndmask_b32_e32 v6, v6, v11, vcc_lo
	s_delay_alu instid0(VALU_DEP_1)
	v_lshlrev_b32_e32 v22, 2, v6
	s_waitcnt vmcnt(0)
	v_lshrrev_b32_e32 v4, 16, v0
	v_cvt_f32_f16_e32 v0, v0
	v_lshrrev_b32_e32 v5, 16, v1
	v_cvt_f32_f16_e32 v1, v1
	;; [unrolled: 2-line block ×3, first 2 shown]
	v_cvt_f32_f16_e32 v2, v2
	v_cvt_f32_f16_e32 v5, v5
	v_lshrrev_b32_e32 v10, 16, v3
	v_cvt_f32_f16_e32 v7, v7
	v_max_f32_e32 v8, v0, v4
	v_cvt_f32_f16_e32 v3, v3
	s_delay_alu instid0(VALU_DEP_4) | instskip(NEXT) | instid1(VALU_DEP_3)
	v_cvt_f32_f16_e32 v10, v10
	v_max3_f32 v8, v8, v1, v5
	s_delay_alu instid0(VALU_DEP_1) | instskip(NEXT) | instid1(VALU_DEP_1)
	v_max3_f32 v8, v8, v2, v7
	v_max3_f32 v8, v8, v3, v10
	ds_bpermute_b32 v9, v18, v8
	s_waitcnt lgkmcnt(0)
	v_max_f32_e32 v9, v9, v9
	s_delay_alu instid0(VALU_DEP_1) | instskip(SKIP_3) | instid1(VALU_DEP_1)
	v_max_f32_e32 v8, v8, v9
	ds_bpermute_b32 v9, v19, v8
	s_waitcnt lgkmcnt(0)
	v_max_f32_e32 v9, v9, v9
	v_max_f32_e32 v8, v8, v9
	ds_bpermute_b32 v9, v20, v8
	s_waitcnt lgkmcnt(0)
	v_max_f32_e32 v9, v9, v9
	s_delay_alu instid0(VALU_DEP_1) | instskip(SKIP_3) | instid1(VALU_DEP_1)
	v_max_f32_e32 v8, v8, v9
	ds_bpermute_b32 v9, v21, v8
	s_waitcnt lgkmcnt(0)
	v_max_f32_e32 v9, v9, v9
	v_max_f32_e32 v6, v8, v9
	ds_bpermute_b32 v8, v22, v6
	s_waitcnt lgkmcnt(0)
	v_max_f32_e32 v8, v8, v8
	s_delay_alu instid0(VALU_DEP_1) | instskip(NEXT) | instid1(VALU_DEP_1)
	v_max_f32_e32 v6, v6, v8
	v_sub_f32_e32 v5, v5, v6
	s_delay_alu instid0(VALU_DEP_1) | instskip(NEXT) | instid1(VALU_DEP_1)
	v_dual_sub_f32 v4, v4, v6 :: v_dual_mul_f32 v11, 0x3fb8aa3b, v5
	v_dual_sub_f32 v0, v0, v6 :: v_dual_mul_f32 v9, 0x3fb8aa3b, v4
	v_sub_f32_e32 v1, v1, v6
	s_delay_alu instid0(VALU_DEP_3) | instskip(NEXT) | instid1(VALU_DEP_3)
	v_rndne_f32_e32 v30, v11
	v_mul_f32_e32 v8, 0x3fb8aa3b, v0
	s_delay_alu instid0(VALU_DEP_4) | instskip(SKIP_2) | instid1(VALU_DEP_4)
	v_fma_f32 v25, 0x3fb8aa3b, v4, -v9
	v_rndne_f32_e32 v26, v9
	v_cmp_ngt_f32_e32 vcc_lo, 0xc2ce8ed0, v0
	v_fma_f32 v23, 0x3fb8aa3b, v0, -v8
	v_rndne_f32_e32 v24, v8
	v_sub_f32_e32 v3, v3, v6
	v_sub_f32_e32 v9, v9, v26
	v_cvt_i32_f32_e32 v26, v26
	v_fmac_f32_e32 v23, 0x32a5705f, v0
	v_dual_sub_f32 v8, v8, v24 :: v_dual_sub_f32 v7, v7, v6
	v_mul_f32_e32 v14, 0x3fb8aa3b, v3
	v_sub_f32_e32 v2, v2, v6
	v_sub_f32_e32 v6, v10, v6
	v_mul_f32_e32 v10, 0x3fb8aa3b, v1
	v_dual_fmac_f32 v25, 0x32a5705f, v4 :: v_dual_add_f32 v8, v8, v23
	s_delay_alu instid0(VALU_DEP_4) | instskip(NEXT) | instid1(VALU_DEP_3)
	v_dual_mul_f32 v13, 0x3fb8aa3b, v7 :: v_dual_mul_f32 v12, 0x3fb8aa3b, v2
	v_fma_f32 v27, 0x3fb8aa3b, v1, -v10
	s_delay_alu instid0(VALU_DEP_3) | instskip(SKIP_4) | instid1(VALU_DEP_4)
	v_add_f32_e32 v9, v9, v25
	v_rndne_f32_e32 v28, v10
	v_mul_f32_e32 v15, 0x3fb8aa3b, v6
	v_fma_f32 v29, 0x3fb8aa3b, v5, -v11
	v_rndne_f32_e32 v36, v14
	v_dual_fmac_f32 v27, 0x32a5705f, v1 :: v_dual_sub_f32 v10, v10, v28
	v_exp_f32_e32 v8, v8
	v_fma_f32 v35, 0x3fb8aa3b, v3, -v14
	s_delay_alu instid0(VALU_DEP_3)
	v_sub_f32_e32 v14, v14, v36
	v_cvt_i32_f32_e32 v24, v24
	v_dual_fmac_f32 v29, 0x32a5705f, v5 :: v_dual_add_f32 v10, v10, v27
	v_exp_f32_e32 v9, v9
	v_fma_f32 v33, 0x3fb8aa3b, v7, -v13
	v_cvt_i32_f32_e32 v28, v28
	v_fma_f32 v31, 0x3fb8aa3b, v2, -v12
	v_exp_f32_e32 v10, v10
	v_ldexp_f32 v8, v8, v24
	v_fmac_f32_e32 v33, 0x32a5705f, v7
	v_rndne_f32_e32 v32, v12
	v_rndne_f32_e32 v34, v13
	;; [unrolled: 1-line block ×3, first 2 shown]
	v_cndmask_b32_e32 v8, 0, v8, vcc_lo
	v_ldexp_f32 v9, v9, v26
	v_cmp_ngt_f32_e32 vcc_lo, 0xc2ce8ed0, v4
	v_sub_f32_e32 v12, v12, v32
	v_ldexp_f32 v10, v10, v28
	v_cvt_i32_f32_e32 v32, v32
	v_fma_f32 v37, 0x3fb8aa3b, v6, -v15
	v_cndmask_b32_e32 v9, 0, v9, vcc_lo
	v_cmp_ngt_f32_e32 vcc_lo, 0xc2ce8ed0, v1
	v_fmac_f32_e32 v35, 0x32a5705f, v3
	v_cvt_i32_f32_e32 v23, v36
	v_cvt_i32_f32_e32 v25, v38
	v_cndmask_b32_e32 v10, 0, v10, vcc_lo
	s_delay_alu instid0(VALU_DEP_4) | instskip(SKIP_3) | instid1(VALU_DEP_4)
	v_dual_fmac_f32 v31, 0x32a5705f, v2 :: v_dual_add_f32 v14, v14, v35
	v_sub_f32_e32 v11, v11, v30
	v_cmp_nlt_f32_e32 vcc_lo, 0x42b17218, v0
	v_cvt_i32_f32_e32 v30, v30
	v_dual_add_f32 v12, v12, v31 :: v_dual_sub_f32 v13, v13, v34
	v_cvt_i32_f32_e32 v34, v34
	v_cndmask_b32_e32 v0, 0x7f800000, v8, vcc_lo
	v_cmp_nlt_f32_e32 vcc_lo, 0x42b17218, v4
	s_delay_alu instid0(VALU_DEP_4) | instskip(SKIP_4) | instid1(VALU_DEP_2)
	v_exp_f32_e32 v12, v12
	v_sub_f32_e32 v15, v15, v38
	v_exp_f32_e32 v14, v14
	v_cndmask_b32_e32 v4, 0x7f800000, v9, vcc_lo
	v_cmp_ngt_f32_e32 vcc_lo, 0xc2ce8ed0, v5
	v_add_f32_e32 v9, v0, v4
	s_waitcnt_depctr 0xfff
	v_ldexp_f32 v12, v12, v32
	v_add_f32_e32 v11, v11, v29
	v_ldexp_f32 v14, v14, v23
	s_delay_alu instid0(VALU_DEP_2) | instskip(SKIP_2) | instid1(VALU_DEP_1)
	v_exp_f32_e32 v11, v11
	s_waitcnt_depctr 0xfff
	v_ldexp_f32 v11, v11, v30
	v_dual_fmac_f32 v37, 0x32a5705f, v6 :: v_dual_cndmask_b32 v8, 0, v11
	v_cmp_nlt_f32_e32 vcc_lo, 0x42b17218, v1
	v_cndmask_b32_e32 v1, 0x7f800000, v10, vcc_lo
	v_cmp_ngt_f32_e32 vcc_lo, 0xc2ce8ed0, v2
	v_dual_cndmask_b32 v10, 0, v12 :: v_dual_add_f32 v13, v13, v33
	v_cmp_nlt_f32_e32 vcc_lo, 0x42b17218, v5
	s_delay_alu instid0(VALU_DEP_2) | instskip(SKIP_2) | instid1(VALU_DEP_2)
	v_exp_f32_e32 v13, v13
	v_dual_cndmask_b32 v5, 0x7f800000, v8 :: v_dual_add_f32 v8, v9, v1
	v_cmp_ngt_f32_e32 vcc_lo, 0xc2ce8ed0, v7
	v_add_f32_e32 v8, v8, v5
	s_waitcnt_depctr 0xfff
	v_ldexp_f32 v13, v13, v34
	s_delay_alu instid0(VALU_DEP_1) | instskip(SKIP_3) | instid1(VALU_DEP_2)
	v_cndmask_b32_e32 v9, 0, v13, vcc_lo
	v_cmp_nlt_f32_e32 vcc_lo, 0x42b17218, v2
	v_cndmask_b32_e32 v2, 0x7f800000, v10, vcc_lo
	v_cmp_ngt_f32_e32 vcc_lo, 0xc2ce8ed0, v3
	v_dual_add_f32 v15, v15, v37 :: v_dual_add_f32 v8, v8, v2
	v_cndmask_b32_e32 v10, 0, v14, vcc_lo
	s_delay_alu instid0(VALU_DEP_2)
	v_exp_f32_e32 v15, v15
	v_cmp_nlt_f32_e32 vcc_lo, 0x42b17218, v7
	v_cndmask_b32_e32 v7, 0x7f800000, v9, vcc_lo
	v_cmp_ngt_f32_e32 vcc_lo, 0xc2ce8ed0, v6
	s_waitcnt_depctr 0xfff
	v_ldexp_f32 v15, v15, v25
	v_add_f32_e32 v8, v8, v7
	s_delay_alu instid0(VALU_DEP_2) | instskip(SKIP_3) | instid1(VALU_DEP_2)
	v_cndmask_b32_e32 v9, 0, v15, vcc_lo
	v_cmp_nlt_f32_e32 vcc_lo, 0x42b17218, v3
	v_cndmask_b32_e32 v3, 0x7f800000, v10, vcc_lo
	v_cmp_nlt_f32_e32 vcc_lo, 0x42b17218, v6
	v_add_f32_e32 v8, v8, v3
	v_cndmask_b32_e32 v6, 0x7f800000, v9, vcc_lo
	s_delay_alu instid0(VALU_DEP_1)
	v_add_f32_e32 v8, v8, v6
	ds_bpermute_b32 v9, v18, v8
	s_waitcnt lgkmcnt(0)
	v_add_f32_e32 v8, v8, v9
	ds_bpermute_b32 v9, v19, v8
	s_waitcnt lgkmcnt(0)
	;; [unrolled: 3-line block ×5, first 2 shown]
	v_add_f32_e32 v8, v8, v9
	s_delay_alu instid0(VALU_DEP_1) | instskip(SKIP_1) | instid1(VALU_DEP_2)
	v_div_scale_f32 v9, null, v8, v8, 1.0
	v_div_scale_f32 v12, vcc_lo, 1.0, v8, 1.0
	v_rcp_f32_e32 v10, v9
	s_waitcnt_depctr 0xfff
	v_fma_f32 v11, -v9, v10, 1.0
	s_delay_alu instid0(VALU_DEP_1) | instskip(NEXT) | instid1(VALU_DEP_1)
	v_fmac_f32_e32 v10, v11, v10
	v_mul_f32_e32 v11, v12, v10
	s_delay_alu instid0(VALU_DEP_1) | instskip(NEXT) | instid1(VALU_DEP_1)
	v_fma_f32 v13, -v9, v11, v12
	v_fmac_f32_e32 v11, v13, v10
	s_delay_alu instid0(VALU_DEP_1) | instskip(NEXT) | instid1(VALU_DEP_1)
	v_fma_f32 v9, -v9, v11, v12
	v_div_fmas_f32 v9, v9, v10, v11
	s_delay_alu instid0(VALU_DEP_1) | instskip(NEXT) | instid1(VALU_DEP_1)
	v_div_fixup_f32 v8, v9, v8, 1.0
	v_dual_mul_f32 v0, v8, v0 :: v_dual_lshlrev_b32 v23, 3, v17
	v_mul_f32_e32 v10, v8, v2
	v_mul_f32_e32 v5, v8, v5
	;; [unrolled: 1-line block ×4, first 2 shown]
	v_cmp_class_f32_e64 vcc_lo, v0, 0x1f8
	v_dual_mul_f32 v9, v8, v1 :: v_dual_cndmask_b32 v0, 0, v0
	s_delay_alu instid0(VALU_DEP_4) | instskip(SKIP_1) | instid1(VALU_DEP_3)
	v_cmp_class_f32_e64 vcc_lo, v4, 0x1f8
	v_cndmask_b32_e32 v1, 0, v4, vcc_lo
	v_cmp_class_f32_e64 vcc_lo, v9, 0x1f8
	v_mul_f32_e32 v7, v8, v7
	v_mul_f32_e32 v8, v8, v6
	v_cndmask_b32_e32 v2, 0, v9, vcc_lo
	v_cmp_class_f32_e64 vcc_lo, v5, 0x1f8
	v_cndmask_b32_e32 v3, 0, v5, vcc_lo
	v_cmp_class_f32_e64 vcc_lo, v10, 0x1f8
	;; [unrolled: 2-line block ×5, first 2 shown]
	v_cndmask_b32_e32 v7, 0, v8, vcc_lo
	s_cbranch_scc1 .LBB123_35
; %bb.4:
	v_lshlrev_b32_e32 v12, 2, v23
	s_clause 0x1
	global_load_b128 v[8:11], v12, s[2:3]
	global_load_b128 v[12:15], v12, s[2:3] offset:16
	s_waitcnt vmcnt(1)
	v_dual_add_f32 v9, v9, v1 :: v_dual_add_f32 v8, v8, v0
	v_dual_add_f32 v11, v11, v3 :: v_dual_add_f32 v10, v10, v2
	s_waitcnt vmcnt(0)
	v_dual_add_f32 v13, v13, v5 :: v_dual_add_f32 v12, v12, v4
	v_dual_add_f32 v15, v15, v7 :: v_dual_add_f32 v14, v14, v6
	s_cbranch_execnz .LBB123_6
.LBB123_5:
	v_dual_mov_b32 v15, v7 :: v_dual_mov_b32 v14, v6
	v_dual_mov_b32 v13, v5 :: v_dual_mov_b32 v12, v4
	;; [unrolled: 1-line block ×4, first 2 shown]
.LBB123_6:
	s_load_b128 s[4:7], s[0:1], 0x30
	v_cmp_eq_u32_e64 s2, 0, v17
	s_waitcnt lgkmcnt(0)
	s_bitcmp1_b32 s7, 0
	s_mov_b32 s7, 0
	s_cselect_b32 vcc_lo, -1, 0
	s_cmp_gt_i32 s4, 0
	s_cselect_b32 s3, -1, 0
	s_cmp_lt_i32 s4, 1
	s_cbranch_scc1 .LBB123_36
; %bb.7:
	s_load_b128 s[8:11], s[0:1], 0x20
	v_mul_lo_u32 v25, v16, s4
	v_mov_b32_e32 v24, 0
	v_mov_b32_e32 v26, v16
	s_branch .LBB123_10
.LBB123_8:                              ;   in Loop: Header=BB123_10 Depth=1
	s_or_b32 exec_lo, exec_lo, s1
.LBB123_9:                              ;   in Loop: Header=BB123_10 Depth=1
	v_add_nc_u32_e32 v26, s14, v26
	s_cmp_eq_u32 s4, s7
	s_cbranch_scc1 .LBB123_37
.LBB123_10:                             ; =>This Inner Loop Header: Depth=1
	v_cmp_gt_f32_e64 s0, v9, v8
	s_mov_b32 s17, exec_lo
	s_delay_alu instid0(VALU_DEP_1) | instskip(SKIP_2) | instid1(VALU_DEP_3)
	v_cndmask_b32_e64 v27, v8, v9, s0
	v_cndmask_b32_e64 v28, 0, 1, s0
	;; [unrolled: 1-line block ×3, first 2 shown]
	v_cmp_gt_f32_e64 s1, v10, v27
	s_delay_alu instid0(VALU_DEP_1) | instskip(NEXT) | instid1(VALU_DEP_4)
	v_cndmask_b32_e64 v27, v27, v10, s1
	v_cndmask_b32_e64 v28, v28, 2, s1
	s_delay_alu instid0(VALU_DEP_4) | instskip(NEXT) | instid1(VALU_DEP_3)
	v_cndmask_b32_e64 v29, v29, v2, s1
	v_cmp_gt_f32_e64 s0, v11, v27
	s_delay_alu instid0(VALU_DEP_1) | instskip(NEXT) | instid1(VALU_DEP_4)
	v_cndmask_b32_e64 v27, v27, v11, s0
	v_cndmask_b32_e64 v28, v28, 3, s0
	s_delay_alu instid0(VALU_DEP_4) | instskip(NEXT) | instid1(VALU_DEP_3)
	v_cndmask_b32_e64 v29, v29, v3, s0
	;; [unrolled: 6-line block ×4, first 2 shown]
	v_cmp_gt_f32_e64 s1, v14, v27
	s_delay_alu instid0(VALU_DEP_1) | instskip(NEXT) | instid1(VALU_DEP_4)
	v_cndmask_b32_e64 v27, v27, v14, s1
	v_cndmask_b32_e64 v28, v28, 6, s1
	s_waitcnt lgkmcnt(0)
	v_cndmask_b32_e64 v30, v29, v6, s1
	s_delay_alu instid0(VALU_DEP_3) | instskip(NEXT) | instid1(VALU_DEP_1)
	v_cmp_gt_f32_e64 s0, v15, v27
	v_cndmask_b32_e64 v29, v27, v15, s0
	v_cndmask_b32_e64 v27, v28, 7, s0
	s_delay_alu instid0(VALU_DEP_4)
	v_cndmask_b32_e64 v28, v30, v7, s0
	ds_bpermute_b32 v30, v18, v29
	v_or_b32_e32 v27, v23, v27
	ds_bpermute_b32 v32, v18, v28
	ds_bpermute_b32 v31, v18, v27
	s_waitcnt lgkmcnt(0)
	v_cmp_lt_f32_e64 s16, v29, v30
	v_cmpx_nlt_f32_e32 v29, v30
; %bb.11:                               ;   in Loop: Header=BB123_10 Depth=1
	v_cmp_eq_f32_e64 s0, v29, v30
	v_cmp_lt_i32_e64 s1, v31, v27
	s_delay_alu instid0(VALU_DEP_1) | instskip(SKIP_2) | instid1(SALU_CYCLE_1)
	s_and_b32 s0, s0, s1
	s_and_not1_b32 s1, s16, exec_lo
	s_and_b32 s0, s0, exec_lo
	s_or_b32 s16, s1, s0
; %bb.12:                               ;   in Loop: Header=BB123_10 Depth=1
	s_or_b32 exec_lo, exec_lo, s17
	s_and_saveexec_b32 s0, s16
; %bb.13:                               ;   in Loop: Header=BB123_10 Depth=1
	v_dual_mov_b32 v28, v32 :: v_dual_mov_b32 v29, v30
	v_mov_b32_e32 v27, v31
; %bb.14:                               ;   in Loop: Header=BB123_10 Depth=1
	s_or_b32 exec_lo, exec_lo, s0
	ds_bpermute_b32 v31, v19, v29
	ds_bpermute_b32 v32, v19, v28
	ds_bpermute_b32 v30, v19, v27
	s_mov_b32 s17, exec_lo
	s_waitcnt lgkmcnt(2)
	v_cmp_lt_f32_e64 s16, v29, v31
	v_cmpx_nlt_f32_e32 v29, v31
	s_cbranch_execz .LBB123_16
; %bb.15:                               ;   in Loop: Header=BB123_10 Depth=1
	v_cmp_eq_f32_e64 s0, v29, v31
	s_waitcnt lgkmcnt(0)
	v_cmp_lt_i32_e64 s1, v30, v27
	s_delay_alu instid0(VALU_DEP_1) | instskip(SKIP_2) | instid1(SALU_CYCLE_1)
	s_and_b32 s0, s0, s1
	s_and_not1_b32 s1, s16, exec_lo
	s_and_b32 s0, s0, exec_lo
	s_or_b32 s16, s1, s0
.LBB123_16:                             ;   in Loop: Header=BB123_10 Depth=1
	s_or_b32 exec_lo, exec_lo, s17
	s_delay_alu instid0(VALU_DEP_2)
	s_and_saveexec_b32 s0, s16
	s_cbranch_execz .LBB123_18
; %bb.17:                               ;   in Loop: Header=BB123_10 Depth=1
	s_waitcnt lgkmcnt(1)
	v_dual_mov_b32 v28, v32 :: v_dual_mov_b32 v29, v31
	s_waitcnt lgkmcnt(0)
	v_mov_b32_e32 v27, v30
.LBB123_18:                             ;   in Loop: Header=BB123_10 Depth=1
	s_or_b32 exec_lo, exec_lo, s0
	ds_bpermute_b32 v31, v20, v29
	s_waitcnt lgkmcnt(2)
	ds_bpermute_b32 v32, v20, v28
	s_waitcnt lgkmcnt(2)
	ds_bpermute_b32 v30, v20, v27
	s_mov_b32 s17, exec_lo
	s_waitcnt lgkmcnt(2)
	v_cmp_lt_f32_e64 s16, v29, v31
	v_cmpx_nlt_f32_e32 v29, v31
	s_cbranch_execz .LBB123_20
; %bb.19:                               ;   in Loop: Header=BB123_10 Depth=1
	v_cmp_eq_f32_e64 s0, v29, v31
	s_waitcnt lgkmcnt(0)
	v_cmp_lt_i32_e64 s1, v30, v27
	s_delay_alu instid0(VALU_DEP_1) | instskip(SKIP_2) | instid1(SALU_CYCLE_1)
	s_and_b32 s0, s0, s1
	s_and_not1_b32 s1, s16, exec_lo
	s_and_b32 s0, s0, exec_lo
	s_or_b32 s16, s1, s0
.LBB123_20:                             ;   in Loop: Header=BB123_10 Depth=1
	s_or_b32 exec_lo, exec_lo, s17
	s_delay_alu instid0(VALU_DEP_2)
	s_and_saveexec_b32 s0, s16
	s_cbranch_execz .LBB123_22
; %bb.21:                               ;   in Loop: Header=BB123_10 Depth=1
	s_waitcnt lgkmcnt(1)
	v_dual_mov_b32 v28, v32 :: v_dual_mov_b32 v29, v31
	s_waitcnt lgkmcnt(0)
	v_mov_b32_e32 v27, v30
.LBB123_22:                             ;   in Loop: Header=BB123_10 Depth=1
	s_or_b32 exec_lo, exec_lo, s0
	ds_bpermute_b32 v31, v21, v29
	s_waitcnt lgkmcnt(2)
	ds_bpermute_b32 v32, v21, v28
	s_waitcnt lgkmcnt(2)
	ds_bpermute_b32 v30, v21, v27
	s_mov_b32 s17, exec_lo
	s_waitcnt lgkmcnt(2)
	v_cmp_lt_f32_e64 s16, v29, v31
	v_cmpx_nlt_f32_e32 v29, v31
	s_cbranch_execz .LBB123_24
; %bb.23:                               ;   in Loop: Header=BB123_10 Depth=1
	v_cmp_eq_f32_e64 s0, v29, v31
	s_waitcnt lgkmcnt(0)
	v_cmp_lt_i32_e64 s1, v30, v27
	s_delay_alu instid0(VALU_DEP_1) | instskip(SKIP_2) | instid1(SALU_CYCLE_1)
	s_and_b32 s0, s0, s1
	s_and_not1_b32 s1, s16, exec_lo
	s_and_b32 s0, s0, exec_lo
	s_or_b32 s16, s1, s0
.LBB123_24:                             ;   in Loop: Header=BB123_10 Depth=1
	s_or_b32 exec_lo, exec_lo, s17
	s_delay_alu instid0(VALU_DEP_2)
	s_and_saveexec_b32 s0, s16
	s_cbranch_execz .LBB123_26
; %bb.25:                               ;   in Loop: Header=BB123_10 Depth=1
	s_waitcnt lgkmcnt(1)
	v_dual_mov_b32 v28, v32 :: v_dual_mov_b32 v29, v31
	s_waitcnt lgkmcnt(0)
	v_mov_b32_e32 v27, v30
.LBB123_26:                             ;   in Loop: Header=BB123_10 Depth=1
	s_or_b32 exec_lo, exec_lo, s0
	s_waitcnt lgkmcnt(1)
	ds_bpermute_b32 v32, v22, v29
	ds_bpermute_b32 v31, v22, v28
	s_waitcnt lgkmcnt(2)
	ds_bpermute_b32 v30, v22, v27
	s_mov_b32 s17, exec_lo
	s_waitcnt lgkmcnt(2)
	v_cmp_lt_f32_e64 s16, v29, v32
	v_cmpx_nlt_f32_e32 v29, v32
	s_cbranch_execnz .LBB123_30
; %bb.27:                               ;   in Loop: Header=BB123_10 Depth=1
	s_or_b32 exec_lo, exec_lo, s17
	s_delay_alu instid0(VALU_DEP_2)
	s_and_saveexec_b32 s0, s16
	s_cbranch_execnz .LBB123_31
.LBB123_28:                             ;   in Loop: Header=BB123_10 Depth=1
	s_or_b32 exec_lo, exec_lo, s0
	s_and_saveexec_b32 s16, s2
	s_cbranch_execnz .LBB123_32
.LBB123_29:                             ;   in Loop: Header=BB123_10 Depth=1
	s_or_b32 exec_lo, exec_lo, s16
	s_add_i32 s7, s7, 1
	s_delay_alu instid0(SALU_CYCLE_1)
	s_cmp_ge_i32 s7, s4
	s_cbranch_scc1 .LBB123_9
	s_branch .LBB123_33
.LBB123_30:                             ;   in Loop: Header=BB123_10 Depth=1
	v_cmp_eq_f32_e64 s0, v29, v32
	s_waitcnt lgkmcnt(0)
	v_cmp_lt_i32_e64 s1, v30, v27
	s_delay_alu instid0(VALU_DEP_1) | instskip(SKIP_2) | instid1(SALU_CYCLE_1)
	s_and_b32 s0, s0, s1
	s_and_not1_b32 s1, s16, exec_lo
	s_and_b32 s0, s0, exec_lo
	s_or_b32 s16, s1, s0
	s_or_b32 exec_lo, exec_lo, s17
	s_and_saveexec_b32 s0, s16
	s_cbranch_execz .LBB123_28
.LBB123_31:                             ;   in Loop: Header=BB123_10 Depth=1
	s_waitcnt lgkmcnt(0)
	v_dual_mov_b32 v28, v31 :: v_dual_mov_b32 v27, v30
	s_or_b32 exec_lo, exec_lo, s0
	s_and_saveexec_b32 s16, s2
	s_cbranch_execz .LBB123_29
.LBB123_32:                             ;   in Loop: Header=BB123_10 Depth=1
	v_add_nc_u32_e32 v29, s7, v25
	v_subrev_nc_u32_e32 v33, s5, v27
	v_cmp_le_i32_e64 s0, s5, v27
	v_cmp_gt_i32_e64 s1, s6, v27
	v_add_f32_e32 v37, v24, v28
	s_waitcnt lgkmcnt(0)
	v_ashrrev_i32_e32 v30, 31, v29
	v_ashrrev_i32_e32 v34, 31, v33
	s_and_b32 s0, s0, s1
	v_cndmask_b32_e32 v24, v24, v37, vcc_lo
	s_delay_alu instid0(VALU_DEP_3) | instskip(SKIP_2) | instid1(SALU_CYCLE_1)
	v_lshlrev_b64 v[31:32], 2, v[29:30]
	v_lshlrev_b64 v[29:30], 3, v[29:30]
	s_and_b32 s0, s15, s0
	v_cndmask_b32_e64 v34, 0, v34, s0
	v_cndmask_b32_e64 v33, 0x100, v33, s0
	s_delay_alu instid0(VALU_DEP_4) | instskip(NEXT) | instid1(VALU_DEP_1)
	v_add_co_u32 v35, s0, s12, v31
	v_add_co_ci_u32_e64 v36, s0, s13, v32, s0
	v_add_co_u32 v29, s0, s8, v29
	s_delay_alu instid0(VALU_DEP_1) | instskip(SKIP_1) | instid1(VALU_DEP_1)
	v_add_co_ci_u32_e64 v30, s0, s9, v30, s0
	v_add_co_u32 v31, s0, s10, v31
	v_add_co_ci_u32_e64 v32, s0, s11, v32, s0
	global_store_b32 v[35:36], v28, off
	global_store_b64 v[29:30], v[33:34], off
	global_store_b32 v[31:32], v26, off
	s_or_b32 exec_lo, exec_lo, s16
	s_add_i32 s7, s7, 1
	s_delay_alu instid0(SALU_CYCLE_1)
	s_cmp_ge_i32 s7, s4
	s_cbranch_scc1 .LBB123_9
.LBB123_33:                             ;   in Loop: Header=BB123_10 Depth=1
	v_ashrrev_i32_e32 v28, 31, v27
	s_mov_b32 s1, exec_lo
	s_delay_alu instid0(VALU_DEP_1) | instskip(NEXT) | instid1(VALU_DEP_1)
	v_lshrrev_b32_e32 v29, 29, v28
	v_add_nc_u32_e32 v29, v27, v29
	s_waitcnt lgkmcnt(0)
	s_delay_alu instid0(VALU_DEP_1) | instskip(SKIP_1) | instid1(VALU_DEP_2)
	v_ashrrev_i32_e32 v30, 31, v29
	v_ashrrev_i32_e32 v29, 3, v29
	v_lshrrev_b32_e32 v30, 27, v30
	s_delay_alu instid0(VALU_DEP_1) | instskip(NEXT) | instid1(VALU_DEP_1)
	v_add_nc_u32_e32 v30, v29, v30
	v_and_b32_e32 v30, 0xffffffe0, v30
	s_delay_alu instid0(VALU_DEP_1) | instskip(NEXT) | instid1(VALU_DEP_1)
	v_sub_nc_u32_e32 v30, v29, v30
	v_cmpx_eq_u32_e64 v17, v30
	s_cbranch_execz .LBB123_8
; %bb.34:                               ;   in Loop: Header=BB123_10 Depth=1
	v_lshrrev_b32_e32 v28, 24, v28
	v_lshlrev_b32_e32 v29, 3, v29
	s_delay_alu instid0(VALU_DEP_2) | instskip(NEXT) | instid1(VALU_DEP_2)
	v_add_nc_u32_e32 v28, v27, v28
	v_sub_nc_u32_e32 v27, v27, v29
	s_delay_alu instid0(VALU_DEP_2) | instskip(NEXT) | instid1(VALU_DEP_1)
	v_ashrrev_i32_e32 v28, 8, v28
	v_lshl_add_u32 v27, v28, 3, v27
	s_delay_alu instid0(VALU_DEP_1) | instskip(NEXT) | instid1(VALU_DEP_1)
	v_cmp_ne_u32_e64 s0, 7, v27
	v_cndmask_b32_e64 v15, 0xc61c4000, v15, s0
	v_cmp_ne_u32_e64 s0, 6, v27
	s_delay_alu instid0(VALU_DEP_1) | instskip(SKIP_1) | instid1(VALU_DEP_1)
	v_cndmask_b32_e64 v14, 0xc61c4000, v14, s0
	v_cmp_ne_u32_e64 s0, 5, v27
	v_cndmask_b32_e64 v13, 0xc61c4000, v13, s0
	v_cmp_ne_u32_e64 s0, 4, v27
	s_delay_alu instid0(VALU_DEP_1) | instskip(SKIP_1) | instid1(VALU_DEP_1)
	v_cndmask_b32_e64 v12, 0xc61c4000, v12, s0
	;; [unrolled: 5-line block ×3, first 2 shown]
	v_cmp_ne_u32_e64 s0, 1, v27
	v_cndmask_b32_e64 v9, 0xc61c4000, v9, s0
	v_cmp_ne_u32_e64 s0, 0, v27
	s_delay_alu instid0(VALU_DEP_1)
	v_cndmask_b32_e64 v8, 0xc61c4000, v8, s0
	s_branch .LBB123_8
.LBB123_35:
                                        ; implicit-def: $vgpr8_vgpr9_vgpr10_vgpr11_vgpr12_vgpr13_vgpr14_vgpr15
	s_and_not1_b32 vcc_lo, exec_lo, s8
	s_cbranch_vccz .LBB123_5
	s_branch .LBB123_6
.LBB123_36:
	v_mov_b32_e32 v24, 0
.LBB123_37:
	v_cmp_eq_u32_e64 s0, 0, v17
	s_delay_alu instid0(VALU_DEP_1) | instskip(NEXT) | instid1(SALU_CYCLE_1)
	s_and_b32 s0, s0, vcc_lo
	s_and_b32 exec_lo, exec_lo, s0
	s_cbranch_execz .LBB123_41
; %bb.38:
	s_and_not1_b32 vcc_lo, exec_lo, s3
	s_cbranch_vccnz .LBB123_41
; %bb.39:
	v_mul_lo_u32 v0, v16, s4
	v_cmp_lt_f32_e32 vcc_lo, 0, v24
	v_cndmask_b32_e32 v2, 1.0, v24, vcc_lo
	s_delay_alu instid0(VALU_DEP_3) | instskip(NEXT) | instid1(VALU_DEP_1)
	v_ashrrev_i32_e32 v1, 31, v0
	v_lshlrev_b64 v[0:1], 2, v[0:1]
	s_delay_alu instid0(VALU_DEP_1) | instskip(NEXT) | instid1(VALU_DEP_2)
	v_add_co_u32 v0, vcc_lo, s12, v0
	v_add_co_ci_u32_e32 v1, vcc_lo, s13, v1, vcc_lo
	.p2align	6
.LBB123_40:                             ; =>This Inner Loop Header: Depth=1
	global_load_b32 v3, v[0:1], off
	s_add_i32 s4, s4, -1
	s_delay_alu instid0(SALU_CYCLE_1) | instskip(SKIP_3) | instid1(VALU_DEP_2)
	s_cmp_lg_u32 s4, 0
	s_waitcnt vmcnt(0)
	v_div_scale_f32 v4, null, v2, v2, v3
	v_div_scale_f32 v7, vcc_lo, v3, v2, v3
	v_rcp_f32_e32 v5, v4
	s_waitcnt_depctr 0xfff
	v_fma_f32 v6, -v4, v5, 1.0
	s_delay_alu instid0(VALU_DEP_1) | instskip(NEXT) | instid1(VALU_DEP_1)
	v_fmac_f32_e32 v5, v6, v5
	v_mul_f32_e32 v6, v7, v5
	s_delay_alu instid0(VALU_DEP_1) | instskip(NEXT) | instid1(VALU_DEP_1)
	v_fma_f32 v8, -v4, v6, v7
	v_fmac_f32_e32 v6, v8, v5
	s_delay_alu instid0(VALU_DEP_1) | instskip(NEXT) | instid1(VALU_DEP_1)
	v_fma_f32 v4, -v4, v6, v7
	v_div_fmas_f32 v4, v4, v5, v6
	s_delay_alu instid0(VALU_DEP_1)
	v_div_fixup_f32 v3, v4, v2, v3
	global_store_b32 v[0:1], v3, off
	v_add_co_u32 v0, vcc_lo, v0, 4
	v_add_co_ci_u32_e32 v1, vcc_lo, 0, v1, vcc_lo
	s_cbranch_scc1 .LBB123_40
.LBB123_41:
	s_nop 0
	s_sendmsg sendmsg(MSG_DEALLOC_VGPRS)
	s_endpgm
	.section	.rodata,"a",@progbits
	.p2align	6, 0x0
	.amdhsa_kernel _ZN4vllm3moe10topkGatingILi8ELi256ELi4ELi16ELi64El6__halfLNS0_11ScoringFuncE0EEEvPKT5_PKbPfiPT4_PiiiibPKf
		.amdhsa_group_segment_fixed_size 0
		.amdhsa_private_segment_fixed_size 0
		.amdhsa_kernarg_size 72
		.amdhsa_user_sgpr_count 15
		.amdhsa_user_sgpr_dispatch_ptr 0
		.amdhsa_user_sgpr_queue_ptr 0
		.amdhsa_user_sgpr_kernarg_segment_ptr 1
		.amdhsa_user_sgpr_dispatch_id 0
		.amdhsa_user_sgpr_private_segment_size 0
		.amdhsa_wavefront_size32 1
		.amdhsa_uses_dynamic_stack 0
		.amdhsa_enable_private_segment 0
		.amdhsa_system_sgpr_workgroup_id_x 1
		.amdhsa_system_sgpr_workgroup_id_y 0
		.amdhsa_system_sgpr_workgroup_id_z 0
		.amdhsa_system_sgpr_workgroup_info 0
		.amdhsa_system_vgpr_workitem_id 1
		.amdhsa_next_free_vgpr 39
		.amdhsa_next_free_sgpr 18
		.amdhsa_reserve_vcc 1
		.amdhsa_float_round_mode_32 0
		.amdhsa_float_round_mode_16_64 0
		.amdhsa_float_denorm_mode_32 3
		.amdhsa_float_denorm_mode_16_64 3
		.amdhsa_dx10_clamp 1
		.amdhsa_ieee_mode 1
		.amdhsa_fp16_overflow 0
		.amdhsa_workgroup_processor_mode 1
		.amdhsa_memory_ordered 1
		.amdhsa_forward_progress 0
		.amdhsa_shared_vgpr_count 0
		.amdhsa_exception_fp_ieee_invalid_op 0
		.amdhsa_exception_fp_denorm_src 0
		.amdhsa_exception_fp_ieee_div_zero 0
		.amdhsa_exception_fp_ieee_overflow 0
		.amdhsa_exception_fp_ieee_underflow 0
		.amdhsa_exception_fp_ieee_inexact 0
		.amdhsa_exception_int_div_zero 0
	.end_amdhsa_kernel
	.section	.text._ZN4vllm3moe10topkGatingILi8ELi256ELi4ELi16ELi64El6__halfLNS0_11ScoringFuncE0EEEvPKT5_PKbPfiPT4_PiiiibPKf,"axG",@progbits,_ZN4vllm3moe10topkGatingILi8ELi256ELi4ELi16ELi64El6__halfLNS0_11ScoringFuncE0EEEvPKT5_PKbPfiPT4_PiiiibPKf,comdat
.Lfunc_end123:
	.size	_ZN4vllm3moe10topkGatingILi8ELi256ELi4ELi16ELi64El6__halfLNS0_11ScoringFuncE0EEEvPKT5_PKbPfiPT4_PiiiibPKf, .Lfunc_end123-_ZN4vllm3moe10topkGatingILi8ELi256ELi4ELi16ELi64El6__halfLNS0_11ScoringFuncE0EEEvPKT5_PKbPfiPT4_PiiiibPKf
                                        ; -- End function
	.section	.AMDGPU.csdata,"",@progbits
; Kernel info:
; codeLenInByte = 3600
; NumSgprs: 20
; NumVgprs: 39
; ScratchSize: 0
; MemoryBound: 0
; FloatMode: 240
; IeeeMode: 1
; LDSByteSize: 0 bytes/workgroup (compile time only)
; SGPRBlocks: 2
; VGPRBlocks: 4
; NumSGPRsForWavesPerEU: 20
; NumVGPRsForWavesPerEU: 39
; Occupancy: 16
; WaveLimiterHint : 0
; COMPUTE_PGM_RSRC2:SCRATCH_EN: 0
; COMPUTE_PGM_RSRC2:USER_SGPR: 15
; COMPUTE_PGM_RSRC2:TRAP_HANDLER: 0
; COMPUTE_PGM_RSRC2:TGID_X_EN: 1
; COMPUTE_PGM_RSRC2:TGID_Y_EN: 0
; COMPUTE_PGM_RSRC2:TGID_Z_EN: 0
; COMPUTE_PGM_RSRC2:TIDIG_COMP_CNT: 1
	.section	.text._ZN4vllm3moe10topkGatingILi8ELi256ELi4ELi16ELi32El6__halfLNS0_11ScoringFuncE0EEEvPKT5_PKbPfiPT4_PiiiibPKf,"axG",@progbits,_ZN4vllm3moe10topkGatingILi8ELi256ELi4ELi16ELi32El6__halfLNS0_11ScoringFuncE0EEEvPKT5_PKbPfiPT4_PiiiibPKf,comdat
	.protected	_ZN4vllm3moe10topkGatingILi8ELi256ELi4ELi16ELi32El6__halfLNS0_11ScoringFuncE0EEEvPKT5_PKbPfiPT4_PiiiibPKf ; -- Begin function _ZN4vllm3moe10topkGatingILi8ELi256ELi4ELi16ELi32El6__halfLNS0_11ScoringFuncE0EEEvPKT5_PKbPfiPT4_PiiiibPKf
	.globl	_ZN4vllm3moe10topkGatingILi8ELi256ELi4ELi16ELi32El6__halfLNS0_11ScoringFuncE0EEEvPKT5_PKbPfiPT4_PiiiibPKf
	.p2align	8
	.type	_ZN4vllm3moe10topkGatingILi8ELi256ELi4ELi16ELi32El6__halfLNS0_11ScoringFuncE0EEEvPKT5_PKbPfiPT4_PiiiibPKf,@function
_ZN4vllm3moe10topkGatingILi8ELi256ELi4ELi16ELi32El6__halfLNS0_11ScoringFuncE0EEEvPKT5_PKbPfiPT4_PiiiibPKf: ; @_ZN4vllm3moe10topkGatingILi8ELi256ELi4ELi16ELi32El6__halfLNS0_11ScoringFuncE0EEEvPKT5_PKbPfiPT4_PiiiibPKf
; %bb.0:
	s_load_b32 s14, s[0:1], 0x18
	v_and_b32_e32 v1, 0x3ff, v0
	v_bfe_u32 v0, v0, 10, 10
	s_lshl_b32 s2, s15, 2
	s_delay_alu instid0(VALU_DEP_2) | instskip(NEXT) | instid1(VALU_DEP_1)
	v_lshrrev_b32_e32 v2, 5, v1
	v_add3_u32 v16, s2, v0, v2
	s_mov_b32 s2, exec_lo
	s_waitcnt lgkmcnt(0)
	s_delay_alu instid0(VALU_DEP_1)
	v_cmpx_gt_i32_e64 s14, v16
	s_cbranch_execz .LBB124_41
; %bb.1:
	s_clause 0x1
	s_load_b128 s[4:7], s[0:1], 0x0
	s_load_b64 s[12:13], s[0:1], 0x10
	s_mov_b32 s8, -1
	s_mov_b32 s15, -1
	s_waitcnt lgkmcnt(0)
	s_cmp_eq_u64 s[6:7], 0
	s_cbranch_scc1 .LBB124_3
; %bb.2:
	v_ashrrev_i32_e32 v0, 31, v16
	v_add_co_u32 v2, vcc_lo, s6, v16
	s_delay_alu instid0(VALU_DEP_2) | instskip(SKIP_3) | instid1(VALU_DEP_1)
	v_add_co_ci_u32_e32 v3, vcc_lo, s7, v0, vcc_lo
	global_load_u8 v0, v[2:3], off
	s_waitcnt vmcnt(0)
	v_and_b32_e32 v0, 1, v0
	v_cmp_eq_u32_e32 vcc_lo, 1, v0
	s_xor_b32 s2, vcc_lo, -1
	s_delay_alu instid0(SALU_CYCLE_1)
	s_or_not1_b32 s15, s2, exec_lo
.LBB124_3:
	v_mbcnt_lo_u32_b32 v6, -1, 0
	v_and_b32_e32 v17, 31, v1
	s_load_b64 s[2:3], s[0:1], 0x40
	s_delay_alu instid0(VALU_DEP_2) | instskip(SKIP_2) | instid1(VALU_DEP_2)
	v_xor_b32_e32 v9, 16, v6
	v_lshlrev_b32_e32 v2, 8, v16
	v_xor_b32_e32 v11, 8, v6
	v_ashrrev_i32_e32 v3, 31, v2
	s_delay_alu instid0(VALU_DEP_1) | instskip(SKIP_3) | instid1(VALU_DEP_2)
	v_lshlrev_b64 v[0:1], 1, v[2:3]
	v_lshlrev_b32_e32 v2, 4, v17
	s_waitcnt lgkmcnt(0)
	s_cmp_eq_u64 s[2:3], 0
	v_add_co_u32 v0, vcc_lo, s4, v0
	s_delay_alu instid0(VALU_DEP_3) | instskip(NEXT) | instid1(VALU_DEP_2)
	v_add_co_ci_u32_e32 v1, vcc_lo, s5, v1, vcc_lo
	v_add_co_u32 v0, vcc_lo, v0, v2
	s_delay_alu instid0(VALU_DEP_2)
	v_add_co_ci_u32_e32 v1, vcc_lo, 0, v1, vcc_lo
	v_cmp_gt_i32_e32 vcc_lo, 32, v9
	global_load_b128 v[0:3], v[0:1], off
	v_cndmask_b32_e32 v9, v6, v9, vcc_lo
	v_cmp_gt_i32_e32 vcc_lo, 32, v11
	v_cndmask_b32_e32 v11, v6, v11, vcc_lo
	s_waitcnt vmcnt(0)
	v_lshrrev_b32_e32 v4, 16, v0
	v_cvt_f32_f16_e32 v0, v0
	v_lshrrev_b32_e32 v5, 16, v1
	v_cvt_f32_f16_e32 v1, v1
	;; [unrolled: 2-line block ×3, first 2 shown]
	v_cvt_f32_f16_e32 v2, v2
	v_cvt_f32_f16_e32 v5, v5
	v_lshrrev_b32_e32 v10, 16, v3
	v_cvt_f32_f16_e32 v7, v7
	v_max_f32_e32 v8, v0, v4
	v_cvt_f32_f16_e32 v3, v3
	s_delay_alu instid0(VALU_DEP_4) | instskip(NEXT) | instid1(VALU_DEP_3)
	v_cvt_f32_f16_e32 v10, v10
	v_max3_f32 v8, v8, v1, v5
	s_delay_alu instid0(VALU_DEP_1) | instskip(NEXT) | instid1(VALU_DEP_1)
	v_max3_f32 v8, v8, v2, v7
	v_max3_f32 v8, v8, v3, v10
	v_lshlrev_b32_e32 v19, 2, v11
	v_xor_b32_e32 v11, 4, v6
	s_delay_alu instid0(VALU_DEP_1) | instskip(SKIP_4) | instid1(VALU_DEP_1)
	v_cmp_gt_i32_e32 vcc_lo, 32, v11
	v_dual_cndmask_b32 v11, v6, v11 :: v_dual_lshlrev_b32 v18, 2, v9
	ds_bpermute_b32 v9, v18, v8
	v_lshlrev_b32_e32 v20, 2, v11
	v_xor_b32_e32 v11, 2, v6
	v_cmp_gt_i32_e32 vcc_lo, 32, v11
	v_cndmask_b32_e32 v11, v6, v11, vcc_lo
	s_waitcnt lgkmcnt(0)
	v_max_f32_e32 v9, v9, v9
	s_delay_alu instid0(VALU_DEP_2) | instskip(SKIP_1) | instid1(VALU_DEP_3)
	v_lshlrev_b32_e32 v21, 2, v11
	v_xor_b32_e32 v11, 1, v6
	v_max_f32_e32 v8, v8, v9
	s_delay_alu instid0(VALU_DEP_2) | instskip(SKIP_3) | instid1(VALU_DEP_1)
	v_cmp_gt_i32_e32 vcc_lo, 32, v11
	ds_bpermute_b32 v9, v19, v8
	v_cndmask_b32_e32 v6, v6, v11, vcc_lo
	s_waitcnt lgkmcnt(0)
	v_dual_max_f32 v9, v9, v9 :: v_dual_lshlrev_b32 v22, 2, v6
	s_delay_alu instid0(VALU_DEP_1) | instskip(SKIP_3) | instid1(VALU_DEP_1)
	v_max_f32_e32 v8, v8, v9
	ds_bpermute_b32 v9, v20, v8
	s_waitcnt lgkmcnt(0)
	v_max_f32_e32 v9, v9, v9
	v_max_f32_e32 v8, v8, v9
	ds_bpermute_b32 v9, v21, v8
	s_waitcnt lgkmcnt(0)
	v_max_f32_e32 v9, v9, v9
	s_delay_alu instid0(VALU_DEP_1) | instskip(SKIP_3) | instid1(VALU_DEP_1)
	v_max_f32_e32 v6, v8, v9
	ds_bpermute_b32 v8, v22, v6
	s_waitcnt lgkmcnt(0)
	v_max_f32_e32 v8, v8, v8
	v_max_f32_e32 v6, v6, v8
	s_delay_alu instid0(VALU_DEP_1) | instskip(NEXT) | instid1(VALU_DEP_1)
	v_sub_f32_e32 v5, v5, v6
	v_mul_f32_e32 v11, 0x3fb8aa3b, v5
	v_sub_f32_e32 v1, v1, v6
	v_sub_f32_e32 v7, v7, v6
	;; [unrolled: 1-line block ×3, first 2 shown]
	s_delay_alu instid0(VALU_DEP_4) | instskip(NEXT) | instid1(VALU_DEP_3)
	v_rndne_f32_e32 v30, v11
	v_dual_mul_f32 v13, 0x3fb8aa3b, v7 :: v_dual_sub_f32 v0, v0, v6
	s_delay_alu instid0(VALU_DEP_3) | instskip(NEXT) | instid1(VALU_DEP_2)
	v_mul_f32_e32 v9, 0x3fb8aa3b, v4
	v_rndne_f32_e32 v34, v13
	s_delay_alu instid0(VALU_DEP_3) | instskip(NEXT) | instid1(VALU_DEP_3)
	v_mul_f32_e32 v8, 0x3fb8aa3b, v0
	v_fma_f32 v25, 0x3fb8aa3b, v4, -v9
	v_rndne_f32_e32 v26, v9
	v_fma_f32 v29, 0x3fb8aa3b, v5, -v11
	v_cmp_ngt_f32_e32 vcc_lo, 0xc2ce8ed0, v0
	v_fma_f32 v23, 0x3fb8aa3b, v0, -v8
	v_sub_f32_e32 v2, v2, v6
	v_rndne_f32_e32 v24, v8
	v_sub_f32_e32 v3, v3, v6
	v_dual_sub_f32 v6, v10, v6 :: v_dual_fmac_f32 v25, 0x32a5705f, v4
	v_mul_f32_e32 v10, 0x3fb8aa3b, v1
	v_fmac_f32_e32 v23, 0x32a5705f, v0
	v_dual_sub_f32 v8, v8, v24 :: v_dual_sub_f32 v11, v11, v30
	v_fma_f32 v33, 0x3fb8aa3b, v7, -v13
	s_delay_alu instid0(VALU_DEP_4) | instskip(SKIP_1) | instid1(VALU_DEP_4)
	v_rndne_f32_e32 v28, v10
	v_fma_f32 v27, 0x3fb8aa3b, v1, -v10
	v_dual_add_f32 v8, v8, v23 :: v_dual_sub_f32 v9, v9, v26
	v_cvt_i32_f32_e32 v24, v24
	s_delay_alu instid0(VALU_DEP_4) | instskip(SKIP_1) | instid1(VALU_DEP_4)
	v_sub_f32_e32 v10, v10, v28
	v_mul_f32_e32 v12, 0x3fb8aa3b, v2
	v_exp_f32_e32 v8, v8
	v_dual_add_f32 v9, v9, v25 :: v_dual_mul_f32 v14, 0x3fb8aa3b, v3
	v_mul_f32_e32 v15, 0x3fb8aa3b, v6
	s_delay_alu instid0(VALU_DEP_3)
	v_fma_f32 v31, 0x3fb8aa3b, v2, -v12
	v_rndne_f32_e32 v32, v12
	v_fmac_f32_e32 v27, 0x32a5705f, v1
	v_exp_f32_e32 v9, v9
	v_cvt_i32_f32_e32 v26, v26
	v_rndne_f32_e32 v36, v14
	v_dual_sub_f32 v12, v12, v32 :: v_dual_fmac_f32 v31, 0x32a5705f, v2
	v_dual_add_f32 v10, v10, v27 :: v_dual_sub_f32 v13, v13, v34
	v_ldexp_f32 v8, v8, v24
	v_cvt_i32_f32_e32 v28, v28
	s_delay_alu instid0(VALU_DEP_4) | instskip(NEXT) | instid1(VALU_DEP_4)
	v_add_f32_e32 v12, v12, v31
	v_exp_f32_e32 v10, v10
	v_fmac_f32_e32 v29, 0x32a5705f, v5
	v_cvt_i32_f32_e32 v32, v32
	v_dual_fmac_f32 v33, 0x32a5705f, v7 :: v_dual_cndmask_b32 v8, 0, v8
	v_exp_f32_e32 v12, v12
	v_ldexp_f32 v9, v9, v26
	v_cmp_ngt_f32_e32 vcc_lo, 0xc2ce8ed0, v4
	v_fma_f32 v35, 0x3fb8aa3b, v3, -v14
	v_sub_f32_e32 v14, v14, v36
	s_delay_alu instid0(TRANS32_DEP_2)
	v_ldexp_f32 v10, v10, v28
	v_rndne_f32_e32 v38, v15
	v_cndmask_b32_e32 v9, 0, v9, vcc_lo
	v_cmp_ngt_f32_e32 vcc_lo, 0xc2ce8ed0, v1
	v_fmac_f32_e32 v35, 0x32a5705f, v3
	v_ldexp_f32 v12, v12, v32
	v_add_f32_e32 v11, v11, v29
	v_fma_f32 v37, 0x3fb8aa3b, v6, -v15
	v_cndmask_b32_e32 v10, 0, v10, vcc_lo
	v_cmp_nlt_f32_e32 vcc_lo, 0x42b17218, v0
	v_cvt_i32_f32_e32 v30, v30
	v_exp_f32_e32 v11, v11
	v_sub_f32_e32 v15, v15, v38
	v_cvt_i32_f32_e32 v34, v34
	v_cndmask_b32_e32 v0, 0x7f800000, v8, vcc_lo
	v_cmp_nlt_f32_e32 vcc_lo, 0x42b17218, v4
	v_dual_fmac_f32 v37, 0x32a5705f, v6 :: v_dual_add_f32 v14, v14, v35
	v_cvt_i32_f32_e32 v23, v36
	v_cvt_i32_f32_e32 v25, v38
	v_cndmask_b32_e32 v4, 0x7f800000, v9, vcc_lo
	s_delay_alu instid0(TRANS32_DEP_1) | instskip(SKIP_3) | instid1(VALU_DEP_3)
	v_ldexp_f32 v11, v11, v30
	v_cmp_ngt_f32_e32 vcc_lo, 0xc2ce8ed0, v5
	v_add_f32_e32 v13, v13, v33
	v_exp_f32_e32 v14, v14
	v_dual_add_f32 v9, v0, v4 :: v_dual_cndmask_b32 v8, 0, v11
	v_cmp_nlt_f32_e32 vcc_lo, 0x42b17218, v1
	s_delay_alu instid0(VALU_DEP_3)
	v_exp_f32_e32 v13, v13
	v_cndmask_b32_e32 v1, 0x7f800000, v10, vcc_lo
	v_cmp_ngt_f32_e32 vcc_lo, 0xc2ce8ed0, v2
	s_waitcnt_depctr 0xfff
	v_ldexp_f32 v14, v14, v23
	v_cndmask_b32_e32 v10, 0, v12, vcc_lo
	v_cmp_nlt_f32_e32 vcc_lo, 0x42b17218, v5
	v_ldexp_f32 v13, v13, v34
	v_dual_cndmask_b32 v5, 0x7f800000, v8 :: v_dual_add_f32 v8, v9, v1
	v_cmp_ngt_f32_e32 vcc_lo, 0xc2ce8ed0, v7
	s_delay_alu instid0(VALU_DEP_2) | instskip(NEXT) | instid1(VALU_DEP_4)
	v_add_f32_e32 v8, v8, v5
	v_cndmask_b32_e32 v9, 0, v13, vcc_lo
	v_cmp_nlt_f32_e32 vcc_lo, 0x42b17218, v2
	v_dual_add_f32 v15, v15, v37 :: v_dual_cndmask_b32 v2, 0x7f800000, v10
	s_delay_alu instid0(VALU_DEP_1) | instskip(SKIP_1) | instid1(VALU_DEP_2)
	v_exp_f32_e32 v15, v15
	v_cmp_ngt_f32_e32 vcc_lo, 0xc2ce8ed0, v3
	v_add_f32_e32 v8, v8, v2
	v_cndmask_b32_e32 v10, 0, v14, vcc_lo
	v_cmp_nlt_f32_e32 vcc_lo, 0x42b17218, v7
	s_waitcnt_depctr 0xfff
	v_ldexp_f32 v15, v15, v25
	v_cndmask_b32_e32 v7, 0x7f800000, v9, vcc_lo
	v_cmp_ngt_f32_e32 vcc_lo, 0xc2ce8ed0, v6
	s_delay_alu instid0(VALU_DEP_2) | instskip(NEXT) | instid1(VALU_DEP_4)
	v_add_f32_e32 v8, v8, v7
	v_cndmask_b32_e32 v9, 0, v15, vcc_lo
	v_cmp_nlt_f32_e32 vcc_lo, 0x42b17218, v3
	v_cndmask_b32_e32 v3, 0x7f800000, v10, vcc_lo
	v_cmp_nlt_f32_e32 vcc_lo, 0x42b17218, v6
	s_delay_alu instid0(VALU_DEP_2) | instskip(SKIP_1) | instid1(VALU_DEP_1)
	v_add_f32_e32 v8, v8, v3
	v_cndmask_b32_e32 v6, 0x7f800000, v9, vcc_lo
	v_add_f32_e32 v8, v8, v6
	ds_bpermute_b32 v9, v18, v8
	s_waitcnt lgkmcnt(0)
	v_add_f32_e32 v8, v8, v9
	ds_bpermute_b32 v9, v19, v8
	s_waitcnt lgkmcnt(0)
	;; [unrolled: 3-line block ×5, first 2 shown]
	v_add_f32_e32 v8, v8, v9
	s_delay_alu instid0(VALU_DEP_1) | instskip(SKIP_1) | instid1(VALU_DEP_2)
	v_div_scale_f32 v9, null, v8, v8, 1.0
	v_div_scale_f32 v12, vcc_lo, 1.0, v8, 1.0
	v_rcp_f32_e32 v10, v9
	s_waitcnt_depctr 0xfff
	v_fma_f32 v11, -v9, v10, 1.0
	s_delay_alu instid0(VALU_DEP_1) | instskip(NEXT) | instid1(VALU_DEP_1)
	v_fmac_f32_e32 v10, v11, v10
	v_mul_f32_e32 v11, v12, v10
	s_delay_alu instid0(VALU_DEP_1) | instskip(NEXT) | instid1(VALU_DEP_1)
	v_fma_f32 v13, -v9, v11, v12
	v_fmac_f32_e32 v11, v13, v10
	s_delay_alu instid0(VALU_DEP_1) | instskip(NEXT) | instid1(VALU_DEP_1)
	v_fma_f32 v9, -v9, v11, v12
	v_div_fmas_f32 v9, v9, v10, v11
	s_delay_alu instid0(VALU_DEP_1) | instskip(NEXT) | instid1(VALU_DEP_1)
	v_div_fixup_f32 v8, v9, v8, 1.0
	v_dual_mul_f32 v0, v8, v0 :: v_dual_lshlrev_b32 v23, 3, v17
	v_mul_f32_e32 v10, v8, v2
	v_mul_f32_e32 v5, v8, v5
	;; [unrolled: 1-line block ×4, first 2 shown]
	v_cmp_class_f32_e64 vcc_lo, v0, 0x1f8
	v_dual_mul_f32 v9, v8, v1 :: v_dual_cndmask_b32 v0, 0, v0
	s_delay_alu instid0(VALU_DEP_4) | instskip(SKIP_1) | instid1(VALU_DEP_3)
	v_cmp_class_f32_e64 vcc_lo, v4, 0x1f8
	v_cndmask_b32_e32 v1, 0, v4, vcc_lo
	v_cmp_class_f32_e64 vcc_lo, v9, 0x1f8
	v_mul_f32_e32 v7, v8, v7
	v_mul_f32_e32 v8, v8, v6
	v_cndmask_b32_e32 v2, 0, v9, vcc_lo
	v_cmp_class_f32_e64 vcc_lo, v5, 0x1f8
	v_cndmask_b32_e32 v3, 0, v5, vcc_lo
	v_cmp_class_f32_e64 vcc_lo, v10, 0x1f8
	;; [unrolled: 2-line block ×5, first 2 shown]
	v_cndmask_b32_e32 v7, 0, v8, vcc_lo
	s_cbranch_scc1 .LBB124_35
; %bb.4:
	v_lshlrev_b32_e32 v12, 2, v23
	s_clause 0x1
	global_load_b128 v[8:11], v12, s[2:3]
	global_load_b128 v[12:15], v12, s[2:3] offset:16
	s_waitcnt vmcnt(1)
	v_dual_add_f32 v9, v9, v1 :: v_dual_add_f32 v8, v8, v0
	v_dual_add_f32 v11, v11, v3 :: v_dual_add_f32 v10, v10, v2
	s_waitcnt vmcnt(0)
	v_dual_add_f32 v13, v13, v5 :: v_dual_add_f32 v12, v12, v4
	v_dual_add_f32 v15, v15, v7 :: v_dual_add_f32 v14, v14, v6
	s_cbranch_execnz .LBB124_6
.LBB124_5:
	v_dual_mov_b32 v15, v7 :: v_dual_mov_b32 v14, v6
	v_dual_mov_b32 v13, v5 :: v_dual_mov_b32 v12, v4
	;; [unrolled: 1-line block ×4, first 2 shown]
.LBB124_6:
	s_load_b128 s[4:7], s[0:1], 0x30
	v_cmp_eq_u32_e64 s2, 0, v17
	s_waitcnt lgkmcnt(0)
	s_bitcmp1_b32 s7, 0
	s_mov_b32 s7, 0
	s_cselect_b32 vcc_lo, -1, 0
	s_cmp_gt_i32 s4, 0
	s_cselect_b32 s3, -1, 0
	s_cmp_lt_i32 s4, 1
	s_cbranch_scc1 .LBB124_36
; %bb.7:
	s_load_b128 s[8:11], s[0:1], 0x20
	v_mul_lo_u32 v25, v16, s4
	v_mov_b32_e32 v24, 0
	v_mov_b32_e32 v26, v16
	s_branch .LBB124_10
.LBB124_8:                              ;   in Loop: Header=BB124_10 Depth=1
	s_or_b32 exec_lo, exec_lo, s1
.LBB124_9:                              ;   in Loop: Header=BB124_10 Depth=1
	v_add_nc_u32_e32 v26, s14, v26
	s_cmp_eq_u32 s4, s7
	s_cbranch_scc1 .LBB124_37
.LBB124_10:                             ; =>This Inner Loop Header: Depth=1
	v_cmp_gt_f32_e64 s0, v9, v8
	s_mov_b32 s17, exec_lo
	s_delay_alu instid0(VALU_DEP_1) | instskip(SKIP_2) | instid1(VALU_DEP_3)
	v_cndmask_b32_e64 v27, v8, v9, s0
	v_cndmask_b32_e64 v28, 0, 1, s0
	;; [unrolled: 1-line block ×3, first 2 shown]
	v_cmp_gt_f32_e64 s1, v10, v27
	s_delay_alu instid0(VALU_DEP_1) | instskip(NEXT) | instid1(VALU_DEP_4)
	v_cndmask_b32_e64 v27, v27, v10, s1
	v_cndmask_b32_e64 v28, v28, 2, s1
	s_delay_alu instid0(VALU_DEP_4) | instskip(NEXT) | instid1(VALU_DEP_3)
	v_cndmask_b32_e64 v29, v29, v2, s1
	v_cmp_gt_f32_e64 s0, v11, v27
	s_delay_alu instid0(VALU_DEP_1) | instskip(NEXT) | instid1(VALU_DEP_4)
	v_cndmask_b32_e64 v27, v27, v11, s0
	v_cndmask_b32_e64 v28, v28, 3, s0
	s_delay_alu instid0(VALU_DEP_4) | instskip(NEXT) | instid1(VALU_DEP_3)
	v_cndmask_b32_e64 v29, v29, v3, s0
	;; [unrolled: 6-line block ×4, first 2 shown]
	v_cmp_gt_f32_e64 s1, v14, v27
	s_delay_alu instid0(VALU_DEP_1) | instskip(NEXT) | instid1(VALU_DEP_4)
	v_cndmask_b32_e64 v27, v27, v14, s1
	v_cndmask_b32_e64 v28, v28, 6, s1
	s_waitcnt lgkmcnt(0)
	v_cndmask_b32_e64 v30, v29, v6, s1
	s_delay_alu instid0(VALU_DEP_3) | instskip(NEXT) | instid1(VALU_DEP_1)
	v_cmp_gt_f32_e64 s0, v15, v27
	v_cndmask_b32_e64 v29, v27, v15, s0
	v_cndmask_b32_e64 v27, v28, 7, s0
	s_delay_alu instid0(VALU_DEP_4)
	v_cndmask_b32_e64 v28, v30, v7, s0
	ds_bpermute_b32 v30, v18, v29
	v_or_b32_e32 v27, v23, v27
	ds_bpermute_b32 v32, v18, v28
	ds_bpermute_b32 v31, v18, v27
	s_waitcnt lgkmcnt(0)
	v_cmp_lt_f32_e64 s16, v29, v30
	v_cmpx_nlt_f32_e32 v29, v30
; %bb.11:                               ;   in Loop: Header=BB124_10 Depth=1
	v_cmp_eq_f32_e64 s0, v29, v30
	v_cmp_lt_i32_e64 s1, v31, v27
	s_delay_alu instid0(VALU_DEP_1) | instskip(SKIP_2) | instid1(SALU_CYCLE_1)
	s_and_b32 s0, s0, s1
	s_and_not1_b32 s1, s16, exec_lo
	s_and_b32 s0, s0, exec_lo
	s_or_b32 s16, s1, s0
; %bb.12:                               ;   in Loop: Header=BB124_10 Depth=1
	s_or_b32 exec_lo, exec_lo, s17
	s_and_saveexec_b32 s0, s16
; %bb.13:                               ;   in Loop: Header=BB124_10 Depth=1
	v_dual_mov_b32 v28, v32 :: v_dual_mov_b32 v29, v30
	v_mov_b32_e32 v27, v31
; %bb.14:                               ;   in Loop: Header=BB124_10 Depth=1
	s_or_b32 exec_lo, exec_lo, s0
	ds_bpermute_b32 v31, v19, v29
	ds_bpermute_b32 v32, v19, v28
	;; [unrolled: 1-line block ×3, first 2 shown]
	s_mov_b32 s17, exec_lo
	s_waitcnt lgkmcnt(2)
	v_cmp_lt_f32_e64 s16, v29, v31
	v_cmpx_nlt_f32_e32 v29, v31
	s_cbranch_execz .LBB124_16
; %bb.15:                               ;   in Loop: Header=BB124_10 Depth=1
	v_cmp_eq_f32_e64 s0, v29, v31
	s_waitcnt lgkmcnt(0)
	v_cmp_lt_i32_e64 s1, v30, v27
	s_delay_alu instid0(VALU_DEP_1) | instskip(SKIP_2) | instid1(SALU_CYCLE_1)
	s_and_b32 s0, s0, s1
	s_and_not1_b32 s1, s16, exec_lo
	s_and_b32 s0, s0, exec_lo
	s_or_b32 s16, s1, s0
.LBB124_16:                             ;   in Loop: Header=BB124_10 Depth=1
	s_or_b32 exec_lo, exec_lo, s17
	s_delay_alu instid0(VALU_DEP_2)
	s_and_saveexec_b32 s0, s16
	s_cbranch_execz .LBB124_18
; %bb.17:                               ;   in Loop: Header=BB124_10 Depth=1
	s_waitcnt lgkmcnt(1)
	v_dual_mov_b32 v28, v32 :: v_dual_mov_b32 v29, v31
	s_waitcnt lgkmcnt(0)
	v_mov_b32_e32 v27, v30
.LBB124_18:                             ;   in Loop: Header=BB124_10 Depth=1
	s_or_b32 exec_lo, exec_lo, s0
	ds_bpermute_b32 v31, v20, v29
	s_waitcnt lgkmcnt(2)
	ds_bpermute_b32 v32, v20, v28
	s_waitcnt lgkmcnt(2)
	ds_bpermute_b32 v30, v20, v27
	s_mov_b32 s17, exec_lo
	s_waitcnt lgkmcnt(2)
	v_cmp_lt_f32_e64 s16, v29, v31
	v_cmpx_nlt_f32_e32 v29, v31
	s_cbranch_execz .LBB124_20
; %bb.19:                               ;   in Loop: Header=BB124_10 Depth=1
	v_cmp_eq_f32_e64 s0, v29, v31
	s_waitcnt lgkmcnt(0)
	v_cmp_lt_i32_e64 s1, v30, v27
	s_delay_alu instid0(VALU_DEP_1) | instskip(SKIP_2) | instid1(SALU_CYCLE_1)
	s_and_b32 s0, s0, s1
	s_and_not1_b32 s1, s16, exec_lo
	s_and_b32 s0, s0, exec_lo
	s_or_b32 s16, s1, s0
.LBB124_20:                             ;   in Loop: Header=BB124_10 Depth=1
	s_or_b32 exec_lo, exec_lo, s17
	s_delay_alu instid0(VALU_DEP_2)
	s_and_saveexec_b32 s0, s16
	s_cbranch_execz .LBB124_22
; %bb.21:                               ;   in Loop: Header=BB124_10 Depth=1
	s_waitcnt lgkmcnt(1)
	v_dual_mov_b32 v28, v32 :: v_dual_mov_b32 v29, v31
	s_waitcnt lgkmcnt(0)
	v_mov_b32_e32 v27, v30
.LBB124_22:                             ;   in Loop: Header=BB124_10 Depth=1
	s_or_b32 exec_lo, exec_lo, s0
	ds_bpermute_b32 v31, v21, v29
	s_waitcnt lgkmcnt(2)
	ds_bpermute_b32 v32, v21, v28
	s_waitcnt lgkmcnt(2)
	ds_bpermute_b32 v30, v21, v27
	s_mov_b32 s17, exec_lo
	s_waitcnt lgkmcnt(2)
	v_cmp_lt_f32_e64 s16, v29, v31
	v_cmpx_nlt_f32_e32 v29, v31
	s_cbranch_execz .LBB124_24
; %bb.23:                               ;   in Loop: Header=BB124_10 Depth=1
	v_cmp_eq_f32_e64 s0, v29, v31
	s_waitcnt lgkmcnt(0)
	v_cmp_lt_i32_e64 s1, v30, v27
	s_delay_alu instid0(VALU_DEP_1) | instskip(SKIP_2) | instid1(SALU_CYCLE_1)
	s_and_b32 s0, s0, s1
	s_and_not1_b32 s1, s16, exec_lo
	s_and_b32 s0, s0, exec_lo
	s_or_b32 s16, s1, s0
.LBB124_24:                             ;   in Loop: Header=BB124_10 Depth=1
	s_or_b32 exec_lo, exec_lo, s17
	s_delay_alu instid0(VALU_DEP_2)
	s_and_saveexec_b32 s0, s16
	s_cbranch_execz .LBB124_26
; %bb.25:                               ;   in Loop: Header=BB124_10 Depth=1
	s_waitcnt lgkmcnt(1)
	v_dual_mov_b32 v28, v32 :: v_dual_mov_b32 v29, v31
	s_waitcnt lgkmcnt(0)
	v_mov_b32_e32 v27, v30
.LBB124_26:                             ;   in Loop: Header=BB124_10 Depth=1
	s_or_b32 exec_lo, exec_lo, s0
	s_waitcnt lgkmcnt(1)
	ds_bpermute_b32 v32, v22, v29
	ds_bpermute_b32 v31, v22, v28
	s_waitcnt lgkmcnt(2)
	ds_bpermute_b32 v30, v22, v27
	s_mov_b32 s17, exec_lo
	s_waitcnt lgkmcnt(2)
	v_cmp_lt_f32_e64 s16, v29, v32
	v_cmpx_nlt_f32_e32 v29, v32
	s_cbranch_execnz .LBB124_30
; %bb.27:                               ;   in Loop: Header=BB124_10 Depth=1
	s_or_b32 exec_lo, exec_lo, s17
	s_delay_alu instid0(VALU_DEP_2)
	s_and_saveexec_b32 s0, s16
	s_cbranch_execnz .LBB124_31
.LBB124_28:                             ;   in Loop: Header=BB124_10 Depth=1
	s_or_b32 exec_lo, exec_lo, s0
	s_and_saveexec_b32 s16, s2
	s_cbranch_execnz .LBB124_32
.LBB124_29:                             ;   in Loop: Header=BB124_10 Depth=1
	s_or_b32 exec_lo, exec_lo, s16
	s_add_i32 s7, s7, 1
	s_delay_alu instid0(SALU_CYCLE_1)
	s_cmp_ge_i32 s7, s4
	s_cbranch_scc1 .LBB124_9
	s_branch .LBB124_33
.LBB124_30:                             ;   in Loop: Header=BB124_10 Depth=1
	v_cmp_eq_f32_e64 s0, v29, v32
	s_waitcnt lgkmcnt(0)
	v_cmp_lt_i32_e64 s1, v30, v27
	s_delay_alu instid0(VALU_DEP_1) | instskip(SKIP_2) | instid1(SALU_CYCLE_1)
	s_and_b32 s0, s0, s1
	s_and_not1_b32 s1, s16, exec_lo
	s_and_b32 s0, s0, exec_lo
	s_or_b32 s16, s1, s0
	s_or_b32 exec_lo, exec_lo, s17
	s_and_saveexec_b32 s0, s16
	s_cbranch_execz .LBB124_28
.LBB124_31:                             ;   in Loop: Header=BB124_10 Depth=1
	s_waitcnt lgkmcnt(0)
	v_dual_mov_b32 v28, v31 :: v_dual_mov_b32 v27, v30
	s_or_b32 exec_lo, exec_lo, s0
	s_and_saveexec_b32 s16, s2
	s_cbranch_execz .LBB124_29
.LBB124_32:                             ;   in Loop: Header=BB124_10 Depth=1
	v_add_nc_u32_e32 v29, s7, v25
	v_subrev_nc_u32_e32 v33, s5, v27
	v_cmp_le_i32_e64 s0, s5, v27
	v_cmp_gt_i32_e64 s1, s6, v27
	v_add_f32_e32 v37, v24, v28
	s_waitcnt lgkmcnt(0)
	v_ashrrev_i32_e32 v30, 31, v29
	v_ashrrev_i32_e32 v34, 31, v33
	s_and_b32 s0, s0, s1
	v_cndmask_b32_e32 v24, v24, v37, vcc_lo
	s_delay_alu instid0(VALU_DEP_3) | instskip(SKIP_2) | instid1(SALU_CYCLE_1)
	v_lshlrev_b64 v[31:32], 2, v[29:30]
	v_lshlrev_b64 v[29:30], 3, v[29:30]
	s_and_b32 s0, s15, s0
	v_cndmask_b32_e64 v34, 0, v34, s0
	v_cndmask_b32_e64 v33, 0x100, v33, s0
	s_delay_alu instid0(VALU_DEP_4) | instskip(NEXT) | instid1(VALU_DEP_1)
	v_add_co_u32 v35, s0, s12, v31
	v_add_co_ci_u32_e64 v36, s0, s13, v32, s0
	v_add_co_u32 v29, s0, s8, v29
	s_delay_alu instid0(VALU_DEP_1) | instskip(SKIP_1) | instid1(VALU_DEP_1)
	v_add_co_ci_u32_e64 v30, s0, s9, v30, s0
	v_add_co_u32 v31, s0, s10, v31
	v_add_co_ci_u32_e64 v32, s0, s11, v32, s0
	global_store_b32 v[35:36], v28, off
	global_store_b64 v[29:30], v[33:34], off
	global_store_b32 v[31:32], v26, off
	s_or_b32 exec_lo, exec_lo, s16
	s_add_i32 s7, s7, 1
	s_delay_alu instid0(SALU_CYCLE_1)
	s_cmp_ge_i32 s7, s4
	s_cbranch_scc1 .LBB124_9
.LBB124_33:                             ;   in Loop: Header=BB124_10 Depth=1
	v_ashrrev_i32_e32 v28, 31, v27
	s_mov_b32 s1, exec_lo
	s_delay_alu instid0(VALU_DEP_1) | instskip(NEXT) | instid1(VALU_DEP_1)
	v_lshrrev_b32_e32 v29, 29, v28
	v_add_nc_u32_e32 v29, v27, v29
	s_waitcnt lgkmcnt(0)
	s_delay_alu instid0(VALU_DEP_1) | instskip(SKIP_1) | instid1(VALU_DEP_2)
	v_ashrrev_i32_e32 v30, 31, v29
	v_ashrrev_i32_e32 v29, 3, v29
	v_lshrrev_b32_e32 v30, 27, v30
	s_delay_alu instid0(VALU_DEP_1) | instskip(NEXT) | instid1(VALU_DEP_1)
	v_add_nc_u32_e32 v30, v29, v30
	v_and_b32_e32 v30, 0xffffffe0, v30
	s_delay_alu instid0(VALU_DEP_1) | instskip(NEXT) | instid1(VALU_DEP_1)
	v_sub_nc_u32_e32 v30, v29, v30
	v_cmpx_eq_u32_e64 v17, v30
	s_cbranch_execz .LBB124_8
; %bb.34:                               ;   in Loop: Header=BB124_10 Depth=1
	v_lshrrev_b32_e32 v28, 24, v28
	v_lshlrev_b32_e32 v29, 3, v29
	s_delay_alu instid0(VALU_DEP_2) | instskip(NEXT) | instid1(VALU_DEP_2)
	v_add_nc_u32_e32 v28, v27, v28
	v_sub_nc_u32_e32 v27, v27, v29
	s_delay_alu instid0(VALU_DEP_2) | instskip(NEXT) | instid1(VALU_DEP_1)
	v_ashrrev_i32_e32 v28, 8, v28
	v_lshl_add_u32 v27, v28, 3, v27
	s_delay_alu instid0(VALU_DEP_1) | instskip(NEXT) | instid1(VALU_DEP_1)
	v_cmp_ne_u32_e64 s0, 7, v27
	v_cndmask_b32_e64 v15, 0xc61c4000, v15, s0
	v_cmp_ne_u32_e64 s0, 6, v27
	s_delay_alu instid0(VALU_DEP_1) | instskip(SKIP_1) | instid1(VALU_DEP_1)
	v_cndmask_b32_e64 v14, 0xc61c4000, v14, s0
	v_cmp_ne_u32_e64 s0, 5, v27
	v_cndmask_b32_e64 v13, 0xc61c4000, v13, s0
	v_cmp_ne_u32_e64 s0, 4, v27
	s_delay_alu instid0(VALU_DEP_1) | instskip(SKIP_1) | instid1(VALU_DEP_1)
	v_cndmask_b32_e64 v12, 0xc61c4000, v12, s0
	;; [unrolled: 5-line block ×3, first 2 shown]
	v_cmp_ne_u32_e64 s0, 1, v27
	v_cndmask_b32_e64 v9, 0xc61c4000, v9, s0
	v_cmp_ne_u32_e64 s0, 0, v27
	s_delay_alu instid0(VALU_DEP_1)
	v_cndmask_b32_e64 v8, 0xc61c4000, v8, s0
	s_branch .LBB124_8
.LBB124_35:
                                        ; implicit-def: $vgpr8_vgpr9_vgpr10_vgpr11_vgpr12_vgpr13_vgpr14_vgpr15
	s_and_not1_b32 vcc_lo, exec_lo, s8
	s_cbranch_vccz .LBB124_5
	s_branch .LBB124_6
.LBB124_36:
	v_mov_b32_e32 v24, 0
.LBB124_37:
	v_cmp_eq_u32_e64 s0, 0, v17
	s_delay_alu instid0(VALU_DEP_1) | instskip(NEXT) | instid1(SALU_CYCLE_1)
	s_and_b32 s0, s0, vcc_lo
	s_and_b32 exec_lo, exec_lo, s0
	s_cbranch_execz .LBB124_41
; %bb.38:
	s_and_not1_b32 vcc_lo, exec_lo, s3
	s_cbranch_vccnz .LBB124_41
; %bb.39:
	v_mul_lo_u32 v0, v16, s4
	v_cmp_lt_f32_e32 vcc_lo, 0, v24
	v_cndmask_b32_e32 v2, 1.0, v24, vcc_lo
	s_delay_alu instid0(VALU_DEP_3) | instskip(NEXT) | instid1(VALU_DEP_1)
	v_ashrrev_i32_e32 v1, 31, v0
	v_lshlrev_b64 v[0:1], 2, v[0:1]
	s_delay_alu instid0(VALU_DEP_1) | instskip(NEXT) | instid1(VALU_DEP_2)
	v_add_co_u32 v0, vcc_lo, s12, v0
	v_add_co_ci_u32_e32 v1, vcc_lo, s13, v1, vcc_lo
	.p2align	6
.LBB124_40:                             ; =>This Inner Loop Header: Depth=1
	global_load_b32 v3, v[0:1], off
	s_add_i32 s4, s4, -1
	s_delay_alu instid0(SALU_CYCLE_1) | instskip(SKIP_3) | instid1(VALU_DEP_2)
	s_cmp_lg_u32 s4, 0
	s_waitcnt vmcnt(0)
	v_div_scale_f32 v4, null, v2, v2, v3
	v_div_scale_f32 v7, vcc_lo, v3, v2, v3
	v_rcp_f32_e32 v5, v4
	s_waitcnt_depctr 0xfff
	v_fma_f32 v6, -v4, v5, 1.0
	s_delay_alu instid0(VALU_DEP_1) | instskip(NEXT) | instid1(VALU_DEP_1)
	v_fmac_f32_e32 v5, v6, v5
	v_mul_f32_e32 v6, v7, v5
	s_delay_alu instid0(VALU_DEP_1) | instskip(NEXT) | instid1(VALU_DEP_1)
	v_fma_f32 v8, -v4, v6, v7
	v_fmac_f32_e32 v6, v8, v5
	s_delay_alu instid0(VALU_DEP_1) | instskip(NEXT) | instid1(VALU_DEP_1)
	v_fma_f32 v4, -v4, v6, v7
	v_div_fmas_f32 v4, v4, v5, v6
	s_delay_alu instid0(VALU_DEP_1)
	v_div_fixup_f32 v3, v4, v2, v3
	global_store_b32 v[0:1], v3, off
	v_add_co_u32 v0, vcc_lo, v0, 4
	v_add_co_ci_u32_e32 v1, vcc_lo, 0, v1, vcc_lo
	s_cbranch_scc1 .LBB124_40
.LBB124_41:
	s_nop 0
	s_sendmsg sendmsg(MSG_DEALLOC_VGPRS)
	s_endpgm
	.section	.rodata,"a",@progbits
	.p2align	6, 0x0
	.amdhsa_kernel _ZN4vllm3moe10topkGatingILi8ELi256ELi4ELi16ELi32El6__halfLNS0_11ScoringFuncE0EEEvPKT5_PKbPfiPT4_PiiiibPKf
		.amdhsa_group_segment_fixed_size 0
		.amdhsa_private_segment_fixed_size 0
		.amdhsa_kernarg_size 72
		.amdhsa_user_sgpr_count 15
		.amdhsa_user_sgpr_dispatch_ptr 0
		.amdhsa_user_sgpr_queue_ptr 0
		.amdhsa_user_sgpr_kernarg_segment_ptr 1
		.amdhsa_user_sgpr_dispatch_id 0
		.amdhsa_user_sgpr_private_segment_size 0
		.amdhsa_wavefront_size32 1
		.amdhsa_uses_dynamic_stack 0
		.amdhsa_enable_private_segment 0
		.amdhsa_system_sgpr_workgroup_id_x 1
		.amdhsa_system_sgpr_workgroup_id_y 0
		.amdhsa_system_sgpr_workgroup_id_z 0
		.amdhsa_system_sgpr_workgroup_info 0
		.amdhsa_system_vgpr_workitem_id 1
		.amdhsa_next_free_vgpr 39
		.amdhsa_next_free_sgpr 18
		.amdhsa_reserve_vcc 1
		.amdhsa_float_round_mode_32 0
		.amdhsa_float_round_mode_16_64 0
		.amdhsa_float_denorm_mode_32 3
		.amdhsa_float_denorm_mode_16_64 3
		.amdhsa_dx10_clamp 1
		.amdhsa_ieee_mode 1
		.amdhsa_fp16_overflow 0
		.amdhsa_workgroup_processor_mode 1
		.amdhsa_memory_ordered 1
		.amdhsa_forward_progress 0
		.amdhsa_shared_vgpr_count 0
		.amdhsa_exception_fp_ieee_invalid_op 0
		.amdhsa_exception_fp_denorm_src 0
		.amdhsa_exception_fp_ieee_div_zero 0
		.amdhsa_exception_fp_ieee_overflow 0
		.amdhsa_exception_fp_ieee_underflow 0
		.amdhsa_exception_fp_ieee_inexact 0
		.amdhsa_exception_int_div_zero 0
	.end_amdhsa_kernel
	.section	.text._ZN4vllm3moe10topkGatingILi8ELi256ELi4ELi16ELi32El6__halfLNS0_11ScoringFuncE0EEEvPKT5_PKbPfiPT4_PiiiibPKf,"axG",@progbits,_ZN4vllm3moe10topkGatingILi8ELi256ELi4ELi16ELi32El6__halfLNS0_11ScoringFuncE0EEEvPKT5_PKbPfiPT4_PiiiibPKf,comdat
.Lfunc_end124:
	.size	_ZN4vllm3moe10topkGatingILi8ELi256ELi4ELi16ELi32El6__halfLNS0_11ScoringFuncE0EEEvPKT5_PKbPfiPT4_PiiiibPKf, .Lfunc_end124-_ZN4vllm3moe10topkGatingILi8ELi256ELi4ELi16ELi32El6__halfLNS0_11ScoringFuncE0EEEvPKT5_PKbPfiPT4_PiiiibPKf
                                        ; -- End function
	.section	.AMDGPU.csdata,"",@progbits
; Kernel info:
; codeLenInByte = 3588
; NumSgprs: 20
; NumVgprs: 39
; ScratchSize: 0
; MemoryBound: 0
; FloatMode: 240
; IeeeMode: 1
; LDSByteSize: 0 bytes/workgroup (compile time only)
; SGPRBlocks: 2
; VGPRBlocks: 4
; NumSGPRsForWavesPerEU: 20
; NumVGPRsForWavesPerEU: 39
; Occupancy: 16
; WaveLimiterHint : 0
; COMPUTE_PGM_RSRC2:SCRATCH_EN: 0
; COMPUTE_PGM_RSRC2:USER_SGPR: 15
; COMPUTE_PGM_RSRC2:TRAP_HANDLER: 0
; COMPUTE_PGM_RSRC2:TGID_X_EN: 1
; COMPUTE_PGM_RSRC2:TGID_Y_EN: 0
; COMPUTE_PGM_RSRC2:TGID_Z_EN: 0
; COMPUTE_PGM_RSRC2:TIDIG_COMP_CNT: 1
	.section	.text._ZN4vllm3moe10topkGatingILi8ELi512ELi4ELi16ELi64El6__halfLNS0_11ScoringFuncE0EEEvPKT5_PKbPfiPT4_PiiiibPKf,"axG",@progbits,_ZN4vllm3moe10topkGatingILi8ELi512ELi4ELi16ELi64El6__halfLNS0_11ScoringFuncE0EEEvPKT5_PKbPfiPT4_PiiiibPKf,comdat
	.protected	_ZN4vllm3moe10topkGatingILi8ELi512ELi4ELi16ELi64El6__halfLNS0_11ScoringFuncE0EEEvPKT5_PKbPfiPT4_PiiiibPKf ; -- Begin function _ZN4vllm3moe10topkGatingILi8ELi512ELi4ELi16ELi64El6__halfLNS0_11ScoringFuncE0EEEvPKT5_PKbPfiPT4_PiiiibPKf
	.globl	_ZN4vllm3moe10topkGatingILi8ELi512ELi4ELi16ELi64El6__halfLNS0_11ScoringFuncE0EEEvPKT5_PKbPfiPT4_PiiiibPKf
	.p2align	8
	.type	_ZN4vllm3moe10topkGatingILi8ELi512ELi4ELi16ELi64El6__halfLNS0_11ScoringFuncE0EEEvPKT5_PKbPfiPT4_PiiiibPKf,@function
_ZN4vllm3moe10topkGatingILi8ELi512ELi4ELi16ELi64El6__halfLNS0_11ScoringFuncE0EEEvPKT5_PKbPfiPT4_PiiiibPKf: ; @_ZN4vllm3moe10topkGatingILi8ELi512ELi4ELi16ELi64El6__halfLNS0_11ScoringFuncE0EEEvPKT5_PKbPfiPT4_PiiiibPKf
; %bb.0:
	s_load_b32 s14, s[0:1], 0x18
	v_and_b32_e32 v1, 0x3ff, v0
	v_bfe_u32 v0, v0, 10, 10
	s_lshl_b32 s2, s15, 2
	s_delay_alu instid0(VALU_DEP_2) | instskip(NEXT) | instid1(VALU_DEP_1)
	v_lshrrev_b32_e32 v2, 6, v1
	v_add3_u32 v16, s2, v0, v2
	s_mov_b32 s2, exec_lo
	s_waitcnt lgkmcnt(0)
	s_delay_alu instid0(VALU_DEP_1)
	v_cmpx_gt_i32_e64 s14, v16
	s_cbranch_execz .LBB125_45
; %bb.1:
	s_clause 0x1
	s_load_b128 s[4:7], s[0:1], 0x0
	s_load_b64 s[12:13], s[0:1], 0x10
	s_mov_b32 s8, -1
	s_mov_b32 s15, -1
	s_waitcnt lgkmcnt(0)
	s_cmp_eq_u64 s[6:7], 0
	s_cbranch_scc1 .LBB125_3
; %bb.2:
	v_ashrrev_i32_e32 v0, 31, v16
	v_add_co_u32 v2, vcc_lo, s6, v16
	s_delay_alu instid0(VALU_DEP_2) | instskip(SKIP_3) | instid1(VALU_DEP_1)
	v_add_co_ci_u32_e32 v3, vcc_lo, s7, v0, vcc_lo
	global_load_u8 v0, v[2:3], off
	s_waitcnt vmcnt(0)
	v_and_b32_e32 v0, 1, v0
	v_cmp_eq_u32_e32 vcc_lo, 1, v0
	s_xor_b32 s2, vcc_lo, -1
	s_delay_alu instid0(SALU_CYCLE_1)
	s_or_not1_b32 s15, s2, exec_lo
.LBB125_3:
	v_mbcnt_lo_u32_b32 v6, -1, 0
	v_and_b32_e32 v17, 63, v1
	s_load_b64 s[2:3], s[0:1], 0x40
	s_delay_alu instid0(VALU_DEP_2) | instskip(SKIP_2) | instid1(VALU_DEP_2)
	v_or_b32_e32 v9, 32, v6
	v_lshlrev_b32_e32 v2, 9, v16
	v_xor_b32_e32 v11, 16, v6
	v_ashrrev_i32_e32 v3, 31, v2
	s_delay_alu instid0(VALU_DEP_1) | instskip(SKIP_3) | instid1(VALU_DEP_2)
	v_lshlrev_b64 v[0:1], 1, v[2:3]
	v_lshlrev_b32_e32 v2, 4, v17
	s_waitcnt lgkmcnt(0)
	s_cmp_eq_u64 s[2:3], 0
	v_add_co_u32 v0, vcc_lo, s4, v0
	s_delay_alu instid0(VALU_DEP_3) | instskip(NEXT) | instid1(VALU_DEP_2)
	v_add_co_ci_u32_e32 v1, vcc_lo, s5, v1, vcc_lo
	v_add_co_u32 v0, vcc_lo, v0, v2
	s_delay_alu instid0(VALU_DEP_2)
	v_add_co_ci_u32_e32 v1, vcc_lo, 0, v1, vcc_lo
	v_cmp_gt_i32_e32 vcc_lo, 64, v9
	global_load_b128 v[0:3], v[0:1], off
	v_cndmask_b32_e32 v9, v6, v9, vcc_lo
	v_cmp_gt_i32_e32 vcc_lo, 64, v11
	v_cndmask_b32_e32 v11, v6, v11, vcc_lo
	s_waitcnt vmcnt(0)
	v_lshrrev_b32_e32 v4, 16, v0
	v_cvt_f32_f16_e32 v0, v0
	v_lshrrev_b32_e32 v5, 16, v1
	v_cvt_f32_f16_e32 v1, v1
	;; [unrolled: 2-line block ×3, first 2 shown]
	v_cvt_f32_f16_e32 v2, v2
	v_cvt_f32_f16_e32 v5, v5
	v_lshrrev_b32_e32 v10, 16, v3
	v_cvt_f32_f16_e32 v7, v7
	v_max_f32_e32 v8, v0, v4
	v_cvt_f32_f16_e32 v3, v3
	s_delay_alu instid0(VALU_DEP_4) | instskip(NEXT) | instid1(VALU_DEP_3)
	v_cvt_f32_f16_e32 v10, v10
	v_max3_f32 v8, v8, v1, v5
	s_delay_alu instid0(VALU_DEP_1) | instskip(NEXT) | instid1(VALU_DEP_1)
	v_max3_f32 v8, v8, v2, v7
	v_max3_f32 v8, v8, v3, v10
	v_lshlrev_b32_e32 v19, 2, v11
	v_xor_b32_e32 v11, 8, v6
	s_delay_alu instid0(VALU_DEP_1) | instskip(SKIP_4) | instid1(VALU_DEP_1)
	v_cmp_gt_i32_e32 vcc_lo, 64, v11
	v_dual_cndmask_b32 v11, v6, v11 :: v_dual_lshlrev_b32 v18, 2, v9
	ds_bpermute_b32 v9, v18, v8
	v_lshlrev_b32_e32 v20, 2, v11
	v_xor_b32_e32 v11, 4, v6
	v_cmp_gt_i32_e32 vcc_lo, 64, v11
	v_cndmask_b32_e32 v11, v6, v11, vcc_lo
	s_waitcnt lgkmcnt(0)
	v_max_f32_e32 v9, v9, v9
	s_delay_alu instid0(VALU_DEP_2) | instskip(SKIP_1) | instid1(VALU_DEP_3)
	v_lshlrev_b32_e32 v21, 2, v11
	v_xor_b32_e32 v11, 2, v6
	v_max_f32_e32 v8, v8, v9
	s_delay_alu instid0(VALU_DEP_2) | instskip(SKIP_2) | instid1(VALU_DEP_1)
	v_cmp_gt_i32_e32 vcc_lo, 64, v11
	ds_bpermute_b32 v9, v19, v8
	v_cndmask_b32_e32 v11, v6, v11, vcc_lo
	v_lshlrev_b32_e32 v22, 2, v11
	v_xor_b32_e32 v11, 1, v6
	s_delay_alu instid0(VALU_DEP_1) | instskip(SKIP_2) | instid1(VALU_DEP_1)
	v_cmp_gt_i32_e32 vcc_lo, 64, v11
	s_waitcnt lgkmcnt(0)
	v_dual_cndmask_b32 v6, v6, v11 :: v_dual_max_f32 v9, v9, v9
	v_dual_max_f32 v8, v8, v9 :: v_dual_lshlrev_b32 v23, 2, v6
	ds_bpermute_b32 v9, v20, v8
	s_waitcnt lgkmcnt(0)
	v_max_f32_e32 v9, v9, v9
	s_delay_alu instid0(VALU_DEP_1) | instskip(SKIP_3) | instid1(VALU_DEP_1)
	v_max_f32_e32 v8, v8, v9
	ds_bpermute_b32 v9, v21, v8
	s_waitcnt lgkmcnt(0)
	v_max_f32_e32 v9, v9, v9
	v_max_f32_e32 v8, v8, v9
	ds_bpermute_b32 v9, v22, v8
	s_waitcnt lgkmcnt(0)
	v_max_f32_e32 v9, v9, v9
	s_delay_alu instid0(VALU_DEP_1) | instskip(SKIP_3) | instid1(VALU_DEP_1)
	v_max_f32_e32 v6, v8, v9
	ds_bpermute_b32 v8, v23, v6
	s_waitcnt lgkmcnt(0)
	v_max_f32_e32 v8, v8, v8
	v_max_f32_e32 v6, v6, v8
	s_delay_alu instid0(VALU_DEP_1) | instskip(NEXT) | instid1(VALU_DEP_1)
	v_sub_f32_e32 v5, v5, v6
	v_dual_sub_f32 v4, v4, v6 :: v_dual_mul_f32 v11, 0x3fb8aa3b, v5
	s_delay_alu instid0(VALU_DEP_1) | instskip(SKIP_1) | instid1(VALU_DEP_3)
	v_dual_sub_f32 v0, v0, v6 :: v_dual_mul_f32 v9, 0x3fb8aa3b, v4
	v_sub_f32_e32 v1, v1, v6
	v_rndne_f32_e32 v31, v11
	s_delay_alu instid0(VALU_DEP_3) | instskip(NEXT) | instid1(VALU_DEP_4)
	v_mul_f32_e32 v8, 0x3fb8aa3b, v0
	v_rndne_f32_e32 v27, v9
	v_fma_f32 v26, 0x3fb8aa3b, v4, -v9
	v_cmp_ngt_f32_e32 vcc_lo, 0xc2ce8ed0, v0
	s_delay_alu instid0(VALU_DEP_4)
	v_fma_f32 v24, 0x3fb8aa3b, v0, -v8
	v_sub_f32_e32 v3, v3, v6
	v_rndne_f32_e32 v25, v8
	v_sub_f32_e32 v9, v9, v27
	v_cvt_i32_f32_e32 v27, v27
	v_dual_fmac_f32 v24, 0x32a5705f, v0 :: v_dual_sub_f32 v7, v7, v6
	v_mul_f32_e32 v14, 0x3fb8aa3b, v3
	v_sub_f32_e32 v2, v2, v6
	v_sub_f32_e32 v6, v10, v6
	s_delay_alu instid0(VALU_DEP_4) | instskip(SKIP_2) | instid1(VALU_DEP_4)
	v_dual_mul_f32 v10, 0x3fb8aa3b, v1 :: v_dual_mul_f32 v13, 0x3fb8aa3b, v7
	v_sub_f32_e32 v8, v8, v25
	v_cvt_i32_f32_e32 v25, v25
	v_mul_f32_e32 v15, 0x3fb8aa3b, v6
	s_delay_alu instid0(VALU_DEP_4)
	v_fma_f32 v28, 0x3fb8aa3b, v1, -v10
	v_fma_f32 v34, 0x3fb8aa3b, v7, -v13
	v_rndne_f32_e32 v29, v10
	v_rndne_f32_e32 v35, v13
	v_fma_f32 v38, 0x3fb8aa3b, v6, -v15
	v_rndne_f32_e32 v39, v15
	v_fmac_f32_e32 v28, 0x32a5705f, v1
	s_delay_alu instid0(VALU_DEP_4) | instskip(NEXT) | instid1(VALU_DEP_3)
	v_dual_fmac_f32 v26, 0x32a5705f, v4 :: v_dual_sub_f32 v13, v13, v35
	v_dual_fmac_f32 v38, 0x32a5705f, v6 :: v_dual_sub_f32 v15, v15, v39
	v_fmac_f32_e32 v34, 0x32a5705f, v7
	v_add_f32_e32 v8, v8, v24
	s_delay_alu instid0(VALU_DEP_4) | instskip(NEXT) | instid1(VALU_DEP_4)
	v_dual_sub_f32 v10, v10, v29 :: v_dual_add_f32 v9, v9, v26
	v_add_f32_e32 v15, v15, v38
	v_cvt_i32_f32_e32 v26, v39
	s_delay_alu instid0(VALU_DEP_4)
	v_exp_f32_e32 v8, v8
	v_mul_f32_e32 v12, 0x3fb8aa3b, v2
	v_exp_f32_e32 v9, v9
	v_exp_f32_e32 v15, v15
	v_fma_f32 v30, 0x3fb8aa3b, v5, -v11
	v_sub_f32_e32 v11, v11, v31
	v_fma_f32 v32, 0x3fb8aa3b, v2, -v12
	v_rndne_f32_e32 v33, v12
	v_cvt_i32_f32_e32 v29, v29
	v_dual_fmac_f32 v30, 0x32a5705f, v5 :: v_dual_add_f32 v13, v13, v34
	v_ldexp_f32 v8, v8, v25
	s_delay_alu instid0(TRANS32_DEP_2) | instskip(NEXT) | instid1(TRANS32_DEP_1)
	v_ldexp_f32 v9, v9, v27
	v_ldexp_f32 v15, v15, v26
	v_add_f32_e32 v10, v10, v28
	v_dual_sub_f32 v12, v12, v33 :: v_dual_add_f32 v11, v11, v30
	v_cndmask_b32_e32 v8, 0, v8, vcc_lo
	v_cmp_ngt_f32_e32 vcc_lo, 0xc2ce8ed0, v4
	s_delay_alu instid0(VALU_DEP_4)
	v_exp_f32_e32 v10, v10
	v_fmac_f32_e32 v32, 0x32a5705f, v2
	v_exp_f32_e32 v11, v11
	v_cvt_i32_f32_e32 v31, v31
	v_cndmask_b32_e32 v9, 0, v9, vcc_lo
	v_cmp_ngt_f32_e32 vcc_lo, 0xc2ce8ed0, v1
	v_add_f32_e32 v12, v12, v32
	v_fma_f32 v36, 0x3fb8aa3b, v3, -v14
	v_rndne_f32_e32 v37, v14
	v_cvt_i32_f32_e32 v33, v33
	v_ldexp_f32 v10, v10, v29
	v_exp_f32_e32 v12, v12
	v_ldexp_f32 v11, v11, v31
	v_exp_f32_e32 v13, v13
	v_cvt_i32_f32_e32 v35, v35
	v_cndmask_b32_e32 v10, 0, v10, vcc_lo
	v_cmp_nlt_f32_e32 vcc_lo, 0x42b17218, v0
	v_cvt_i32_f32_e32 v24, v37
	v_cndmask_b32_e32 v0, 0x7f800000, v8, vcc_lo
	v_cmp_nlt_f32_e32 vcc_lo, 0x42b17218, v4
	s_delay_alu instid0(TRANS32_DEP_2) | instskip(NEXT) | instid1(TRANS32_DEP_1)
	v_ldexp_f32 v12, v12, v33
	v_ldexp_f32 v13, v13, v35
	v_cndmask_b32_e32 v4, 0x7f800000, v9, vcc_lo
	v_cmp_ngt_f32_e32 vcc_lo, 0xc2ce8ed0, v5
	s_delay_alu instid0(VALU_DEP_2) | instskip(SKIP_4) | instid1(VALU_DEP_2)
	v_dual_fmac_f32 v36, 0x32a5705f, v3 :: v_dual_add_f32 v9, v0, v4
	v_cndmask_b32_e32 v8, 0, v11, vcc_lo
	v_cmp_nlt_f32_e32 vcc_lo, 0x42b17218, v1
	v_dual_sub_f32 v14, v14, v37 :: v_dual_cndmask_b32 v1, 0x7f800000, v10
	v_cmp_ngt_f32_e32 vcc_lo, 0xc2ce8ed0, v2
	v_add_f32_e32 v14, v14, v36
	v_cndmask_b32_e32 v10, 0, v12, vcc_lo
	v_cmp_nlt_f32_e32 vcc_lo, 0x42b17218, v5
	s_delay_alu instid0(VALU_DEP_3)
	v_exp_f32_e32 v14, v14
	v_dual_cndmask_b32 v5, 0x7f800000, v8 :: v_dual_add_f32 v8, v9, v1
	v_cmp_ngt_f32_e32 vcc_lo, 0xc2ce8ed0, v7
	s_waitcnt_depctr 0xfff
	v_ldexp_f32 v14, v14, v24
	v_cndmask_b32_e32 v9, 0, v13, vcc_lo
	v_cmp_nlt_f32_e32 vcc_lo, 0x42b17218, v2
	v_add_f32_e32 v8, v8, v5
	v_lshlrev_b32_e32 v24, 3, v17
	v_cndmask_b32_e32 v2, 0x7f800000, v10, vcc_lo
	v_cmp_ngt_f32_e32 vcc_lo, 0xc2ce8ed0, v3
	s_delay_alu instid0(VALU_DEP_2) | instskip(SKIP_4) | instid1(VALU_DEP_2)
	v_add_f32_e32 v8, v8, v2
	v_cndmask_b32_e32 v10, 0, v14, vcc_lo
	v_cmp_nlt_f32_e32 vcc_lo, 0x42b17218, v7
	v_cndmask_b32_e32 v7, 0x7f800000, v9, vcc_lo
	v_cmp_ngt_f32_e32 vcc_lo, 0xc2ce8ed0, v6
	v_add_f32_e32 v8, v8, v7
	v_cndmask_b32_e32 v9, 0, v15, vcc_lo
	v_cmp_nlt_f32_e32 vcc_lo, 0x42b17218, v3
	v_cndmask_b32_e32 v3, 0x7f800000, v10, vcc_lo
	v_cmp_nlt_f32_e32 vcc_lo, 0x42b17218, v6
	s_delay_alu instid0(VALU_DEP_2) | instskip(SKIP_1) | instid1(VALU_DEP_1)
	v_add_f32_e32 v8, v8, v3
	v_cndmask_b32_e32 v6, 0x7f800000, v9, vcc_lo
	v_add_f32_e32 v8, v8, v6
	ds_bpermute_b32 v9, v18, v8
	s_waitcnt lgkmcnt(0)
	v_add_f32_e32 v8, v8, v9
	ds_bpermute_b32 v9, v19, v8
	s_waitcnt lgkmcnt(0)
	;; [unrolled: 3-line block ×6, first 2 shown]
	v_add_f32_e32 v8, v8, v9
	s_delay_alu instid0(VALU_DEP_1) | instskip(SKIP_1) | instid1(VALU_DEP_2)
	v_div_scale_f32 v9, null, v8, v8, 1.0
	v_div_scale_f32 v12, vcc_lo, 1.0, v8, 1.0
	v_rcp_f32_e32 v10, v9
	s_waitcnt_depctr 0xfff
	v_fma_f32 v11, -v9, v10, 1.0
	s_delay_alu instid0(VALU_DEP_1) | instskip(NEXT) | instid1(VALU_DEP_1)
	v_fmac_f32_e32 v10, v11, v10
	v_mul_f32_e32 v11, v12, v10
	s_delay_alu instid0(VALU_DEP_1) | instskip(NEXT) | instid1(VALU_DEP_1)
	v_fma_f32 v13, -v9, v11, v12
	v_fmac_f32_e32 v11, v13, v10
	s_delay_alu instid0(VALU_DEP_1) | instskip(NEXT) | instid1(VALU_DEP_1)
	v_fma_f32 v9, -v9, v11, v12
	v_div_fmas_f32 v9, v9, v10, v11
	s_delay_alu instid0(VALU_DEP_1) | instskip(NEXT) | instid1(VALU_DEP_1)
	v_div_fixup_f32 v8, v9, v8, 1.0
	v_mul_f32_e32 v5, v8, v5
	v_mul_f32_e32 v0, v8, v0
	;; [unrolled: 1-line block ×6, first 2 shown]
	v_cmp_class_f32_e64 vcc_lo, v0, 0x1f8
	v_mul_f32_e32 v11, v8, v3
	v_mul_f32_e32 v8, v8, v6
	v_cndmask_b32_e32 v0, 0, v0, vcc_lo
	v_cmp_class_f32_e64 vcc_lo, v4, 0x1f8
	v_cndmask_b32_e32 v1, 0, v4, vcc_lo
	v_cmp_class_f32_e64 vcc_lo, v9, 0x1f8
	;; [unrolled: 2-line block ×7, first 2 shown]
	v_cndmask_b32_e32 v7, 0, v8, vcc_lo
	s_cbranch_scc1 .LBB125_39
; %bb.4:
	v_lshlrev_b32_e32 v12, 2, v24
	s_clause 0x1
	global_load_b128 v[8:11], v12, s[2:3]
	global_load_b128 v[12:15], v12, s[2:3] offset:16
	s_waitcnt vmcnt(1)
	v_dual_add_f32 v9, v9, v1 :: v_dual_add_f32 v8, v8, v0
	v_dual_add_f32 v11, v11, v3 :: v_dual_add_f32 v10, v10, v2
	s_waitcnt vmcnt(0)
	v_dual_add_f32 v13, v13, v5 :: v_dual_add_f32 v12, v12, v4
	v_dual_add_f32 v15, v15, v7 :: v_dual_add_f32 v14, v14, v6
	s_cbranch_execnz .LBB125_6
.LBB125_5:
	v_dual_mov_b32 v15, v7 :: v_dual_mov_b32 v14, v6
	v_dual_mov_b32 v13, v5 :: v_dual_mov_b32 v12, v4
	;; [unrolled: 1-line block ×4, first 2 shown]
.LBB125_6:
	s_load_b128 s[4:7], s[0:1], 0x30
	v_cmp_eq_u32_e64 s2, 0, v17
	s_waitcnt lgkmcnt(0)
	s_bitcmp1_b32 s7, 0
	s_mov_b32 s7, 0
	s_cselect_b32 vcc_lo, -1, 0
	s_cmp_gt_i32 s4, 0
	s_cselect_b32 s3, -1, 0
	s_cmp_lt_i32 s4, 1
	s_cbranch_scc1 .LBB125_40
; %bb.7:
	s_load_b128 s[8:11], s[0:1], 0x20
	v_mul_lo_u32 v26, v16, s4
	v_mov_b32_e32 v25, 0
	v_mov_b32_e32 v27, v16
	s_branch .LBB125_10
.LBB125_8:                              ;   in Loop: Header=BB125_10 Depth=1
	s_or_b32 exec_lo, exec_lo, s1
.LBB125_9:                              ;   in Loop: Header=BB125_10 Depth=1
	v_add_nc_u32_e32 v27, s14, v27
	s_cmp_eq_u32 s4, s7
	s_cbranch_scc1 .LBB125_41
.LBB125_10:                             ; =>This Inner Loop Header: Depth=1
	v_cmp_gt_f32_e64 s0, v9, v8
	s_mov_b32 s17, exec_lo
	s_delay_alu instid0(VALU_DEP_1) | instskip(SKIP_2) | instid1(VALU_DEP_3)
	v_cndmask_b32_e64 v28, v8, v9, s0
	v_cndmask_b32_e64 v29, 0, 1, s0
	;; [unrolled: 1-line block ×3, first 2 shown]
	v_cmp_gt_f32_e64 s1, v10, v28
	s_delay_alu instid0(VALU_DEP_1) | instskip(NEXT) | instid1(VALU_DEP_4)
	v_cndmask_b32_e64 v28, v28, v10, s1
	v_cndmask_b32_e64 v29, v29, 2, s1
	s_delay_alu instid0(VALU_DEP_4) | instskip(NEXT) | instid1(VALU_DEP_3)
	v_cndmask_b32_e64 v30, v30, v2, s1
	v_cmp_gt_f32_e64 s0, v11, v28
	s_delay_alu instid0(VALU_DEP_1) | instskip(NEXT) | instid1(VALU_DEP_4)
	v_cndmask_b32_e64 v28, v28, v11, s0
	v_cndmask_b32_e64 v29, v29, 3, s0
	s_delay_alu instid0(VALU_DEP_4) | instskip(NEXT) | instid1(VALU_DEP_3)
	v_cndmask_b32_e64 v30, v30, v3, s0
	v_cmp_gt_f32_e64 s1, v12, v28
	s_delay_alu instid0(VALU_DEP_1) | instskip(NEXT) | instid1(VALU_DEP_4)
	v_cndmask_b32_e64 v28, v28, v12, s1
	v_cndmask_b32_e64 v29, v29, 4, s1
	s_delay_alu instid0(VALU_DEP_4) | instskip(NEXT) | instid1(VALU_DEP_3)
	v_cndmask_b32_e64 v30, v30, v4, s1
	v_cmp_gt_f32_e64 s0, v13, v28
	s_delay_alu instid0(VALU_DEP_1) | instskip(NEXT) | instid1(VALU_DEP_4)
	v_cndmask_b32_e64 v28, v28, v13, s0
	v_cndmask_b32_e64 v29, v29, 5, s0
	s_delay_alu instid0(VALU_DEP_4) | instskip(NEXT) | instid1(VALU_DEP_3)
	v_cndmask_b32_e64 v30, v30, v5, s0
	v_cmp_gt_f32_e64 s1, v14, v28
	s_delay_alu instid0(VALU_DEP_1) | instskip(NEXT) | instid1(VALU_DEP_4)
	v_cndmask_b32_e64 v28, v28, v14, s1
	v_cndmask_b32_e64 v29, v29, 6, s1
	s_waitcnt lgkmcnt(0)
	v_cndmask_b32_e64 v31, v30, v6, s1
	s_delay_alu instid0(VALU_DEP_3) | instskip(NEXT) | instid1(VALU_DEP_1)
	v_cmp_gt_f32_e64 s0, v15, v28
	v_cndmask_b32_e64 v30, v28, v15, s0
	v_cndmask_b32_e64 v28, v29, 7, s0
	s_delay_alu instid0(VALU_DEP_4)
	v_cndmask_b32_e64 v29, v31, v7, s0
	ds_bpermute_b32 v31, v18, v30
	v_or_b32_e32 v28, v24, v28
	ds_bpermute_b32 v33, v18, v29
	ds_bpermute_b32 v32, v18, v28
	s_waitcnt lgkmcnt(0)
	v_cmp_lt_f32_e64 s16, v30, v31
	v_cmpx_nlt_f32_e32 v30, v31
; %bb.11:                               ;   in Loop: Header=BB125_10 Depth=1
	v_cmp_eq_f32_e64 s0, v30, v31
	v_cmp_lt_i32_e64 s1, v32, v28
	s_delay_alu instid0(VALU_DEP_1) | instskip(SKIP_2) | instid1(SALU_CYCLE_1)
	s_and_b32 s0, s0, s1
	s_and_not1_b32 s1, s16, exec_lo
	s_and_b32 s0, s0, exec_lo
	s_or_b32 s16, s1, s0
; %bb.12:                               ;   in Loop: Header=BB125_10 Depth=1
	s_or_b32 exec_lo, exec_lo, s17
	s_and_saveexec_b32 s0, s16
; %bb.13:                               ;   in Loop: Header=BB125_10 Depth=1
	v_dual_mov_b32 v29, v33 :: v_dual_mov_b32 v30, v31
	v_mov_b32_e32 v28, v32
; %bb.14:                               ;   in Loop: Header=BB125_10 Depth=1
	s_or_b32 exec_lo, exec_lo, s0
	ds_bpermute_b32 v32, v19, v30
	ds_bpermute_b32 v33, v19, v29
	;; [unrolled: 1-line block ×3, first 2 shown]
	s_mov_b32 s17, exec_lo
	s_waitcnt lgkmcnt(2)
	v_cmp_lt_f32_e64 s16, v30, v32
	v_cmpx_nlt_f32_e32 v30, v32
	s_cbranch_execz .LBB125_16
; %bb.15:                               ;   in Loop: Header=BB125_10 Depth=1
	v_cmp_eq_f32_e64 s0, v30, v32
	s_waitcnt lgkmcnt(0)
	v_cmp_lt_i32_e64 s1, v31, v28
	s_delay_alu instid0(VALU_DEP_1) | instskip(SKIP_2) | instid1(SALU_CYCLE_1)
	s_and_b32 s0, s0, s1
	s_and_not1_b32 s1, s16, exec_lo
	s_and_b32 s0, s0, exec_lo
	s_or_b32 s16, s1, s0
.LBB125_16:                             ;   in Loop: Header=BB125_10 Depth=1
	s_or_b32 exec_lo, exec_lo, s17
	s_delay_alu instid0(VALU_DEP_2)
	s_and_saveexec_b32 s0, s16
	s_cbranch_execz .LBB125_18
; %bb.17:                               ;   in Loop: Header=BB125_10 Depth=1
	s_waitcnt lgkmcnt(1)
	v_dual_mov_b32 v29, v33 :: v_dual_mov_b32 v30, v32
	s_waitcnt lgkmcnt(0)
	v_mov_b32_e32 v28, v31
.LBB125_18:                             ;   in Loop: Header=BB125_10 Depth=1
	s_or_b32 exec_lo, exec_lo, s0
	ds_bpermute_b32 v32, v20, v30
	s_waitcnt lgkmcnt(2)
	ds_bpermute_b32 v33, v20, v29
	s_waitcnt lgkmcnt(2)
	ds_bpermute_b32 v31, v20, v28
	s_mov_b32 s17, exec_lo
	s_waitcnt lgkmcnt(2)
	v_cmp_lt_f32_e64 s16, v30, v32
	v_cmpx_nlt_f32_e32 v30, v32
	s_cbranch_execz .LBB125_20
; %bb.19:                               ;   in Loop: Header=BB125_10 Depth=1
	v_cmp_eq_f32_e64 s0, v30, v32
	s_waitcnt lgkmcnt(0)
	v_cmp_lt_i32_e64 s1, v31, v28
	s_delay_alu instid0(VALU_DEP_1) | instskip(SKIP_2) | instid1(SALU_CYCLE_1)
	s_and_b32 s0, s0, s1
	s_and_not1_b32 s1, s16, exec_lo
	s_and_b32 s0, s0, exec_lo
	s_or_b32 s16, s1, s0
.LBB125_20:                             ;   in Loop: Header=BB125_10 Depth=1
	s_or_b32 exec_lo, exec_lo, s17
	s_delay_alu instid0(VALU_DEP_2)
	s_and_saveexec_b32 s0, s16
	s_cbranch_execz .LBB125_22
; %bb.21:                               ;   in Loop: Header=BB125_10 Depth=1
	s_waitcnt lgkmcnt(1)
	v_dual_mov_b32 v29, v33 :: v_dual_mov_b32 v30, v32
	s_waitcnt lgkmcnt(0)
	v_mov_b32_e32 v28, v31
.LBB125_22:                             ;   in Loop: Header=BB125_10 Depth=1
	s_or_b32 exec_lo, exec_lo, s0
	ds_bpermute_b32 v32, v21, v30
	s_waitcnt lgkmcnt(2)
	ds_bpermute_b32 v33, v21, v29
	s_waitcnt lgkmcnt(2)
	ds_bpermute_b32 v31, v21, v28
	;; [unrolled: 31-line block ×3, first 2 shown]
	s_mov_b32 s17, exec_lo
	s_waitcnt lgkmcnt(2)
	v_cmp_lt_f32_e64 s16, v30, v32
	v_cmpx_nlt_f32_e32 v30, v32
	s_cbranch_execz .LBB125_28
; %bb.27:                               ;   in Loop: Header=BB125_10 Depth=1
	v_cmp_eq_f32_e64 s0, v30, v32
	s_waitcnt lgkmcnt(0)
	v_cmp_lt_i32_e64 s1, v31, v28
	s_delay_alu instid0(VALU_DEP_1) | instskip(SKIP_2) | instid1(SALU_CYCLE_1)
	s_and_b32 s0, s0, s1
	s_and_not1_b32 s1, s16, exec_lo
	s_and_b32 s0, s0, exec_lo
	s_or_b32 s16, s1, s0
.LBB125_28:                             ;   in Loop: Header=BB125_10 Depth=1
	s_or_b32 exec_lo, exec_lo, s17
	s_delay_alu instid0(VALU_DEP_2)
	s_and_saveexec_b32 s0, s16
	s_cbranch_execz .LBB125_30
; %bb.29:                               ;   in Loop: Header=BB125_10 Depth=1
	s_waitcnt lgkmcnt(1)
	v_dual_mov_b32 v29, v33 :: v_dual_mov_b32 v30, v32
	s_waitcnt lgkmcnt(0)
	v_mov_b32_e32 v28, v31
.LBB125_30:                             ;   in Loop: Header=BB125_10 Depth=1
	s_or_b32 exec_lo, exec_lo, s0
	s_waitcnt lgkmcnt(1)
	ds_bpermute_b32 v33, v23, v30
	ds_bpermute_b32 v32, v23, v29
	s_waitcnt lgkmcnt(2)
	ds_bpermute_b32 v31, v23, v28
	s_mov_b32 s17, exec_lo
	s_waitcnt lgkmcnt(2)
	v_cmp_lt_f32_e64 s16, v30, v33
	v_cmpx_nlt_f32_e32 v30, v33
	s_cbranch_execnz .LBB125_34
; %bb.31:                               ;   in Loop: Header=BB125_10 Depth=1
	s_or_b32 exec_lo, exec_lo, s17
	s_delay_alu instid0(VALU_DEP_2)
	s_and_saveexec_b32 s0, s16
	s_cbranch_execnz .LBB125_35
.LBB125_32:                             ;   in Loop: Header=BB125_10 Depth=1
	s_or_b32 exec_lo, exec_lo, s0
	s_and_saveexec_b32 s16, s2
	s_cbranch_execnz .LBB125_36
.LBB125_33:                             ;   in Loop: Header=BB125_10 Depth=1
	s_or_b32 exec_lo, exec_lo, s16
	s_add_i32 s7, s7, 1
	s_delay_alu instid0(SALU_CYCLE_1)
	s_cmp_ge_i32 s7, s4
	s_cbranch_scc1 .LBB125_9
	s_branch .LBB125_37
.LBB125_34:                             ;   in Loop: Header=BB125_10 Depth=1
	v_cmp_eq_f32_e64 s0, v30, v33
	s_waitcnt lgkmcnt(0)
	v_cmp_lt_i32_e64 s1, v31, v28
	s_delay_alu instid0(VALU_DEP_1) | instskip(SKIP_2) | instid1(SALU_CYCLE_1)
	s_and_b32 s0, s0, s1
	s_and_not1_b32 s1, s16, exec_lo
	s_and_b32 s0, s0, exec_lo
	s_or_b32 s16, s1, s0
	s_or_b32 exec_lo, exec_lo, s17
	s_and_saveexec_b32 s0, s16
	s_cbranch_execz .LBB125_32
.LBB125_35:                             ;   in Loop: Header=BB125_10 Depth=1
	s_waitcnt lgkmcnt(0)
	v_dual_mov_b32 v29, v32 :: v_dual_mov_b32 v28, v31
	s_or_b32 exec_lo, exec_lo, s0
	s_and_saveexec_b32 s16, s2
	s_cbranch_execz .LBB125_33
.LBB125_36:                             ;   in Loop: Header=BB125_10 Depth=1
	v_add_nc_u32_e32 v30, s7, v26
	v_subrev_nc_u32_e32 v34, s5, v28
	v_cmp_le_i32_e64 s0, s5, v28
	v_cmp_gt_i32_e64 s1, s6, v28
	v_add_f32_e32 v38, v25, v29
	s_waitcnt lgkmcnt(0)
	v_ashrrev_i32_e32 v31, 31, v30
	v_ashrrev_i32_e32 v35, 31, v34
	s_and_b32 s0, s0, s1
	v_cndmask_b32_e32 v25, v25, v38, vcc_lo
	s_delay_alu instid0(VALU_DEP_3) | instskip(SKIP_2) | instid1(SALU_CYCLE_1)
	v_lshlrev_b64 v[32:33], 2, v[30:31]
	v_lshlrev_b64 v[30:31], 3, v[30:31]
	s_and_b32 s0, s15, s0
	v_cndmask_b32_e64 v35, 0, v35, s0
	v_cndmask_b32_e64 v34, 0x200, v34, s0
	s_delay_alu instid0(VALU_DEP_4) | instskip(NEXT) | instid1(VALU_DEP_1)
	v_add_co_u32 v36, s0, s12, v32
	v_add_co_ci_u32_e64 v37, s0, s13, v33, s0
	v_add_co_u32 v30, s0, s8, v30
	s_delay_alu instid0(VALU_DEP_1) | instskip(SKIP_1) | instid1(VALU_DEP_1)
	v_add_co_ci_u32_e64 v31, s0, s9, v31, s0
	v_add_co_u32 v32, s0, s10, v32
	v_add_co_ci_u32_e64 v33, s0, s11, v33, s0
	global_store_b32 v[36:37], v29, off
	global_store_b64 v[30:31], v[34:35], off
	global_store_b32 v[32:33], v27, off
	s_or_b32 exec_lo, exec_lo, s16
	s_add_i32 s7, s7, 1
	s_delay_alu instid0(SALU_CYCLE_1)
	s_cmp_ge_i32 s7, s4
	s_cbranch_scc1 .LBB125_9
.LBB125_37:                             ;   in Loop: Header=BB125_10 Depth=1
	v_ashrrev_i32_e32 v29, 31, v28
	s_mov_b32 s1, exec_lo
	s_delay_alu instid0(VALU_DEP_1) | instskip(NEXT) | instid1(VALU_DEP_1)
	v_lshrrev_b32_e32 v30, 29, v29
	v_add_nc_u32_e32 v30, v28, v30
	s_waitcnt lgkmcnt(0)
	s_delay_alu instid0(VALU_DEP_1) | instskip(SKIP_1) | instid1(VALU_DEP_2)
	v_ashrrev_i32_e32 v31, 31, v30
	v_ashrrev_i32_e32 v30, 3, v30
	v_lshrrev_b32_e32 v31, 26, v31
	s_delay_alu instid0(VALU_DEP_1) | instskip(NEXT) | instid1(VALU_DEP_1)
	v_add_nc_u32_e32 v31, v30, v31
	v_and_b32_e32 v31, 0xffffffc0, v31
	s_delay_alu instid0(VALU_DEP_1) | instskip(NEXT) | instid1(VALU_DEP_1)
	v_sub_nc_u32_e32 v31, v30, v31
	v_cmpx_eq_u32_e64 v17, v31
	s_cbranch_execz .LBB125_8
; %bb.38:                               ;   in Loop: Header=BB125_10 Depth=1
	v_lshrrev_b32_e32 v29, 23, v29
	v_lshlrev_b32_e32 v30, 3, v30
	s_delay_alu instid0(VALU_DEP_2) | instskip(NEXT) | instid1(VALU_DEP_2)
	v_add_nc_u32_e32 v29, v28, v29
	v_sub_nc_u32_e32 v28, v28, v30
	s_delay_alu instid0(VALU_DEP_2) | instskip(NEXT) | instid1(VALU_DEP_1)
	v_ashrrev_i32_e32 v29, 9, v29
	v_lshl_add_u32 v28, v29, 3, v28
	s_delay_alu instid0(VALU_DEP_1) | instskip(NEXT) | instid1(VALU_DEP_1)
	v_cmp_ne_u32_e64 s0, 7, v28
	v_cndmask_b32_e64 v15, 0xc61c4000, v15, s0
	v_cmp_ne_u32_e64 s0, 6, v28
	s_delay_alu instid0(VALU_DEP_1) | instskip(SKIP_1) | instid1(VALU_DEP_1)
	v_cndmask_b32_e64 v14, 0xc61c4000, v14, s0
	v_cmp_ne_u32_e64 s0, 5, v28
	v_cndmask_b32_e64 v13, 0xc61c4000, v13, s0
	v_cmp_ne_u32_e64 s0, 4, v28
	s_delay_alu instid0(VALU_DEP_1) | instskip(SKIP_1) | instid1(VALU_DEP_1)
	v_cndmask_b32_e64 v12, 0xc61c4000, v12, s0
	;; [unrolled: 5-line block ×3, first 2 shown]
	v_cmp_ne_u32_e64 s0, 1, v28
	v_cndmask_b32_e64 v9, 0xc61c4000, v9, s0
	v_cmp_ne_u32_e64 s0, 0, v28
	s_delay_alu instid0(VALU_DEP_1)
	v_cndmask_b32_e64 v8, 0xc61c4000, v8, s0
	s_branch .LBB125_8
.LBB125_39:
                                        ; implicit-def: $vgpr8_vgpr9_vgpr10_vgpr11_vgpr12_vgpr13_vgpr14_vgpr15
	s_and_not1_b32 vcc_lo, exec_lo, s8
	s_cbranch_vccz .LBB125_5
	s_branch .LBB125_6
.LBB125_40:
	v_mov_b32_e32 v25, 0
.LBB125_41:
	v_cmp_eq_u32_e64 s0, 0, v17
	s_delay_alu instid0(VALU_DEP_1) | instskip(NEXT) | instid1(SALU_CYCLE_1)
	s_and_b32 s0, s0, vcc_lo
	s_and_b32 exec_lo, exec_lo, s0
	s_cbranch_execz .LBB125_45
; %bb.42:
	s_and_not1_b32 vcc_lo, exec_lo, s3
	s_cbranch_vccnz .LBB125_45
; %bb.43:
	v_mul_lo_u32 v0, v16, s4
	v_cmp_lt_f32_e32 vcc_lo, 0, v25
	v_cndmask_b32_e32 v2, 1.0, v25, vcc_lo
	s_delay_alu instid0(VALU_DEP_3) | instskip(NEXT) | instid1(VALU_DEP_1)
	v_ashrrev_i32_e32 v1, 31, v0
	v_lshlrev_b64 v[0:1], 2, v[0:1]
	s_delay_alu instid0(VALU_DEP_1) | instskip(NEXT) | instid1(VALU_DEP_2)
	v_add_co_u32 v0, vcc_lo, s12, v0
	v_add_co_ci_u32_e32 v1, vcc_lo, s13, v1, vcc_lo
	.p2align	6
.LBB125_44:                             ; =>This Inner Loop Header: Depth=1
	global_load_b32 v3, v[0:1], off
	s_add_i32 s4, s4, -1
	s_delay_alu instid0(SALU_CYCLE_1) | instskip(SKIP_3) | instid1(VALU_DEP_2)
	s_cmp_lg_u32 s4, 0
	s_waitcnt vmcnt(0)
	v_div_scale_f32 v4, null, v2, v2, v3
	v_div_scale_f32 v7, vcc_lo, v3, v2, v3
	v_rcp_f32_e32 v5, v4
	s_waitcnt_depctr 0xfff
	v_fma_f32 v6, -v4, v5, 1.0
	s_delay_alu instid0(VALU_DEP_1) | instskip(NEXT) | instid1(VALU_DEP_1)
	v_fmac_f32_e32 v5, v6, v5
	v_mul_f32_e32 v6, v7, v5
	s_delay_alu instid0(VALU_DEP_1) | instskip(NEXT) | instid1(VALU_DEP_1)
	v_fma_f32 v8, -v4, v6, v7
	v_fmac_f32_e32 v6, v8, v5
	s_delay_alu instid0(VALU_DEP_1) | instskip(NEXT) | instid1(VALU_DEP_1)
	v_fma_f32 v4, -v4, v6, v7
	v_div_fmas_f32 v4, v4, v5, v6
	s_delay_alu instid0(VALU_DEP_1)
	v_div_fixup_f32 v3, v4, v2, v3
	global_store_b32 v[0:1], v3, off
	v_add_co_u32 v0, vcc_lo, v0, 4
	v_add_co_ci_u32_e32 v1, vcc_lo, 0, v1, vcc_lo
	s_cbranch_scc1 .LBB125_44
.LBB125_45:
	s_nop 0
	s_sendmsg sendmsg(MSG_DEALLOC_VGPRS)
	s_endpgm
	.section	.rodata,"a",@progbits
	.p2align	6, 0x0
	.amdhsa_kernel _ZN4vllm3moe10topkGatingILi8ELi512ELi4ELi16ELi64El6__halfLNS0_11ScoringFuncE0EEEvPKT5_PKbPfiPT4_PiiiibPKf
		.amdhsa_group_segment_fixed_size 0
		.amdhsa_private_segment_fixed_size 0
		.amdhsa_kernarg_size 72
		.amdhsa_user_sgpr_count 15
		.amdhsa_user_sgpr_dispatch_ptr 0
		.amdhsa_user_sgpr_queue_ptr 0
		.amdhsa_user_sgpr_kernarg_segment_ptr 1
		.amdhsa_user_sgpr_dispatch_id 0
		.amdhsa_user_sgpr_private_segment_size 0
		.amdhsa_wavefront_size32 1
		.amdhsa_uses_dynamic_stack 0
		.amdhsa_enable_private_segment 0
		.amdhsa_system_sgpr_workgroup_id_x 1
		.amdhsa_system_sgpr_workgroup_id_y 0
		.amdhsa_system_sgpr_workgroup_id_z 0
		.amdhsa_system_sgpr_workgroup_info 0
		.amdhsa_system_vgpr_workitem_id 1
		.amdhsa_next_free_vgpr 40
		.amdhsa_next_free_sgpr 18
		.amdhsa_reserve_vcc 1
		.amdhsa_float_round_mode_32 0
		.amdhsa_float_round_mode_16_64 0
		.amdhsa_float_denorm_mode_32 3
		.amdhsa_float_denorm_mode_16_64 3
		.amdhsa_dx10_clamp 1
		.amdhsa_ieee_mode 1
		.amdhsa_fp16_overflow 0
		.amdhsa_workgroup_processor_mode 1
		.amdhsa_memory_ordered 1
		.amdhsa_forward_progress 0
		.amdhsa_shared_vgpr_count 0
		.amdhsa_exception_fp_ieee_invalid_op 0
		.amdhsa_exception_fp_denorm_src 0
		.amdhsa_exception_fp_ieee_div_zero 0
		.amdhsa_exception_fp_ieee_overflow 0
		.amdhsa_exception_fp_ieee_underflow 0
		.amdhsa_exception_fp_ieee_inexact 0
		.amdhsa_exception_int_div_zero 0
	.end_amdhsa_kernel
	.section	.text._ZN4vllm3moe10topkGatingILi8ELi512ELi4ELi16ELi64El6__halfLNS0_11ScoringFuncE0EEEvPKT5_PKbPfiPT4_PiiiibPKf,"axG",@progbits,_ZN4vllm3moe10topkGatingILi8ELi512ELi4ELi16ELi64El6__halfLNS0_11ScoringFuncE0EEEvPKT5_PKbPfiPT4_PiiiibPKf,comdat
.Lfunc_end125:
	.size	_ZN4vllm3moe10topkGatingILi8ELi512ELi4ELi16ELi64El6__halfLNS0_11ScoringFuncE0EEEvPKT5_PKbPfiPT4_PiiiibPKf, .Lfunc_end125-_ZN4vllm3moe10topkGatingILi8ELi512ELi4ELi16ELi64El6__halfLNS0_11ScoringFuncE0EEEvPKT5_PKbPfiPT4_PiiiibPKf
                                        ; -- End function
	.section	.AMDGPU.csdata,"",@progbits
; Kernel info:
; codeLenInByte = 3772
; NumSgprs: 20
; NumVgprs: 40
; ScratchSize: 0
; MemoryBound: 0
; FloatMode: 240
; IeeeMode: 1
; LDSByteSize: 0 bytes/workgroup (compile time only)
; SGPRBlocks: 2
; VGPRBlocks: 4
; NumSGPRsForWavesPerEU: 20
; NumVGPRsForWavesPerEU: 40
; Occupancy: 16
; WaveLimiterHint : 0
; COMPUTE_PGM_RSRC2:SCRATCH_EN: 0
; COMPUTE_PGM_RSRC2:USER_SGPR: 15
; COMPUTE_PGM_RSRC2:TRAP_HANDLER: 0
; COMPUTE_PGM_RSRC2:TGID_X_EN: 1
; COMPUTE_PGM_RSRC2:TGID_Y_EN: 0
; COMPUTE_PGM_RSRC2:TGID_Z_EN: 0
; COMPUTE_PGM_RSRC2:TIDIG_COMP_CNT: 1
	.section	.text._ZN4vllm3moe10topkGatingILi16ELi512ELi4ELi16ELi32El6__halfLNS0_11ScoringFuncE0EEEvPKT5_PKbPfiPT4_PiiiibPKf,"axG",@progbits,_ZN4vllm3moe10topkGatingILi16ELi512ELi4ELi16ELi32El6__halfLNS0_11ScoringFuncE0EEEvPKT5_PKbPfiPT4_PiiiibPKf,comdat
	.protected	_ZN4vllm3moe10topkGatingILi16ELi512ELi4ELi16ELi32El6__halfLNS0_11ScoringFuncE0EEEvPKT5_PKbPfiPT4_PiiiibPKf ; -- Begin function _ZN4vllm3moe10topkGatingILi16ELi512ELi4ELi16ELi32El6__halfLNS0_11ScoringFuncE0EEEvPKT5_PKbPfiPT4_PiiiibPKf
	.globl	_ZN4vllm3moe10topkGatingILi16ELi512ELi4ELi16ELi32El6__halfLNS0_11ScoringFuncE0EEEvPKT5_PKbPfiPT4_PiiiibPKf
	.p2align	8
	.type	_ZN4vllm3moe10topkGatingILi16ELi512ELi4ELi16ELi32El6__halfLNS0_11ScoringFuncE0EEEvPKT5_PKbPfiPT4_PiiiibPKf,@function
_ZN4vllm3moe10topkGatingILi16ELi512ELi4ELi16ELi32El6__halfLNS0_11ScoringFuncE0EEEvPKT5_PKbPfiPT4_PiiiibPKf: ; @_ZN4vllm3moe10topkGatingILi16ELi512ELi4ELi16ELi32El6__halfLNS0_11ScoringFuncE0EEEvPKT5_PKbPfiPT4_PiiiibPKf
; %bb.0:
	s_load_b32 s14, s[0:1], 0x18
	v_and_b32_e32 v1, 0x3ff, v0
	v_bfe_u32 v0, v0, 10, 10
	s_lshl_b32 s2, s15, 2
	s_delay_alu instid0(VALU_DEP_2) | instskip(NEXT) | instid1(VALU_DEP_1)
	v_lshrrev_b32_e32 v2, 5, v1
	v_add3_u32 v32, s2, v0, v2
	s_mov_b32 s2, exec_lo
	s_waitcnt lgkmcnt(0)
	s_delay_alu instid0(VALU_DEP_1)
	v_cmpx_gt_i32_e64 s14, v32
	s_cbranch_execz .LBB126_41
; %bb.1:
	s_clause 0x1
	s_load_b128 s[4:7], s[0:1], 0x0
	s_load_b64 s[12:13], s[0:1], 0x10
	s_mov_b32 s8, -1
	s_mov_b32 s15, -1
	s_waitcnt lgkmcnt(0)
	s_cmp_eq_u64 s[6:7], 0
	s_cbranch_scc1 .LBB126_3
; %bb.2:
	v_ashrrev_i32_e32 v0, 31, v32
	v_add_co_u32 v2, vcc_lo, s6, v32
	s_delay_alu instid0(VALU_DEP_2) | instskip(SKIP_3) | instid1(VALU_DEP_1)
	v_add_co_ci_u32_e32 v3, vcc_lo, s7, v0, vcc_lo
	global_load_u8 v0, v[2:3], off
	s_waitcnt vmcnt(0)
	v_and_b32_e32 v0, 1, v0
	v_cmp_eq_u32_e32 vcc_lo, 1, v0
	s_xor_b32 s2, vcc_lo, -1
	s_delay_alu instid0(SALU_CYCLE_1)
	s_or_not1_b32 s15, s2, exec_lo
.LBB126_3:
	v_mbcnt_lo_u32_b32 v15, -1, 0
	v_and_b32_e32 v33, 31, v1
	s_load_b64 s[2:3], s[0:1], 0x40
	s_delay_alu instid0(VALU_DEP_2) | instskip(SKIP_2) | instid1(VALU_DEP_2)
	v_xor_b32_e32 v17, 16, v15
	v_lshlrev_b32_e32 v2, 9, v32
	v_xor_b32_e32 v19, 8, v15
	v_ashrrev_i32_e32 v3, 31, v2
	s_delay_alu instid0(VALU_DEP_1) | instskip(SKIP_3) | instid1(VALU_DEP_2)
	v_lshlrev_b64 v[0:1], 1, v[2:3]
	v_lshlrev_b32_e32 v2, 4, v33
	s_waitcnt lgkmcnt(0)
	s_cmp_eq_u64 s[2:3], 0
	v_add_co_u32 v0, vcc_lo, s4, v0
	s_delay_alu instid0(VALU_DEP_3) | instskip(NEXT) | instid1(VALU_DEP_2)
	v_add_co_ci_u32_e32 v1, vcc_lo, s5, v1, vcc_lo
	v_add_co_u32 v4, vcc_lo, v0, v2
	s_delay_alu instid0(VALU_DEP_2)
	v_add_co_ci_u32_e32 v5, vcc_lo, 0, v1, vcc_lo
	v_cmp_gt_i32_e32 vcc_lo, 32, v17
	s_clause 0x1
	global_load_b128 v[0:3], v[4:5], off
	global_load_b128 v[4:7], v[4:5], off offset:512
	v_cndmask_b32_e32 v17, v15, v17, vcc_lo
	v_cmp_gt_i32_e32 vcc_lo, 32, v19
	s_delay_alu instid0(VALU_DEP_2) | instskip(NEXT) | instid1(VALU_DEP_1)
	v_dual_cndmask_b32 v19, v15, v19 :: v_dual_lshlrev_b32 v34, 2, v17
	v_lshlrev_b32_e32 v35, 2, v19
	v_xor_b32_e32 v19, 4, v15
	s_delay_alu instid0(VALU_DEP_1) | instskip(SKIP_1) | instid1(VALU_DEP_1)
	v_cmp_gt_i32_e32 vcc_lo, 32, v19
	v_cndmask_b32_e32 v19, v15, v19, vcc_lo
	v_lshlrev_b32_e32 v36, 2, v19
	v_xor_b32_e32 v19, 2, v15
	s_delay_alu instid0(VALU_DEP_1) | instskip(SKIP_1) | instid1(VALU_DEP_1)
	v_cmp_gt_i32_e32 vcc_lo, 32, v19
	v_cndmask_b32_e32 v19, v15, v19, vcc_lo
	;; [unrolled: 5-line block ×3, first 2 shown]
	v_lshlrev_b32_e32 v38, 2, v15
	s_waitcnt vmcnt(1)
	v_lshrrev_b32_e32 v8, 16, v0
	v_cvt_f32_f16_e32 v0, v0
	v_lshrrev_b32_e32 v9, 16, v1
	v_cvt_f32_f16_e32 v1, v1
	;; [unrolled: 2-line block ×3, first 2 shown]
	v_cvt_f32_f16_e32 v2, v2
	v_cvt_f32_f16_e32 v9, v9
	v_lshrrev_b32_e32 v12, 16, v3
	v_cvt_f32_f16_e32 v10, v10
	v_max_f32_e32 v11, v0, v8
	v_cvt_f32_f16_e32 v3, v3
	s_waitcnt vmcnt(0)
	v_lshrrev_b32_e32 v13, 16, v4
	v_cvt_f32_f16_e32 v12, v12
	v_cvt_f32_f16_e32 v4, v4
	v_max3_f32 v11, v11, v1, v9
	v_lshrrev_b32_e32 v14, 16, v5
	v_cvt_f32_f16_e32 v13, v13
	v_cvt_f32_f16_e32 v5, v5
	v_lshrrev_b32_e32 v16, 16, v6
	v_max3_f32 v11, v11, v2, v10
	v_cvt_f32_f16_e32 v14, v14
	v_cvt_f32_f16_e32 v6, v6
	v_lshrrev_b32_e32 v18, 16, v7
	v_cvt_f32_f16_e32 v16, v16
	v_max3_f32 v11, v11, v3, v12
	v_cvt_f32_f16_e32 v7, v7
	s_delay_alu instid0(VALU_DEP_4) | instskip(NEXT) | instid1(VALU_DEP_3)
	v_cvt_f32_f16_e32 v18, v18
	v_max3_f32 v11, v11, v4, v13
	s_delay_alu instid0(VALU_DEP_1) | instskip(NEXT) | instid1(VALU_DEP_1)
	v_max3_f32 v11, v11, v5, v14
	v_max3_f32 v11, v11, v6, v16
	s_delay_alu instid0(VALU_DEP_1) | instskip(SKIP_3) | instid1(VALU_DEP_1)
	v_max3_f32 v11, v11, v7, v18
	ds_bpermute_b32 v17, v34, v11
	s_waitcnt lgkmcnt(0)
	v_max_f32_e32 v17, v17, v17
	v_max_f32_e32 v11, v11, v17
	ds_bpermute_b32 v17, v35, v11
	s_waitcnt lgkmcnt(0)
	v_max_f32_e32 v17, v17, v17
	s_delay_alu instid0(VALU_DEP_1) | instskip(SKIP_3) | instid1(VALU_DEP_1)
	v_max_f32_e32 v11, v11, v17
	ds_bpermute_b32 v17, v36, v11
	s_waitcnt lgkmcnt(0)
	v_max_f32_e32 v17, v17, v17
	v_max_f32_e32 v11, v11, v17
	ds_bpermute_b32 v17, v37, v11
	s_waitcnt lgkmcnt(0)
	v_max_f32_e32 v17, v17, v17
	s_delay_alu instid0(VALU_DEP_1) | instskip(SKIP_3) | instid1(VALU_DEP_1)
	v_max_f32_e32 v11, v11, v17
	ds_bpermute_b32 v15, v38, v11
	s_waitcnt lgkmcnt(0)
	v_max_f32_e32 v15, v15, v15
	v_max_f32_e32 v11, v11, v15
	s_delay_alu instid0(VALU_DEP_1)
	v_sub_f32_e32 v0, v0, v11
	v_sub_f32_e32 v8, v8, v11
	;; [unrolled: 1-line block ×6, first 2 shown]
	v_dual_sub_f32 v14, v14, v11 :: v_dual_mul_f32 v17, 0x3fb8aa3b, v8
	v_dual_sub_f32 v6, v6, v11 :: v_dual_mul_f32 v23, 0x3fb8aa3b, v12
	v_cmp_ngt_f32_e32 vcc_lo, 0xc2ce8ed0, v0
	v_dual_sub_f32 v7, v7, v11 :: v_dual_mul_f32 v24, 0x3fb8aa3b, v4
	v_mul_f32_e32 v20, 0x3fb8aa3b, v2
	v_mul_f32_e32 v21, 0x3fb8aa3b, v10
	;; [unrolled: 1-line block ×3, first 2 shown]
	s_delay_alu instid0(VALU_DEP_4)
	v_mul_f32_e32 v30, 0x3fb8aa3b, v7
	v_rndne_f32_e32 v56, v24
	v_sub_f32_e32 v3, v3, v11
	v_fma_f32 v47, 0x3fb8aa3b, v2, -v20
	v_rndne_f32_e32 v48, v20
	v_fma_f32 v55, 0x3fb8aa3b, v4, -v24
	v_sub_f32_e32 v24, v24, v56
	v_rndne_f32_e32 v64, v28
	v_sub_f32_e32 v5, v5, v11
	v_rndne_f32_e32 v68, v30
	v_dual_sub_f32 v15, v16, v11 :: v_dual_mul_f32 v16, 0x3fb8aa3b, v0
	v_mul_f32_e32 v22, 0x3fb8aa3b, v3
	v_fma_f32 v63, 0x3fb8aa3b, v6, -v28
	v_dual_sub_f32 v1, v1, v11 :: v_dual_sub_f32 v20, v20, v48
	v_fma_f32 v41, 0x3fb8aa3b, v8, -v17
	v_rndne_f32_e32 v42, v17
	v_fmac_f32_e32 v47, 0x32a5705f, v2
	v_rndne_f32_e32 v50, v21
	v_fma_f32 v49, 0x3fb8aa3b, v10, -v21
	v_rndne_f32_e32 v54, v23
	v_fma_f32 v39, 0x3fb8aa3b, v0, -v16
	v_rndne_f32_e32 v40, v16
	v_sub_f32_e32 v28, v28, v64
	v_mul_f32_e32 v26, 0x3fb8aa3b, v5
	v_fma_f32 v51, 0x3fb8aa3b, v3, -v22
	v_rndne_f32_e32 v52, v22
	v_sub_f32_e32 v9, v9, v11
	v_dual_fmac_f32 v39, 0x32a5705f, v0 :: v_dual_add_f32 v20, v20, v47
	v_rndne_f32_e32 v60, v26
	v_dual_sub_f32 v13, v13, v11 :: v_dual_sub_f32 v16, v16, v40
	v_fma_f32 v59, 0x3fb8aa3b, v5, -v26
	v_dual_fmac_f32 v51, 0x32a5705f, v3 :: v_dual_sub_f32 v22, v22, v52
	v_mul_f32_e32 v19, 0x3fb8aa3b, v9
	v_fmac_f32_e32 v41, 0x32a5705f, v8
	v_fmac_f32_e32 v55, 0x32a5705f, v4
	v_dual_sub_f32 v17, v17, v42 :: v_dual_sub_f32 v26, v26, v60
	v_dual_mul_f32 v25, 0x3fb8aa3b, v13 :: v_dual_add_f32 v16, v16, v39
	v_add_f32_e32 v22, v22, v51
	s_delay_alu instid0(VALU_DEP_3) | instskip(SKIP_1) | instid1(VALU_DEP_4)
	v_dual_add_f32 v24, v24, v55 :: v_dual_add_f32 v17, v17, v41
	v_cvt_i32_f32_e32 v40, v40
	v_exp_f32_e32 v16, v16
	v_cvt_i32_f32_e32 v42, v42
	v_fma_f32 v45, 0x3fb8aa3b, v9, -v19
	v_exp_f32_e32 v17, v17
	v_fmac_f32_e32 v63, 0x32a5705f, v6
	v_fmac_f32_e32 v59, 0x32a5705f, v5
	v_rndne_f32_e32 v46, v19
	v_fmac_f32_e32 v45, 0x32a5705f, v9
	v_cvt_i32_f32_e32 v64, v64
	v_add_f32_e32 v28, v28, v63
	v_ldexp_f32 v16, v16, v40
	v_fma_f32 v53, 0x3fb8aa3b, v12, -v23
	v_exp_f32_e32 v20, v20
	v_ldexp_f32 v17, v17, v42
	v_exp_f32_e32 v28, v28
	v_cndmask_b32_e32 v16, 0, v16, vcc_lo
	v_cmp_ngt_f32_e32 vcc_lo, 0xc2ce8ed0, v8
	v_fma_f32 v67, 0x3fb8aa3b, v7, -v30
	v_sub_f32_e32 v30, v30, v68
	v_add_f32_e32 v26, v26, v59
	v_cvt_i32_f32_e32 v48, v48
	v_cndmask_b32_e32 v17, 0, v17, vcc_lo
	v_cmp_ngt_f32_e32 vcc_lo, 0xc2ce8ed0, v1
	v_dual_sub_f32 v11, v18, v11 :: v_dual_mul_f32 v18, 0x3fb8aa3b, v1
	v_ldexp_f32 v28, v28, v64
	v_fmac_f32_e32 v67, 0x32a5705f, v7
	v_sub_f32_e32 v19, v19, v46
	v_cvt_i32_f32_e32 v46, v46
	v_fma_f32 v43, 0x3fb8aa3b, v1, -v18
	v_rndne_f32_e32 v44, v18
	s_delay_alu instid0(VALU_DEP_4) | instskip(SKIP_1) | instid1(VALU_DEP_3)
	v_dual_add_f32 v30, v30, v67 :: v_dual_add_f32 v19, v19, v45
	v_ldexp_f32 v20, v20, v48
	v_dual_fmac_f32 v43, 0x32a5705f, v1 :: v_dual_sub_f32 v18, v18, v44
	v_mul_f32_e32 v27, 0x3fb8aa3b, v14
	v_cvt_i32_f32_e32 v44, v44
	v_exp_f32_e32 v19, v19
	v_exp_f32_e32 v22, v22
	v_add_f32_e32 v18, v18, v43
	v_cvt_i32_f32_e32 v52, v52
	v_rndne_f32_e32 v58, v25
	v_fma_f32 v57, 0x3fb8aa3b, v13, -v25
	v_exp_f32_e32 v24, v24
	v_exp_f32_e32 v18, v18
	v_cvt_i32_f32_e32 v56, v56
	v_exp_f32_e32 v30, v30
	v_ldexp_f32 v19, v19, v46
	v_ldexp_f32 v22, v22, v52
	v_cvt_i32_f32_e32 v68, v68
	v_fma_f32 v61, 0x3fb8aa3b, v14, -v27
	v_rndne_f32_e32 v62, v27
	v_exp_f32_e32 v26, v26
	v_ldexp_f32 v24, v24, v56
	v_ldexp_f32 v18, v18, v44
	v_cvt_i32_f32_e32 v60, v60
	v_ldexp_f32 v30, v30, v68
	s_delay_alu instid0(VALU_DEP_3) | instskip(SKIP_3) | instid1(TRANS32_DEP_1)
	v_cndmask_b32_e32 v18, 0, v18, vcc_lo
	v_cmp_nlt_f32_e32 vcc_lo, 0x42b17218, v0
	v_sub_f32_e32 v21, v21, v50
	v_cvt_i32_f32_e32 v50, v50
	v_ldexp_f32 v26, v26, v60
	v_cndmask_b32_e32 v0, 0x7f800000, v16, vcc_lo
	v_cmp_nlt_f32_e32 vcc_lo, 0x42b17218, v8
	v_sub_f32_e32 v23, v23, v54
	v_cvt_i32_f32_e32 v54, v54
	v_cndmask_b32_e32 v8, 0x7f800000, v17, vcc_lo
	v_cmp_ngt_f32_e32 vcc_lo, 0xc2ce8ed0, v9
	s_delay_alu instid0(VALU_DEP_2)
	v_dual_add_f32 v17, v0, v8 :: v_dual_cndmask_b32 v16, 0, v19
	v_cmp_nlt_f32_e32 vcc_lo, 0x42b17218, v1
	v_cndmask_b32_e32 v1, 0x7f800000, v18, vcc_lo
	v_cmp_ngt_f32_e32 vcc_lo, 0xc2ce8ed0, v2
	v_mul_f32_e32 v29, 0x3fb8aa3b, v15
	v_dual_mul_f32 v31, 0x3fb8aa3b, v11 :: v_dual_cndmask_b32 v18, 0, v20
	v_cmp_nlt_f32_e32 vcc_lo, 0x42b17218, v9
	s_delay_alu instid0(VALU_DEP_3)
	v_fma_f32 v65, 0x3fb8aa3b, v15, -v29
	v_rndne_f32_e32 v66, v29
	v_dual_cndmask_b32 v9, 0x7f800000, v16 :: v_dual_add_f32 v16, v17, v1
	v_fmac_f32_e32 v49, 0x32a5705f, v10
	v_cmp_ngt_f32_e32 vcc_lo, 0xc2ce8ed0, v10
	v_rndne_f32_e32 v70, v31
	v_fma_f32 v69, 0x3fb8aa3b, v11, -v31
	v_add_f32_e32 v16, v16, v9
	v_add_f32_e32 v21, v21, v49
	s_delay_alu instid0(VALU_DEP_1) | instskip(SKIP_2) | instid1(VALU_DEP_1)
	v_exp_f32_e32 v21, v21
	s_waitcnt_depctr 0xfff
	v_ldexp_f32 v21, v21, v50
	v_cndmask_b32_e32 v17, 0, v21, vcc_lo
	v_cmp_nlt_f32_e32 vcc_lo, 0x42b17218, v2
	v_cndmask_b32_e32 v2, 0x7f800000, v18, vcc_lo
	v_fmac_f32_e32 v53, 0x32a5705f, v12
	v_cmp_ngt_f32_e32 vcc_lo, 0xc2ce8ed0, v3
	s_delay_alu instid0(VALU_DEP_2)
	v_dual_add_f32 v16, v16, v2 :: v_dual_add_f32 v23, v23, v53
	v_cndmask_b32_e32 v18, 0, v22, vcc_lo
	v_cmp_nlt_f32_e32 vcc_lo, 0x42b17218, v10
	v_sub_f32_e32 v25, v25, v58
	v_cvt_i32_f32_e32 v58, v58
	v_exp_f32_e32 v23, v23
	v_cndmask_b32_e32 v10, 0x7f800000, v17, vcc_lo
	v_cmp_ngt_f32_e32 vcc_lo, 0xc2ce8ed0, v12
	s_delay_alu instid0(VALU_DEP_2) | instskip(SKIP_2) | instid1(VALU_DEP_1)
	v_add_f32_e32 v16, v16, v10
	s_waitcnt_depctr 0xfff
	v_ldexp_f32 v23, v23, v54
	v_cndmask_b32_e32 v17, 0, v23, vcc_lo
	v_cmp_nlt_f32_e32 vcc_lo, 0x42b17218, v3
	v_cndmask_b32_e32 v3, 0x7f800000, v18, vcc_lo
	v_cmp_ngt_f32_e32 vcc_lo, 0xc2ce8ed0, v4
	s_delay_alu instid0(VALU_DEP_2) | instskip(NEXT) | instid1(VALU_DEP_1)
	v_dual_fmac_f32 v57, 0x32a5705f, v13 :: v_dual_add_f32 v16, v16, v3
	v_dual_cndmask_b32 v18, 0, v24 :: v_dual_add_f32 v25, v25, v57
	v_cmp_nlt_f32_e32 vcc_lo, 0x42b17218, v12
	v_sub_f32_e32 v27, v27, v62
	v_cvt_i32_f32_e32 v62, v62
	s_delay_alu instid0(VALU_DEP_4) | instskip(SKIP_3) | instid1(VALU_DEP_2)
	v_exp_f32_e32 v25, v25
	v_cndmask_b32_e32 v12, 0x7f800000, v17, vcc_lo
	v_fmac_f32_e32 v61, 0x32a5705f, v14
	v_cmp_ngt_f32_e32 vcc_lo, 0xc2ce8ed0, v13
	v_dual_add_f32 v16, v16, v12 :: v_dual_add_f32 v27, v27, v61
	s_waitcnt_depctr 0xfff
	v_ldexp_f32 v25, v25, v58
	v_exp_f32_e32 v27, v27
	s_delay_alu instid0(VALU_DEP_1)
	v_cndmask_b32_e32 v17, 0, v25, vcc_lo
	v_cmp_nlt_f32_e32 vcc_lo, 0x42b17218, v4
	v_cndmask_b32_e32 v4, 0x7f800000, v18, vcc_lo
	v_cmp_ngt_f32_e32 vcc_lo, 0xc2ce8ed0, v5
	v_fmac_f32_e32 v65, 0x32a5705f, v15
	s_waitcnt_depctr 0xfff
	v_ldexp_f32 v27, v27, v62
	v_add_f32_e32 v16, v16, v4
	v_cndmask_b32_e32 v18, 0, v26, vcc_lo
	v_cmp_nlt_f32_e32 vcc_lo, 0x42b17218, v13
	v_cndmask_b32_e32 v13, 0x7f800000, v17, vcc_lo
	v_sub_f32_e32 v29, v29, v66
	v_cmp_ngt_f32_e32 vcc_lo, 0xc2ce8ed0, v14
	v_cvt_i32_f32_e32 v66, v66
	s_delay_alu instid0(VALU_DEP_4) | instskip(NEXT) | instid1(VALU_DEP_4)
	v_add_f32_e32 v16, v16, v13
	v_add_f32_e32 v29, v29, v65
	v_cndmask_b32_e32 v17, 0, v27, vcc_lo
	v_cmp_nlt_f32_e32 vcc_lo, 0x42b17218, v5
	s_delay_alu instid0(VALU_DEP_3) | instskip(SKIP_2) | instid1(VALU_DEP_2)
	v_exp_f32_e32 v29, v29
	v_cndmask_b32_e32 v5, 0x7f800000, v18, vcc_lo
	v_cmp_ngt_f32_e32 vcc_lo, 0xc2ce8ed0, v6
	v_dual_fmac_f32 v69, 0x32a5705f, v11 :: v_dual_add_f32 v16, v16, v5
	v_cndmask_b32_e32 v18, 0, v28, vcc_lo
	v_cmp_nlt_f32_e32 vcc_lo, 0x42b17218, v14
	v_sub_f32_e32 v31, v31, v70
	s_delay_alu instid0(TRANS32_DEP_1) | instskip(SKIP_3) | instid1(VALU_DEP_2)
	v_ldexp_f32 v29, v29, v66
	v_cvt_i32_f32_e32 v70, v70
	v_cndmask_b32_e32 v14, 0x7f800000, v17, vcc_lo
	v_cmp_ngt_f32_e32 vcc_lo, 0xc2ce8ed0, v15
	v_dual_add_f32 v16, v16, v14 :: v_dual_cndmask_b32 v17, 0, v29
	v_cmp_nlt_f32_e32 vcc_lo, 0x42b17218, v6
	v_cndmask_b32_e32 v6, 0x7f800000, v18, vcc_lo
	v_cmp_ngt_f32_e32 vcc_lo, 0xc2ce8ed0, v7
	s_delay_alu instid0(VALU_DEP_2) | instskip(SKIP_4) | instid1(VALU_DEP_2)
	v_add_f32_e32 v16, v16, v6
	v_cndmask_b32_e32 v18, 0, v30, vcc_lo
	v_cmp_nlt_f32_e32 vcc_lo, 0x42b17218, v15
	v_cndmask_b32_e32 v15, 0x7f800000, v17, vcc_lo
	v_cmp_ngt_f32_e32 vcc_lo, 0xc2ce8ed0, v11
	v_dual_add_f32 v16, v16, v15 :: v_dual_add_f32 v31, v31, v69
	s_delay_alu instid0(VALU_DEP_1) | instskip(SKIP_2) | instid1(VALU_DEP_1)
	v_exp_f32_e32 v31, v31
	s_waitcnt_depctr 0xfff
	v_ldexp_f32 v31, v31, v70
	v_cndmask_b32_e32 v17, 0, v31, vcc_lo
	v_cmp_nlt_f32_e32 vcc_lo, 0x42b17218, v7
	v_cndmask_b32_e32 v7, 0x7f800000, v18, vcc_lo
	v_cmp_nlt_f32_e32 vcc_lo, 0x42b17218, v11
	s_delay_alu instid0(VALU_DEP_2) | instskip(NEXT) | instid1(VALU_DEP_1)
	v_dual_add_f32 v16, v16, v7 :: v_dual_cndmask_b32 v11, 0x7f800000, v17
	v_add_f32_e32 v16, v16, v11
	ds_bpermute_b32 v17, v34, v16
	s_waitcnt lgkmcnt(0)
	v_add_f32_e32 v16, v16, v17
	ds_bpermute_b32 v17, v35, v16
	s_waitcnt lgkmcnt(0)
	;; [unrolled: 3-line block ×5, first 2 shown]
	v_add_f32_e32 v16, v16, v17
	s_delay_alu instid0(VALU_DEP_1) | instskip(SKIP_1) | instid1(VALU_DEP_2)
	v_div_scale_f32 v17, null, v16, v16, 1.0
	v_div_scale_f32 v20, vcc_lo, 1.0, v16, 1.0
	v_rcp_f32_e32 v18, v17
	s_waitcnt_depctr 0xfff
	v_fma_f32 v19, -v17, v18, 1.0
	s_delay_alu instid0(VALU_DEP_1) | instskip(NEXT) | instid1(VALU_DEP_1)
	v_fmac_f32_e32 v18, v19, v18
	v_mul_f32_e32 v19, v20, v18
	s_delay_alu instid0(VALU_DEP_1) | instskip(NEXT) | instid1(VALU_DEP_1)
	v_fma_f32 v21, -v17, v19, v20
	v_fmac_f32_e32 v19, v21, v18
	s_delay_alu instid0(VALU_DEP_1) | instskip(NEXT) | instid1(VALU_DEP_1)
	v_fma_f32 v17, -v17, v19, v20
	v_div_fmas_f32 v17, v17, v18, v19
	s_delay_alu instid0(VALU_DEP_1) | instskip(NEXT) | instid1(VALU_DEP_1)
	v_div_fixup_f32 v16, v17, v16, 1.0
	v_mul_f32_e32 v0, v16, v0
	v_mul_f32_e32 v8, v16, v8
	;; [unrolled: 1-line block ×5, first 2 shown]
	v_cmp_class_f32_e64 vcc_lo, v0, 0x1f8
	v_mul_f32_e32 v9, v16, v9
	v_mul_f32_e32 v18, v16, v2
	;; [unrolled: 1-line block ×4, first 2 shown]
	v_cndmask_b32_e32 v0, 0, v0, vcc_lo
	v_cmp_class_f32_e64 vcc_lo, v8, 0x1f8
	v_mul_f32_e32 v23, v16, v7
	v_mul_f32_e32 v21, v16, v5
	;; [unrolled: 1-line block ×4, first 2 shown]
	v_cndmask_b32_e32 v1, 0, v8, vcc_lo
	v_cmp_class_f32_e64 vcc_lo, v17, 0x1f8
	v_mul_f32_e32 v14, v16, v14
	v_cndmask_b32_e32 v2, 0, v17, vcc_lo
	v_cmp_class_f32_e64 vcc_lo, v9, 0x1f8
	v_cndmask_b32_e32 v3, 0, v9, vcc_lo
	v_cmp_class_f32_e64 vcc_lo, v18, 0x1f8
	v_dual_cndmask_b32 v4, 0, v18 :: v_dual_lshlrev_b32 v39, 3, v33
	v_cmp_class_f32_e64 vcc_lo, v10, 0x1f8
	v_cndmask_b32_e32 v5, 0, v10, vcc_lo
	v_cmp_class_f32_e64 vcc_lo, v19, 0x1f8
	v_cndmask_b32_e32 v6, 0, v19, vcc_lo
	;; [unrolled: 2-line block ×5, first 2 shown]
	v_cmp_class_f32_e64 vcc_lo, v21, 0x1f8
	v_mul_f32_e32 v15, v16, v15
	v_mul_f32_e32 v16, v16, v11
	v_cndmask_b32_e32 v10, 0, v21, vcc_lo
	v_cmp_class_f32_e64 vcc_lo, v14, 0x1f8
	v_cndmask_b32_e32 v11, 0, v14, vcc_lo
	v_cmp_class_f32_e64 vcc_lo, v22, 0x1f8
	;; [unrolled: 2-line block ×5, first 2 shown]
	v_cndmask_b32_e32 v15, 0, v16, vcc_lo
	s_cbranch_scc1 .LBB126_35
; %bb.4:
	v_lshlrev_b32_e32 v28, 2, v39
	s_clause 0x3
	global_load_b128 v[16:19], v28, s[2:3]
	global_load_b128 v[20:23], v28, s[2:3] offset:16
	global_load_b128 v[24:27], v28, s[2:3] offset:1024
	global_load_b128 v[28:31], v28, s[2:3] offset:1040
	s_waitcnt vmcnt(3)
	v_dual_add_f32 v17, v17, v1 :: v_dual_add_f32 v16, v16, v0
	v_dual_add_f32 v19, v19, v3 :: v_dual_add_f32 v18, v18, v2
	s_waitcnt vmcnt(2)
	v_dual_add_f32 v21, v21, v5 :: v_dual_add_f32 v20, v20, v4
	v_dual_add_f32 v23, v23, v7 :: v_dual_add_f32 v22, v22, v6
	;; [unrolled: 3-line block ×4, first 2 shown]
	s_cbranch_execnz .LBB126_6
.LBB126_5:
	v_dual_mov_b32 v31, v15 :: v_dual_mov_b32 v30, v14
	v_dual_mov_b32 v29, v13 :: v_dual_mov_b32 v28, v12
	;; [unrolled: 1-line block ×8, first 2 shown]
.LBB126_6:
	s_load_b128 s[4:7], s[0:1], 0x30
	v_cmp_eq_u32_e64 s2, 0, v33
	s_waitcnt lgkmcnt(0)
	s_bitcmp1_b32 s7, 0
	s_mov_b32 s7, 0
	s_cselect_b32 vcc_lo, -1, 0
	s_cmp_gt_i32 s4, 0
	s_cselect_b32 s3, -1, 0
	s_cmp_lt_i32 s4, 1
	s_cbranch_scc1 .LBB126_36
; %bb.7:
	s_load_b128 s[8:11], s[0:1], 0x20
	v_mul_lo_u32 v41, v32, s4
	v_mov_b32_e32 v40, 0
	v_mov_b32_e32 v42, v32
	s_branch .LBB126_10
.LBB126_8:                              ;   in Loop: Header=BB126_10 Depth=1
	s_or_b32 exec_lo, exec_lo, s1
.LBB126_9:                              ;   in Loop: Header=BB126_10 Depth=1
	v_add_nc_u32_e32 v42, s14, v42
	s_cmp_eq_u32 s4, s7
	s_cbranch_scc1 .LBB126_37
.LBB126_10:                             ; =>This Inner Loop Header: Depth=1
	v_cmp_gt_f32_e64 s0, v17, v16
	s_mov_b32 s17, exec_lo
	s_delay_alu instid0(VALU_DEP_1) | instskip(SKIP_2) | instid1(VALU_DEP_3)
	v_cndmask_b32_e64 v43, v16, v17, s0
	v_cndmask_b32_e64 v44, 0, 1, s0
	;; [unrolled: 1-line block ×3, first 2 shown]
	v_cmp_gt_f32_e64 s1, v18, v43
	s_delay_alu instid0(VALU_DEP_1) | instskip(NEXT) | instid1(VALU_DEP_4)
	v_cndmask_b32_e64 v43, v43, v18, s1
	v_cndmask_b32_e64 v44, v44, 2, s1
	s_delay_alu instid0(VALU_DEP_4) | instskip(NEXT) | instid1(VALU_DEP_3)
	v_cndmask_b32_e64 v45, v45, v2, s1
	v_cmp_gt_f32_e64 s0, v19, v43
	s_delay_alu instid0(VALU_DEP_1) | instskip(NEXT) | instid1(VALU_DEP_4)
	v_cndmask_b32_e64 v43, v43, v19, s0
	v_cndmask_b32_e64 v44, v44, 3, s0
	s_delay_alu instid0(VALU_DEP_4) | instskip(NEXT) | instid1(VALU_DEP_3)
	v_cndmask_b32_e64 v45, v45, v3, s0
	;; [unrolled: 6-line block ×12, first 2 shown]
	v_cmp_gt_f32_e64 s1, v30, v43
	s_delay_alu instid0(VALU_DEP_1) | instskip(NEXT) | instid1(VALU_DEP_4)
	v_cndmask_b32_e64 v43, v43, v30, s1
	v_cndmask_b32_e64 v44, v44, 0x106, s1
	s_waitcnt lgkmcnt(0)
	v_cndmask_b32_e64 v46, v45, v14, s1
	s_delay_alu instid0(VALU_DEP_3) | instskip(NEXT) | instid1(VALU_DEP_1)
	v_cmp_gt_f32_e64 s0, v31, v43
	v_cndmask_b32_e64 v45, v43, v31, s0
	v_cndmask_b32_e64 v43, v44, 0x107, s0
	s_delay_alu instid0(VALU_DEP_4)
	v_cndmask_b32_e64 v44, v46, v15, s0
	ds_bpermute_b32 v46, v34, v45
	v_or_b32_e32 v43, v39, v43
	ds_bpermute_b32 v48, v34, v44
	ds_bpermute_b32 v47, v34, v43
	s_waitcnt lgkmcnt(0)
	v_cmp_lt_f32_e64 s16, v45, v46
	v_cmpx_nlt_f32_e32 v45, v46
; %bb.11:                               ;   in Loop: Header=BB126_10 Depth=1
	v_cmp_eq_f32_e64 s0, v45, v46
	v_cmp_lt_i32_e64 s1, v47, v43
	s_delay_alu instid0(VALU_DEP_1) | instskip(SKIP_2) | instid1(SALU_CYCLE_1)
	s_and_b32 s0, s0, s1
	s_and_not1_b32 s1, s16, exec_lo
	s_and_b32 s0, s0, exec_lo
	s_or_b32 s16, s1, s0
; %bb.12:                               ;   in Loop: Header=BB126_10 Depth=1
	s_or_b32 exec_lo, exec_lo, s17
	s_and_saveexec_b32 s0, s16
; %bb.13:                               ;   in Loop: Header=BB126_10 Depth=1
	v_dual_mov_b32 v44, v48 :: v_dual_mov_b32 v45, v46
	v_mov_b32_e32 v43, v47
; %bb.14:                               ;   in Loop: Header=BB126_10 Depth=1
	s_or_b32 exec_lo, exec_lo, s0
	ds_bpermute_b32 v47, v35, v45
	ds_bpermute_b32 v48, v35, v44
	;; [unrolled: 1-line block ×3, first 2 shown]
	s_mov_b32 s17, exec_lo
	s_waitcnt lgkmcnt(2)
	v_cmp_lt_f32_e64 s16, v45, v47
	v_cmpx_nlt_f32_e32 v45, v47
	s_cbranch_execz .LBB126_16
; %bb.15:                               ;   in Loop: Header=BB126_10 Depth=1
	v_cmp_eq_f32_e64 s0, v45, v47
	s_waitcnt lgkmcnt(0)
	v_cmp_lt_i32_e64 s1, v46, v43
	s_delay_alu instid0(VALU_DEP_1) | instskip(SKIP_2) | instid1(SALU_CYCLE_1)
	s_and_b32 s0, s0, s1
	s_and_not1_b32 s1, s16, exec_lo
	s_and_b32 s0, s0, exec_lo
	s_or_b32 s16, s1, s0
.LBB126_16:                             ;   in Loop: Header=BB126_10 Depth=1
	s_or_b32 exec_lo, exec_lo, s17
	s_delay_alu instid0(VALU_DEP_2)
	s_and_saveexec_b32 s0, s16
	s_cbranch_execz .LBB126_18
; %bb.17:                               ;   in Loop: Header=BB126_10 Depth=1
	s_waitcnt lgkmcnt(1)
	v_dual_mov_b32 v44, v48 :: v_dual_mov_b32 v45, v47
	s_waitcnt lgkmcnt(0)
	v_mov_b32_e32 v43, v46
.LBB126_18:                             ;   in Loop: Header=BB126_10 Depth=1
	s_or_b32 exec_lo, exec_lo, s0
	ds_bpermute_b32 v47, v36, v45
	s_waitcnt lgkmcnt(2)
	ds_bpermute_b32 v48, v36, v44
	s_waitcnt lgkmcnt(2)
	ds_bpermute_b32 v46, v36, v43
	s_mov_b32 s17, exec_lo
	s_waitcnt lgkmcnt(2)
	v_cmp_lt_f32_e64 s16, v45, v47
	v_cmpx_nlt_f32_e32 v45, v47
	s_cbranch_execz .LBB126_20
; %bb.19:                               ;   in Loop: Header=BB126_10 Depth=1
	v_cmp_eq_f32_e64 s0, v45, v47
	s_waitcnt lgkmcnt(0)
	v_cmp_lt_i32_e64 s1, v46, v43
	s_delay_alu instid0(VALU_DEP_1) | instskip(SKIP_2) | instid1(SALU_CYCLE_1)
	s_and_b32 s0, s0, s1
	s_and_not1_b32 s1, s16, exec_lo
	s_and_b32 s0, s0, exec_lo
	s_or_b32 s16, s1, s0
.LBB126_20:                             ;   in Loop: Header=BB126_10 Depth=1
	s_or_b32 exec_lo, exec_lo, s17
	s_delay_alu instid0(VALU_DEP_2)
	s_and_saveexec_b32 s0, s16
	s_cbranch_execz .LBB126_22
; %bb.21:                               ;   in Loop: Header=BB126_10 Depth=1
	s_waitcnt lgkmcnt(1)
	v_dual_mov_b32 v44, v48 :: v_dual_mov_b32 v45, v47
	s_waitcnt lgkmcnt(0)
	v_mov_b32_e32 v43, v46
.LBB126_22:                             ;   in Loop: Header=BB126_10 Depth=1
	s_or_b32 exec_lo, exec_lo, s0
	ds_bpermute_b32 v47, v37, v45
	s_waitcnt lgkmcnt(2)
	ds_bpermute_b32 v48, v37, v44
	s_waitcnt lgkmcnt(2)
	ds_bpermute_b32 v46, v37, v43
	s_mov_b32 s17, exec_lo
	s_waitcnt lgkmcnt(2)
	v_cmp_lt_f32_e64 s16, v45, v47
	v_cmpx_nlt_f32_e32 v45, v47
	s_cbranch_execz .LBB126_24
; %bb.23:                               ;   in Loop: Header=BB126_10 Depth=1
	v_cmp_eq_f32_e64 s0, v45, v47
	s_waitcnt lgkmcnt(0)
	v_cmp_lt_i32_e64 s1, v46, v43
	s_delay_alu instid0(VALU_DEP_1) | instskip(SKIP_2) | instid1(SALU_CYCLE_1)
	s_and_b32 s0, s0, s1
	s_and_not1_b32 s1, s16, exec_lo
	s_and_b32 s0, s0, exec_lo
	s_or_b32 s16, s1, s0
.LBB126_24:                             ;   in Loop: Header=BB126_10 Depth=1
	s_or_b32 exec_lo, exec_lo, s17
	s_delay_alu instid0(VALU_DEP_2)
	s_and_saveexec_b32 s0, s16
	s_cbranch_execz .LBB126_26
; %bb.25:                               ;   in Loop: Header=BB126_10 Depth=1
	s_waitcnt lgkmcnt(1)
	v_dual_mov_b32 v44, v48 :: v_dual_mov_b32 v45, v47
	s_waitcnt lgkmcnt(0)
	v_mov_b32_e32 v43, v46
.LBB126_26:                             ;   in Loop: Header=BB126_10 Depth=1
	s_or_b32 exec_lo, exec_lo, s0
	s_waitcnt lgkmcnt(1)
	ds_bpermute_b32 v48, v38, v45
	ds_bpermute_b32 v47, v38, v44
	s_waitcnt lgkmcnt(2)
	ds_bpermute_b32 v46, v38, v43
	s_mov_b32 s17, exec_lo
	s_waitcnt lgkmcnt(2)
	v_cmp_lt_f32_e64 s16, v45, v48
	v_cmpx_nlt_f32_e32 v45, v48
	s_cbranch_execnz .LBB126_30
; %bb.27:                               ;   in Loop: Header=BB126_10 Depth=1
	s_or_b32 exec_lo, exec_lo, s17
	s_delay_alu instid0(VALU_DEP_2)
	s_and_saveexec_b32 s0, s16
	s_cbranch_execnz .LBB126_31
.LBB126_28:                             ;   in Loop: Header=BB126_10 Depth=1
	s_or_b32 exec_lo, exec_lo, s0
	s_and_saveexec_b32 s16, s2
	s_cbranch_execnz .LBB126_32
.LBB126_29:                             ;   in Loop: Header=BB126_10 Depth=1
	s_or_b32 exec_lo, exec_lo, s16
	s_add_i32 s7, s7, 1
	s_delay_alu instid0(SALU_CYCLE_1)
	s_cmp_ge_i32 s7, s4
	s_cbranch_scc1 .LBB126_9
	s_branch .LBB126_33
.LBB126_30:                             ;   in Loop: Header=BB126_10 Depth=1
	v_cmp_eq_f32_e64 s0, v45, v48
	s_waitcnt lgkmcnt(0)
	v_cmp_lt_i32_e64 s1, v46, v43
	s_delay_alu instid0(VALU_DEP_1) | instskip(SKIP_2) | instid1(SALU_CYCLE_1)
	s_and_b32 s0, s0, s1
	s_and_not1_b32 s1, s16, exec_lo
	s_and_b32 s0, s0, exec_lo
	s_or_b32 s16, s1, s0
	s_or_b32 exec_lo, exec_lo, s17
	s_and_saveexec_b32 s0, s16
	s_cbranch_execz .LBB126_28
.LBB126_31:                             ;   in Loop: Header=BB126_10 Depth=1
	s_waitcnt lgkmcnt(0)
	v_dual_mov_b32 v44, v47 :: v_dual_mov_b32 v43, v46
	s_or_b32 exec_lo, exec_lo, s0
	s_and_saveexec_b32 s16, s2
	s_cbranch_execz .LBB126_29
.LBB126_32:                             ;   in Loop: Header=BB126_10 Depth=1
	v_add_nc_u32_e32 v45, s7, v41
	v_subrev_nc_u32_e32 v49, s5, v43
	v_cmp_le_i32_e64 s0, s5, v43
	v_cmp_gt_i32_e64 s1, s6, v43
	v_add_f32_e32 v53, v40, v44
	s_waitcnt lgkmcnt(0)
	v_ashrrev_i32_e32 v46, 31, v45
	v_ashrrev_i32_e32 v50, 31, v49
	s_and_b32 s0, s0, s1
	v_cndmask_b32_e32 v40, v40, v53, vcc_lo
	s_delay_alu instid0(VALU_DEP_3) | instskip(SKIP_2) | instid1(SALU_CYCLE_1)
	v_lshlrev_b64 v[47:48], 2, v[45:46]
	v_lshlrev_b64 v[45:46], 3, v[45:46]
	s_and_b32 s0, s15, s0
	v_cndmask_b32_e64 v50, 0, v50, s0
	v_cndmask_b32_e64 v49, 0x200, v49, s0
	s_delay_alu instid0(VALU_DEP_4) | instskip(NEXT) | instid1(VALU_DEP_1)
	v_add_co_u32 v51, s0, s12, v47
	v_add_co_ci_u32_e64 v52, s0, s13, v48, s0
	v_add_co_u32 v45, s0, s8, v45
	s_delay_alu instid0(VALU_DEP_1) | instskip(SKIP_1) | instid1(VALU_DEP_1)
	v_add_co_ci_u32_e64 v46, s0, s9, v46, s0
	v_add_co_u32 v47, s0, s10, v47
	v_add_co_ci_u32_e64 v48, s0, s11, v48, s0
	global_store_b32 v[51:52], v44, off
	global_store_b64 v[45:46], v[49:50], off
	global_store_b32 v[47:48], v42, off
	s_or_b32 exec_lo, exec_lo, s16
	s_add_i32 s7, s7, 1
	s_delay_alu instid0(SALU_CYCLE_1)
	s_cmp_ge_i32 s7, s4
	s_cbranch_scc1 .LBB126_9
.LBB126_33:                             ;   in Loop: Header=BB126_10 Depth=1
	v_ashrrev_i32_e32 v44, 31, v43
	s_mov_b32 s1, exec_lo
	s_delay_alu instid0(VALU_DEP_1) | instskip(NEXT) | instid1(VALU_DEP_1)
	v_lshrrev_b32_e32 v45, 29, v44
	v_add_nc_u32_e32 v45, v43, v45
	s_waitcnt lgkmcnt(0)
	s_delay_alu instid0(VALU_DEP_1) | instskip(SKIP_1) | instid1(VALU_DEP_2)
	v_ashrrev_i32_e32 v46, 31, v45
	v_ashrrev_i32_e32 v45, 3, v45
	v_lshrrev_b32_e32 v46, 27, v46
	s_delay_alu instid0(VALU_DEP_1) | instskip(NEXT) | instid1(VALU_DEP_1)
	v_add_nc_u32_e32 v46, v45, v46
	v_and_b32_e32 v46, 0xffffffe0, v46
	s_delay_alu instid0(VALU_DEP_1) | instskip(NEXT) | instid1(VALU_DEP_1)
	v_sub_nc_u32_e32 v46, v45, v46
	v_cmpx_eq_u32_e64 v33, v46
	s_cbranch_execz .LBB126_8
; %bb.34:                               ;   in Loop: Header=BB126_10 Depth=1
	v_lshrrev_b32_e32 v44, 24, v44
	v_lshlrev_b32_e32 v45, 3, v45
	s_delay_alu instid0(VALU_DEP_2) | instskip(NEXT) | instid1(VALU_DEP_2)
	v_add_nc_u32_e32 v44, v43, v44
	v_sub_nc_u32_e32 v43, v43, v45
	s_delay_alu instid0(VALU_DEP_2) | instskip(NEXT) | instid1(VALU_DEP_1)
	v_ashrrev_i32_e32 v44, 8, v44
	v_lshl_add_u32 v43, v44, 3, v43
	s_delay_alu instid0(VALU_DEP_1) | instskip(NEXT) | instid1(VALU_DEP_1)
	v_cmp_ne_u32_e64 s0, 15, v43
	v_cndmask_b32_e64 v31, 0xc61c4000, v31, s0
	v_cmp_ne_u32_e64 s0, 14, v43
	s_delay_alu instid0(VALU_DEP_1) | instskip(SKIP_1) | instid1(VALU_DEP_1)
	v_cndmask_b32_e64 v30, 0xc61c4000, v30, s0
	v_cmp_ne_u32_e64 s0, 13, v43
	v_cndmask_b32_e64 v29, 0xc61c4000, v29, s0
	v_cmp_ne_u32_e64 s0, 12, v43
	s_delay_alu instid0(VALU_DEP_1) | instskip(SKIP_1) | instid1(VALU_DEP_1)
	v_cndmask_b32_e64 v28, 0xc61c4000, v28, s0
	;; [unrolled: 5-line block ×7, first 2 shown]
	v_cmp_ne_u32_e64 s0, 1, v43
	v_cndmask_b32_e64 v17, 0xc61c4000, v17, s0
	v_cmp_ne_u32_e64 s0, 0, v43
	s_delay_alu instid0(VALU_DEP_1)
	v_cndmask_b32_e64 v16, 0xc61c4000, v16, s0
	s_branch .LBB126_8
.LBB126_35:
                                        ; implicit-def: $vgpr16_vgpr17_vgpr18_vgpr19_vgpr20_vgpr21_vgpr22_vgpr23_vgpr24_vgpr25_vgpr26_vgpr27_vgpr28_vgpr29_vgpr30_vgpr31
	s_and_not1_b32 vcc_lo, exec_lo, s8
	s_cbranch_vccz .LBB126_5
	s_branch .LBB126_6
.LBB126_36:
	v_mov_b32_e32 v40, 0
.LBB126_37:
	v_cmp_eq_u32_e64 s0, 0, v33
	s_delay_alu instid0(VALU_DEP_1) | instskip(NEXT) | instid1(SALU_CYCLE_1)
	s_and_b32 s0, s0, vcc_lo
	s_and_b32 exec_lo, exec_lo, s0
	s_cbranch_execz .LBB126_41
; %bb.38:
	s_and_not1_b32 vcc_lo, exec_lo, s3
	s_cbranch_vccnz .LBB126_41
; %bb.39:
	v_mul_lo_u32 v0, v32, s4
	v_cmp_lt_f32_e32 vcc_lo, 0, v40
	v_cndmask_b32_e32 v2, 1.0, v40, vcc_lo
	s_delay_alu instid0(VALU_DEP_3) | instskip(NEXT) | instid1(VALU_DEP_1)
	v_ashrrev_i32_e32 v1, 31, v0
	v_lshlrev_b64 v[0:1], 2, v[0:1]
	s_delay_alu instid0(VALU_DEP_1) | instskip(NEXT) | instid1(VALU_DEP_2)
	v_add_co_u32 v0, vcc_lo, s12, v0
	v_add_co_ci_u32_e32 v1, vcc_lo, s13, v1, vcc_lo
	.p2align	6
.LBB126_40:                             ; =>This Inner Loop Header: Depth=1
	global_load_b32 v3, v[0:1], off
	s_add_i32 s4, s4, -1
	s_delay_alu instid0(SALU_CYCLE_1) | instskip(SKIP_3) | instid1(VALU_DEP_2)
	s_cmp_lg_u32 s4, 0
	s_waitcnt vmcnt(0)
	v_div_scale_f32 v4, null, v2, v2, v3
	v_div_scale_f32 v7, vcc_lo, v3, v2, v3
	v_rcp_f32_e32 v5, v4
	s_waitcnt_depctr 0xfff
	v_fma_f32 v6, -v4, v5, 1.0
	s_delay_alu instid0(VALU_DEP_1) | instskip(NEXT) | instid1(VALU_DEP_1)
	v_fmac_f32_e32 v5, v6, v5
	v_mul_f32_e32 v6, v7, v5
	s_delay_alu instid0(VALU_DEP_1) | instskip(NEXT) | instid1(VALU_DEP_1)
	v_fma_f32 v8, -v4, v6, v7
	v_fmac_f32_e32 v6, v8, v5
	s_delay_alu instid0(VALU_DEP_1) | instskip(NEXT) | instid1(VALU_DEP_1)
	v_fma_f32 v4, -v4, v6, v7
	v_div_fmas_f32 v4, v4, v5, v6
	s_delay_alu instid0(VALU_DEP_1)
	v_div_fixup_f32 v3, v4, v2, v3
	global_store_b32 v[0:1], v3, off
	v_add_co_u32 v0, vcc_lo, v0, 4
	v_add_co_ci_u32_e32 v1, vcc_lo, 0, v1, vcc_lo
	s_cbranch_scc1 .LBB126_40
.LBB126_41:
	s_nop 0
	s_sendmsg sendmsg(MSG_DEALLOC_VGPRS)
	s_endpgm
	.section	.rodata,"a",@progbits
	.p2align	6, 0x0
	.amdhsa_kernel _ZN4vllm3moe10topkGatingILi16ELi512ELi4ELi16ELi32El6__halfLNS0_11ScoringFuncE0EEEvPKT5_PKbPfiPT4_PiiiibPKf
		.amdhsa_group_segment_fixed_size 0
		.amdhsa_private_segment_fixed_size 0
		.amdhsa_kernarg_size 72
		.amdhsa_user_sgpr_count 15
		.amdhsa_user_sgpr_dispatch_ptr 0
		.amdhsa_user_sgpr_queue_ptr 0
		.amdhsa_user_sgpr_kernarg_segment_ptr 1
		.amdhsa_user_sgpr_dispatch_id 0
		.amdhsa_user_sgpr_private_segment_size 0
		.amdhsa_wavefront_size32 1
		.amdhsa_uses_dynamic_stack 0
		.amdhsa_enable_private_segment 0
		.amdhsa_system_sgpr_workgroup_id_x 1
		.amdhsa_system_sgpr_workgroup_id_y 0
		.amdhsa_system_sgpr_workgroup_id_z 0
		.amdhsa_system_sgpr_workgroup_info 0
		.amdhsa_system_vgpr_workitem_id 1
		.amdhsa_next_free_vgpr 71
		.amdhsa_next_free_sgpr 18
		.amdhsa_reserve_vcc 1
		.amdhsa_float_round_mode_32 0
		.amdhsa_float_round_mode_16_64 0
		.amdhsa_float_denorm_mode_32 3
		.amdhsa_float_denorm_mode_16_64 3
		.amdhsa_dx10_clamp 1
		.amdhsa_ieee_mode 1
		.amdhsa_fp16_overflow 0
		.amdhsa_workgroup_processor_mode 1
		.amdhsa_memory_ordered 1
		.amdhsa_forward_progress 0
		.amdhsa_shared_vgpr_count 0
		.amdhsa_exception_fp_ieee_invalid_op 0
		.amdhsa_exception_fp_denorm_src 0
		.amdhsa_exception_fp_ieee_div_zero 0
		.amdhsa_exception_fp_ieee_overflow 0
		.amdhsa_exception_fp_ieee_underflow 0
		.amdhsa_exception_fp_ieee_inexact 0
		.amdhsa_exception_int_div_zero 0
	.end_amdhsa_kernel
	.section	.text._ZN4vllm3moe10topkGatingILi16ELi512ELi4ELi16ELi32El6__halfLNS0_11ScoringFuncE0EEEvPKT5_PKbPfiPT4_PiiiibPKf,"axG",@progbits,_ZN4vllm3moe10topkGatingILi16ELi512ELi4ELi16ELi32El6__halfLNS0_11ScoringFuncE0EEEvPKT5_PKbPfiPT4_PiiiibPKf,comdat
.Lfunc_end126:
	.size	_ZN4vllm3moe10topkGatingILi16ELi512ELi4ELi16ELi32El6__halfLNS0_11ScoringFuncE0EEEvPKT5_PKbPfiPT4_PiiiibPKf, .Lfunc_end126-_ZN4vllm3moe10topkGatingILi16ELi512ELi4ELi16ELi32El6__halfLNS0_11ScoringFuncE0EEEvPKT5_PKbPfiPT4_PiiiibPKf
                                        ; -- End function
	.section	.AMDGPU.csdata,"",@progbits
; Kernel info:
; codeLenInByte = 5228
; NumSgprs: 20
; NumVgprs: 71
; ScratchSize: 0
; MemoryBound: 0
; FloatMode: 240
; IeeeMode: 1
; LDSByteSize: 0 bytes/workgroup (compile time only)
; SGPRBlocks: 2
; VGPRBlocks: 8
; NumSGPRsForWavesPerEU: 20
; NumVGPRsForWavesPerEU: 71
; Occupancy: 16
; WaveLimiterHint : 1
; COMPUTE_PGM_RSRC2:SCRATCH_EN: 0
; COMPUTE_PGM_RSRC2:USER_SGPR: 15
; COMPUTE_PGM_RSRC2:TRAP_HANDLER: 0
; COMPUTE_PGM_RSRC2:TGID_X_EN: 1
; COMPUTE_PGM_RSRC2:TGID_Y_EN: 0
; COMPUTE_PGM_RSRC2:TGID_Z_EN: 0
; COMPUTE_PGM_RSRC2:TIDIG_COMP_CNT: 1
	.section	.text._ZN4vllm3moe10topkGatingILi1ELi1ELi4ELi2ELi64Ei14__hip_bfloat16LNS0_11ScoringFuncE0EEEvPKT5_PKbPfiPT4_PiiiibPKf,"axG",@progbits,_ZN4vllm3moe10topkGatingILi1ELi1ELi4ELi2ELi64Ei14__hip_bfloat16LNS0_11ScoringFuncE0EEEvPKT5_PKbPfiPT4_PiiiibPKf,comdat
	.protected	_ZN4vllm3moe10topkGatingILi1ELi1ELi4ELi2ELi64Ei14__hip_bfloat16LNS0_11ScoringFuncE0EEEvPKT5_PKbPfiPT4_PiiiibPKf ; -- Begin function _ZN4vllm3moe10topkGatingILi1ELi1ELi4ELi2ELi64Ei14__hip_bfloat16LNS0_11ScoringFuncE0EEEvPKT5_PKbPfiPT4_PiiiibPKf
	.globl	_ZN4vllm3moe10topkGatingILi1ELi1ELi4ELi2ELi64Ei14__hip_bfloat16LNS0_11ScoringFuncE0EEEvPKT5_PKbPfiPT4_PiiiibPKf
	.p2align	8
	.type	_ZN4vllm3moe10topkGatingILi1ELi1ELi4ELi2ELi64Ei14__hip_bfloat16LNS0_11ScoringFuncE0EEEvPKT5_PKbPfiPT4_PiiiibPKf,@function
_ZN4vllm3moe10topkGatingILi1ELi1ELi4ELi2ELi64Ei14__hip_bfloat16LNS0_11ScoringFuncE0EEEvPKT5_PKbPfiPT4_PiiiibPKf: ; @_ZN4vllm3moe10topkGatingILi1ELi1ELi4ELi2ELi64Ei14__hip_bfloat16LNS0_11ScoringFuncE0EEEvPKT5_PKbPfiPT4_PiiiibPKf
; %bb.0:
	s_load_b32 s3, s[0:1], 0x18
	v_bfe_u32 v1, v0, 10, 10
	v_and_b32_e32 v0, 0x3ff, v0
	s_lshl_b32 s2, s15, 8
	s_delay_alu instid0(VALU_DEP_2) | instskip(NEXT) | instid1(VALU_DEP_1)
	v_lshlrev_b32_e32 v1, 6, v1
	v_add3_u32 v0, v1, v0, s2
	s_mov_b32 s2, exec_lo
	s_waitcnt lgkmcnt(0)
	s_delay_alu instid0(VALU_DEP_1)
	v_cmpx_gt_i32_e64 s3, v0
	s_cbranch_execz .LBB127_12
; %bb.1:
	s_clause 0x1
	s_load_b128 s[8:11], s[0:1], 0x0
	s_load_b64 s[12:13], s[0:1], 0x10
	v_ashrrev_i32_e32 v1, 31, v0
	s_waitcnt lgkmcnt(0)
	s_cmp_eq_u64 s[10:11], 0
	s_cbranch_scc1 .LBB127_3
; %bb.2:
	v_add_co_u32 v2, vcc_lo, s10, v0
	v_add_co_ci_u32_e32 v3, vcc_lo, s11, v1, vcc_lo
	global_load_u8 v2, v[2:3], off
	s_waitcnt vmcnt(0)
	v_and_b32_e32 v2, 1, v2
	s_delay_alu instid0(VALU_DEP_1) | instskip(SKIP_1) | instid1(SALU_CYCLE_1)
	v_cmp_eq_u32_e32 vcc_lo, 1, v2
	s_xor_b32 s2, vcc_lo, -1
	s_or_not1_b32 s10, s2, exec_lo
	s_branch .LBB127_4
.LBB127_3:
	s_mov_b32 s10, -1
.LBB127_4:
	s_load_b128 s[4:7], s[0:1], 0x30
	s_waitcnt lgkmcnt(0)
	s_bitcmp1_b32 s7, 0
	s_cselect_b32 s2, -1, 0
	s_cmp_gt_i32 s4, 0
	s_cselect_b32 s7, -1, 0
	s_cmp_lt_i32 s4, 1
	s_cbranch_scc1 .LBB127_8
; %bb.5:
	v_lshlrev_b64 v[1:2], 1, v[0:1]
	s_load_b128 s[16:19], s[0:1], 0x20
	s_cmp_lt_i32 s5, 1
	v_mov_b32_e32 v7, 0
	s_cselect_b32 s0, -1, 0
	s_cmp_gt_i32 s6, 0
	v_add_co_u32 v1, vcc_lo, s8, v1
	v_add_co_ci_u32_e32 v2, vcc_lo, s9, v2, vcc_lo
	s_cselect_b32 s1, -1, 0
	s_sub_i32 s5, 0, s5
	s_and_b32 s0, s0, s1
	global_load_u16 v1, v[1:2], off
	s_and_b32 s0, s10, s0
	s_waitcnt vmcnt(0)
	v_lshlrev_b32_e32 v1, 16, v1
	s_delay_alu instid0(VALU_DEP_1) | instskip(NEXT) | instid1(VALU_DEP_1)
	v_sub_f32_e32 v1, v1, v1
	v_mul_f32_e32 v2, 0x3fb8aa3b, v1
	s_delay_alu instid0(VALU_DEP_1) | instskip(SKIP_1) | instid1(VALU_DEP_1)
	v_fma_f32 v3, 0x3fb8aa3b, v1, -v2
	v_rndne_f32_e32 v4, v2
	v_dual_fmamk_f32 v3, v1, 0x32a5705f, v3 :: v_dual_sub_f32 v2, v2, v4
	s_delay_alu instid0(VALU_DEP_1) | instskip(SKIP_2) | instid1(VALU_DEP_3)
	v_add_f32_e32 v2, v2, v3
	v_cvt_i32_f32_e32 v3, v4
	v_cmp_ngt_f32_e32 vcc_lo, 0xc2ce8ed0, v1
	v_exp_f32_e32 v2, v2
	s_waitcnt_depctr 0xfff
	v_ldexp_f32 v2, v2, v3
	s_delay_alu instid0(VALU_DEP_1) | instskip(SKIP_1) | instid1(VALU_DEP_2)
	v_cndmask_b32_e32 v2, 0, v2, vcc_lo
	v_cmp_nlt_f32_e32 vcc_lo, 0x42b17218, v1
	v_cndmask_b32_e32 v9, 0x7f800000, v2, vcc_lo
	s_delay_alu instid0(VALU_DEP_1) | instskip(NEXT) | instid1(VALU_DEP_1)
	v_div_scale_f32 v3, null, v9, v9, 1.0
	v_rcp_f32_e32 v4, v3
	s_waitcnt_depctr 0xfff
	v_fma_f32 v1, -v3, v4, 1.0
	s_delay_alu instid0(VALU_DEP_1) | instskip(SKIP_2) | instid1(VALU_DEP_2)
	v_fmac_f32_e32 v4, v1, v4
	v_div_scale_f32 v8, vcc_lo, 1.0, v9, 1.0
	v_mul_lo_u32 v1, v0, s4
	v_mul_f32_e32 v10, v8, v4
	s_delay_alu instid0(VALU_DEP_2) | instskip(NEXT) | instid1(VALU_DEP_2)
	v_ashrrev_i32_e32 v2, 31, v1
	v_fma_f32 v5, -v3, v10, v8
	s_delay_alu instid0(VALU_DEP_1) | instskip(NEXT) | instid1(VALU_DEP_3)
	v_fmac_f32_e32 v10, v5, v4
	v_lshlrev_b64 v[5:6], 2, v[1:2]
	s_delay_alu instid0(VALU_DEP_2) | instskip(SKIP_2) | instid1(VALU_DEP_2)
	v_fma_f32 v1, -v3, v10, v8
	v_cndmask_b32_e64 v8, 1, s5, s0
	s_mov_b32 s0, s4
	v_div_fmas_f32 v3, v1, v4, v10
	s_delay_alu instid0(VALU_DEP_4) | instskip(SKIP_1) | instid1(VALU_DEP_3)
	v_add_co_u32 v1, vcc_lo, s12, v5
	v_add_co_ci_u32_e32 v2, vcc_lo, s13, v6, vcc_lo
	v_div_fixup_f32 v10, v3, v9, 1.0
	s_waitcnt lgkmcnt(0)
	v_add_co_u32 v3, vcc_lo, s16, v5
	v_add_co_ci_u32_e32 v4, vcc_lo, s17, v6, vcc_lo
	s_delay_alu instid0(VALU_DEP_3) | instskip(SKIP_2) | instid1(VALU_DEP_3)
	v_dual_mul_f32 v9, v9, v10 :: v_dual_mov_b32 v10, v0
	v_add_co_u32 v5, vcc_lo, s18, v5
	v_add_co_ci_u32_e32 v6, vcc_lo, s19, v6, vcc_lo
	v_cmp_class_f32_e64 vcc_lo, v9, 0x1f8
	v_cndmask_b32_e32 v9, 0, v9, vcc_lo
	.p2align	6
.LBB127_6:                              ; =>This Inner Loop Header: Depth=1
	global_store_b32 v[1:2], v9, off
	global_store_b32 v[3:4], v8, off
	;; [unrolled: 1-line block ×3, first 2 shown]
	v_add_co_u32 v1, vcc_lo, v1, 4
	v_add_co_ci_u32_e32 v2, vcc_lo, 0, v2, vcc_lo
	v_dual_add_f32 v11, v7, v9 :: v_dual_add_nc_u32 v10, s3, v10
	v_add_co_u32 v3, vcc_lo, v3, 4
	v_add_co_ci_u32_e32 v4, vcc_lo, 0, v4, vcc_lo
	v_add_co_u32 v5, vcc_lo, v5, 4
	s_delay_alu instid0(VALU_DEP_4) | instskip(SKIP_2) | instid1(SALU_CYCLE_1)
	v_cndmask_b32_e64 v7, v7, v11, s2
	v_add_co_ci_u32_e32 v6, vcc_lo, 0, v6, vcc_lo
	s_add_i32 s0, s0, -1
	s_cmp_lg_u32 s0, 0
	s_cbranch_scc1 .LBB127_6
; %bb.7:
	s_and_not1_b32 vcc_lo, exec_lo, s2
	s_cbranch_vccz .LBB127_9
	s_branch .LBB127_12
.LBB127_8:
	v_mov_b32_e32 v7, 0
	s_and_not1_b32 vcc_lo, exec_lo, s2
	s_cbranch_vccnz .LBB127_12
.LBB127_9:
	s_and_not1_b32 vcc_lo, exec_lo, s7
	s_cbranch_vccnz .LBB127_12
; %bb.10:
	v_mul_lo_u32 v0, v0, s4
	v_cmp_lt_f32_e32 vcc_lo, 0, v7
	v_cndmask_b32_e32 v2, 1.0, v7, vcc_lo
	s_delay_alu instid0(VALU_DEP_3) | instskip(NEXT) | instid1(VALU_DEP_1)
	v_ashrrev_i32_e32 v1, 31, v0
	v_lshlrev_b64 v[0:1], 2, v[0:1]
	s_delay_alu instid0(VALU_DEP_1) | instskip(NEXT) | instid1(VALU_DEP_2)
	v_add_co_u32 v0, vcc_lo, s12, v0
	v_add_co_ci_u32_e32 v1, vcc_lo, s13, v1, vcc_lo
	.p2align	6
.LBB127_11:                             ; =>This Inner Loop Header: Depth=1
	global_load_b32 v3, v[0:1], off
	s_add_i32 s4, s4, -1
	s_delay_alu instid0(SALU_CYCLE_1) | instskip(SKIP_3) | instid1(VALU_DEP_2)
	s_cmp_lg_u32 s4, 0
	s_waitcnt vmcnt(0)
	v_div_scale_f32 v4, null, v2, v2, v3
	v_div_scale_f32 v7, vcc_lo, v3, v2, v3
	v_rcp_f32_e32 v5, v4
	s_waitcnt_depctr 0xfff
	v_fma_f32 v6, -v4, v5, 1.0
	s_delay_alu instid0(VALU_DEP_1) | instskip(NEXT) | instid1(VALU_DEP_1)
	v_fmac_f32_e32 v5, v6, v5
	v_mul_f32_e32 v6, v7, v5
	s_delay_alu instid0(VALU_DEP_1) | instskip(NEXT) | instid1(VALU_DEP_1)
	v_fma_f32 v8, -v4, v6, v7
	v_fmac_f32_e32 v6, v8, v5
	s_delay_alu instid0(VALU_DEP_1) | instskip(NEXT) | instid1(VALU_DEP_1)
	v_fma_f32 v4, -v4, v6, v7
	v_div_fmas_f32 v4, v4, v5, v6
	s_delay_alu instid0(VALU_DEP_1)
	v_div_fixup_f32 v3, v4, v2, v3
	global_store_b32 v[0:1], v3, off
	v_add_co_u32 v0, vcc_lo, v0, 4
	v_add_co_ci_u32_e32 v1, vcc_lo, 0, v1, vcc_lo
	s_cbranch_scc1 .LBB127_11
.LBB127_12:
	s_nop 0
	s_sendmsg sendmsg(MSG_DEALLOC_VGPRS)
	s_endpgm
	.section	.rodata,"a",@progbits
	.p2align	6, 0x0
	.amdhsa_kernel _ZN4vllm3moe10topkGatingILi1ELi1ELi4ELi2ELi64Ei14__hip_bfloat16LNS0_11ScoringFuncE0EEEvPKT5_PKbPfiPT4_PiiiibPKf
		.amdhsa_group_segment_fixed_size 0
		.amdhsa_private_segment_fixed_size 0
		.amdhsa_kernarg_size 72
		.amdhsa_user_sgpr_count 15
		.amdhsa_user_sgpr_dispatch_ptr 0
		.amdhsa_user_sgpr_queue_ptr 0
		.amdhsa_user_sgpr_kernarg_segment_ptr 1
		.amdhsa_user_sgpr_dispatch_id 0
		.amdhsa_user_sgpr_private_segment_size 0
		.amdhsa_wavefront_size32 1
		.amdhsa_uses_dynamic_stack 0
		.amdhsa_enable_private_segment 0
		.amdhsa_system_sgpr_workgroup_id_x 1
		.amdhsa_system_sgpr_workgroup_id_y 0
		.amdhsa_system_sgpr_workgroup_id_z 0
		.amdhsa_system_sgpr_workgroup_info 0
		.amdhsa_system_vgpr_workitem_id 1
		.amdhsa_next_free_vgpr 12
		.amdhsa_next_free_sgpr 20
		.amdhsa_reserve_vcc 1
		.amdhsa_float_round_mode_32 0
		.amdhsa_float_round_mode_16_64 0
		.amdhsa_float_denorm_mode_32 3
		.amdhsa_float_denorm_mode_16_64 3
		.amdhsa_dx10_clamp 1
		.amdhsa_ieee_mode 1
		.amdhsa_fp16_overflow 0
		.amdhsa_workgroup_processor_mode 1
		.amdhsa_memory_ordered 1
		.amdhsa_forward_progress 0
		.amdhsa_shared_vgpr_count 0
		.amdhsa_exception_fp_ieee_invalid_op 0
		.amdhsa_exception_fp_denorm_src 0
		.amdhsa_exception_fp_ieee_div_zero 0
		.amdhsa_exception_fp_ieee_overflow 0
		.amdhsa_exception_fp_ieee_underflow 0
		.amdhsa_exception_fp_ieee_inexact 0
		.amdhsa_exception_int_div_zero 0
	.end_amdhsa_kernel
	.section	.text._ZN4vllm3moe10topkGatingILi1ELi1ELi4ELi2ELi64Ei14__hip_bfloat16LNS0_11ScoringFuncE0EEEvPKT5_PKbPfiPT4_PiiiibPKf,"axG",@progbits,_ZN4vllm3moe10topkGatingILi1ELi1ELi4ELi2ELi64Ei14__hip_bfloat16LNS0_11ScoringFuncE0EEEvPKT5_PKbPfiPT4_PiiiibPKf,comdat
.Lfunc_end127:
	.size	_ZN4vllm3moe10topkGatingILi1ELi1ELi4ELi2ELi64Ei14__hip_bfloat16LNS0_11ScoringFuncE0EEEvPKT5_PKbPfiPT4_PiiiibPKf, .Lfunc_end127-_ZN4vllm3moe10topkGatingILi1ELi1ELi4ELi2ELi64Ei14__hip_bfloat16LNS0_11ScoringFuncE0EEEvPKT5_PKbPfiPT4_PiiiibPKf
                                        ; -- End function
	.section	.AMDGPU.csdata,"",@progbits
; Kernel info:
; codeLenInByte = 900
; NumSgprs: 22
; NumVgprs: 12
; ScratchSize: 0
; MemoryBound: 0
; FloatMode: 240
; IeeeMode: 1
; LDSByteSize: 0 bytes/workgroup (compile time only)
; SGPRBlocks: 2
; VGPRBlocks: 1
; NumSGPRsForWavesPerEU: 22
; NumVGPRsForWavesPerEU: 12
; Occupancy: 16
; WaveLimiterHint : 0
; COMPUTE_PGM_RSRC2:SCRATCH_EN: 0
; COMPUTE_PGM_RSRC2:USER_SGPR: 15
; COMPUTE_PGM_RSRC2:TRAP_HANDLER: 0
; COMPUTE_PGM_RSRC2:TGID_X_EN: 1
; COMPUTE_PGM_RSRC2:TGID_Y_EN: 0
; COMPUTE_PGM_RSRC2:TGID_Z_EN: 0
; COMPUTE_PGM_RSRC2:TIDIG_COMP_CNT: 1
	.section	.text._ZN4vllm3moe10topkGatingILi1ELi1ELi4ELi2ELi32Ei14__hip_bfloat16LNS0_11ScoringFuncE0EEEvPKT5_PKbPfiPT4_PiiiibPKf,"axG",@progbits,_ZN4vllm3moe10topkGatingILi1ELi1ELi4ELi2ELi32Ei14__hip_bfloat16LNS0_11ScoringFuncE0EEEvPKT5_PKbPfiPT4_PiiiibPKf,comdat
	.protected	_ZN4vllm3moe10topkGatingILi1ELi1ELi4ELi2ELi32Ei14__hip_bfloat16LNS0_11ScoringFuncE0EEEvPKT5_PKbPfiPT4_PiiiibPKf ; -- Begin function _ZN4vllm3moe10topkGatingILi1ELi1ELi4ELi2ELi32Ei14__hip_bfloat16LNS0_11ScoringFuncE0EEEvPKT5_PKbPfiPT4_PiiiibPKf
	.globl	_ZN4vllm3moe10topkGatingILi1ELi1ELi4ELi2ELi32Ei14__hip_bfloat16LNS0_11ScoringFuncE0EEEvPKT5_PKbPfiPT4_PiiiibPKf
	.p2align	8
	.type	_ZN4vllm3moe10topkGatingILi1ELi1ELi4ELi2ELi32Ei14__hip_bfloat16LNS0_11ScoringFuncE0EEEvPKT5_PKbPfiPT4_PiiiibPKf,@function
_ZN4vllm3moe10topkGatingILi1ELi1ELi4ELi2ELi32Ei14__hip_bfloat16LNS0_11ScoringFuncE0EEEvPKT5_PKbPfiPT4_PiiiibPKf: ; @_ZN4vllm3moe10topkGatingILi1ELi1ELi4ELi2ELi32Ei14__hip_bfloat16LNS0_11ScoringFuncE0EEEvPKT5_PKbPfiPT4_PiiiibPKf
; %bb.0:
	s_load_b32 s3, s[0:1], 0x18
	v_bfe_u32 v1, v0, 10, 10
	v_and_b32_e32 v0, 0x3ff, v0
	s_lshl_b32 s2, s15, 7
	s_delay_alu instid0(VALU_DEP_2) | instskip(NEXT) | instid1(VALU_DEP_1)
	v_lshlrev_b32_e32 v1, 5, v1
	v_add3_u32 v0, v1, v0, s2
	s_mov_b32 s2, exec_lo
	s_waitcnt lgkmcnt(0)
	s_delay_alu instid0(VALU_DEP_1)
	v_cmpx_gt_i32_e64 s3, v0
	s_cbranch_execz .LBB128_12
; %bb.1:
	s_clause 0x1
	s_load_b128 s[8:11], s[0:1], 0x0
	s_load_b64 s[12:13], s[0:1], 0x10
	v_ashrrev_i32_e32 v1, 31, v0
	s_waitcnt lgkmcnt(0)
	s_cmp_eq_u64 s[10:11], 0
	s_cbranch_scc1 .LBB128_3
; %bb.2:
	v_add_co_u32 v2, vcc_lo, s10, v0
	v_add_co_ci_u32_e32 v3, vcc_lo, s11, v1, vcc_lo
	global_load_u8 v2, v[2:3], off
	s_waitcnt vmcnt(0)
	v_and_b32_e32 v2, 1, v2
	s_delay_alu instid0(VALU_DEP_1) | instskip(SKIP_1) | instid1(SALU_CYCLE_1)
	v_cmp_eq_u32_e32 vcc_lo, 1, v2
	s_xor_b32 s2, vcc_lo, -1
	s_or_not1_b32 s10, s2, exec_lo
	s_branch .LBB128_4
.LBB128_3:
	s_mov_b32 s10, -1
.LBB128_4:
	s_load_b128 s[4:7], s[0:1], 0x30
	s_waitcnt lgkmcnt(0)
	s_bitcmp1_b32 s7, 0
	s_cselect_b32 s2, -1, 0
	s_cmp_gt_i32 s4, 0
	s_cselect_b32 s7, -1, 0
	s_cmp_lt_i32 s4, 1
	s_cbranch_scc1 .LBB128_8
; %bb.5:
	v_lshlrev_b64 v[1:2], 1, v[0:1]
	s_load_b128 s[16:19], s[0:1], 0x20
	s_cmp_lt_i32 s5, 1
	v_mov_b32_e32 v7, 0
	s_cselect_b32 s0, -1, 0
	s_cmp_gt_i32 s6, 0
	v_add_co_u32 v1, vcc_lo, s8, v1
	v_add_co_ci_u32_e32 v2, vcc_lo, s9, v2, vcc_lo
	s_cselect_b32 s1, -1, 0
	s_sub_i32 s5, 0, s5
	s_and_b32 s0, s0, s1
	global_load_u16 v1, v[1:2], off
	s_and_b32 s0, s10, s0
	s_waitcnt vmcnt(0)
	v_lshlrev_b32_e32 v1, 16, v1
	s_delay_alu instid0(VALU_DEP_1) | instskip(NEXT) | instid1(VALU_DEP_1)
	v_sub_f32_e32 v1, v1, v1
	v_mul_f32_e32 v2, 0x3fb8aa3b, v1
	s_delay_alu instid0(VALU_DEP_1) | instskip(SKIP_1) | instid1(VALU_DEP_1)
	v_fma_f32 v3, 0x3fb8aa3b, v1, -v2
	v_rndne_f32_e32 v4, v2
	v_dual_fmamk_f32 v3, v1, 0x32a5705f, v3 :: v_dual_sub_f32 v2, v2, v4
	s_delay_alu instid0(VALU_DEP_1) | instskip(SKIP_2) | instid1(VALU_DEP_3)
	v_add_f32_e32 v2, v2, v3
	v_cvt_i32_f32_e32 v3, v4
	v_cmp_ngt_f32_e32 vcc_lo, 0xc2ce8ed0, v1
	v_exp_f32_e32 v2, v2
	s_waitcnt_depctr 0xfff
	v_ldexp_f32 v2, v2, v3
	s_delay_alu instid0(VALU_DEP_1) | instskip(SKIP_1) | instid1(VALU_DEP_2)
	v_cndmask_b32_e32 v2, 0, v2, vcc_lo
	v_cmp_nlt_f32_e32 vcc_lo, 0x42b17218, v1
	v_cndmask_b32_e32 v9, 0x7f800000, v2, vcc_lo
	s_delay_alu instid0(VALU_DEP_1) | instskip(NEXT) | instid1(VALU_DEP_1)
	v_div_scale_f32 v3, null, v9, v9, 1.0
	v_rcp_f32_e32 v4, v3
	s_waitcnt_depctr 0xfff
	v_fma_f32 v1, -v3, v4, 1.0
	s_delay_alu instid0(VALU_DEP_1) | instskip(SKIP_2) | instid1(VALU_DEP_2)
	v_fmac_f32_e32 v4, v1, v4
	v_div_scale_f32 v8, vcc_lo, 1.0, v9, 1.0
	v_mul_lo_u32 v1, v0, s4
	v_mul_f32_e32 v10, v8, v4
	s_delay_alu instid0(VALU_DEP_2) | instskip(NEXT) | instid1(VALU_DEP_2)
	v_ashrrev_i32_e32 v2, 31, v1
	v_fma_f32 v5, -v3, v10, v8
	s_delay_alu instid0(VALU_DEP_1) | instskip(NEXT) | instid1(VALU_DEP_3)
	v_fmac_f32_e32 v10, v5, v4
	v_lshlrev_b64 v[5:6], 2, v[1:2]
	s_delay_alu instid0(VALU_DEP_2) | instskip(SKIP_2) | instid1(VALU_DEP_2)
	v_fma_f32 v1, -v3, v10, v8
	v_cndmask_b32_e64 v8, 1, s5, s0
	s_mov_b32 s0, s4
	v_div_fmas_f32 v3, v1, v4, v10
	s_delay_alu instid0(VALU_DEP_4) | instskip(SKIP_1) | instid1(VALU_DEP_3)
	v_add_co_u32 v1, vcc_lo, s12, v5
	v_add_co_ci_u32_e32 v2, vcc_lo, s13, v6, vcc_lo
	v_div_fixup_f32 v10, v3, v9, 1.0
	s_waitcnt lgkmcnt(0)
	v_add_co_u32 v3, vcc_lo, s16, v5
	v_add_co_ci_u32_e32 v4, vcc_lo, s17, v6, vcc_lo
	s_delay_alu instid0(VALU_DEP_3) | instskip(SKIP_2) | instid1(VALU_DEP_3)
	v_dual_mul_f32 v9, v9, v10 :: v_dual_mov_b32 v10, v0
	v_add_co_u32 v5, vcc_lo, s18, v5
	v_add_co_ci_u32_e32 v6, vcc_lo, s19, v6, vcc_lo
	v_cmp_class_f32_e64 vcc_lo, v9, 0x1f8
	v_cndmask_b32_e32 v9, 0, v9, vcc_lo
	.p2align	6
.LBB128_6:                              ; =>This Inner Loop Header: Depth=1
	global_store_b32 v[1:2], v9, off
	global_store_b32 v[3:4], v8, off
	;; [unrolled: 1-line block ×3, first 2 shown]
	v_add_co_u32 v1, vcc_lo, v1, 4
	v_add_co_ci_u32_e32 v2, vcc_lo, 0, v2, vcc_lo
	v_dual_add_f32 v11, v7, v9 :: v_dual_add_nc_u32 v10, s3, v10
	v_add_co_u32 v3, vcc_lo, v3, 4
	v_add_co_ci_u32_e32 v4, vcc_lo, 0, v4, vcc_lo
	v_add_co_u32 v5, vcc_lo, v5, 4
	s_delay_alu instid0(VALU_DEP_4) | instskip(SKIP_2) | instid1(SALU_CYCLE_1)
	v_cndmask_b32_e64 v7, v7, v11, s2
	v_add_co_ci_u32_e32 v6, vcc_lo, 0, v6, vcc_lo
	s_add_i32 s0, s0, -1
	s_cmp_lg_u32 s0, 0
	s_cbranch_scc1 .LBB128_6
; %bb.7:
	s_and_not1_b32 vcc_lo, exec_lo, s2
	s_cbranch_vccz .LBB128_9
	s_branch .LBB128_12
.LBB128_8:
	v_mov_b32_e32 v7, 0
	s_and_not1_b32 vcc_lo, exec_lo, s2
	s_cbranch_vccnz .LBB128_12
.LBB128_9:
	s_and_not1_b32 vcc_lo, exec_lo, s7
	s_cbranch_vccnz .LBB128_12
; %bb.10:
	v_mul_lo_u32 v0, v0, s4
	v_cmp_lt_f32_e32 vcc_lo, 0, v7
	v_cndmask_b32_e32 v2, 1.0, v7, vcc_lo
	s_delay_alu instid0(VALU_DEP_3) | instskip(NEXT) | instid1(VALU_DEP_1)
	v_ashrrev_i32_e32 v1, 31, v0
	v_lshlrev_b64 v[0:1], 2, v[0:1]
	s_delay_alu instid0(VALU_DEP_1) | instskip(NEXT) | instid1(VALU_DEP_2)
	v_add_co_u32 v0, vcc_lo, s12, v0
	v_add_co_ci_u32_e32 v1, vcc_lo, s13, v1, vcc_lo
	.p2align	6
.LBB128_11:                             ; =>This Inner Loop Header: Depth=1
	global_load_b32 v3, v[0:1], off
	s_add_i32 s4, s4, -1
	s_delay_alu instid0(SALU_CYCLE_1) | instskip(SKIP_3) | instid1(VALU_DEP_2)
	s_cmp_lg_u32 s4, 0
	s_waitcnt vmcnt(0)
	v_div_scale_f32 v4, null, v2, v2, v3
	v_div_scale_f32 v7, vcc_lo, v3, v2, v3
	v_rcp_f32_e32 v5, v4
	s_waitcnt_depctr 0xfff
	v_fma_f32 v6, -v4, v5, 1.0
	s_delay_alu instid0(VALU_DEP_1) | instskip(NEXT) | instid1(VALU_DEP_1)
	v_fmac_f32_e32 v5, v6, v5
	v_mul_f32_e32 v6, v7, v5
	s_delay_alu instid0(VALU_DEP_1) | instskip(NEXT) | instid1(VALU_DEP_1)
	v_fma_f32 v8, -v4, v6, v7
	v_fmac_f32_e32 v6, v8, v5
	s_delay_alu instid0(VALU_DEP_1) | instskip(NEXT) | instid1(VALU_DEP_1)
	v_fma_f32 v4, -v4, v6, v7
	v_div_fmas_f32 v4, v4, v5, v6
	s_delay_alu instid0(VALU_DEP_1)
	v_div_fixup_f32 v3, v4, v2, v3
	global_store_b32 v[0:1], v3, off
	v_add_co_u32 v0, vcc_lo, v0, 4
	v_add_co_ci_u32_e32 v1, vcc_lo, 0, v1, vcc_lo
	s_cbranch_scc1 .LBB128_11
.LBB128_12:
	s_nop 0
	s_sendmsg sendmsg(MSG_DEALLOC_VGPRS)
	s_endpgm
	.section	.rodata,"a",@progbits
	.p2align	6, 0x0
	.amdhsa_kernel _ZN4vllm3moe10topkGatingILi1ELi1ELi4ELi2ELi32Ei14__hip_bfloat16LNS0_11ScoringFuncE0EEEvPKT5_PKbPfiPT4_PiiiibPKf
		.amdhsa_group_segment_fixed_size 0
		.amdhsa_private_segment_fixed_size 0
		.amdhsa_kernarg_size 72
		.amdhsa_user_sgpr_count 15
		.amdhsa_user_sgpr_dispatch_ptr 0
		.amdhsa_user_sgpr_queue_ptr 0
		.amdhsa_user_sgpr_kernarg_segment_ptr 1
		.amdhsa_user_sgpr_dispatch_id 0
		.amdhsa_user_sgpr_private_segment_size 0
		.amdhsa_wavefront_size32 1
		.amdhsa_uses_dynamic_stack 0
		.amdhsa_enable_private_segment 0
		.amdhsa_system_sgpr_workgroup_id_x 1
		.amdhsa_system_sgpr_workgroup_id_y 0
		.amdhsa_system_sgpr_workgroup_id_z 0
		.amdhsa_system_sgpr_workgroup_info 0
		.amdhsa_system_vgpr_workitem_id 1
		.amdhsa_next_free_vgpr 12
		.amdhsa_next_free_sgpr 20
		.amdhsa_reserve_vcc 1
		.amdhsa_float_round_mode_32 0
		.amdhsa_float_round_mode_16_64 0
		.amdhsa_float_denorm_mode_32 3
		.amdhsa_float_denorm_mode_16_64 3
		.amdhsa_dx10_clamp 1
		.amdhsa_ieee_mode 1
		.amdhsa_fp16_overflow 0
		.amdhsa_workgroup_processor_mode 1
		.amdhsa_memory_ordered 1
		.amdhsa_forward_progress 0
		.amdhsa_shared_vgpr_count 0
		.amdhsa_exception_fp_ieee_invalid_op 0
		.amdhsa_exception_fp_denorm_src 0
		.amdhsa_exception_fp_ieee_div_zero 0
		.amdhsa_exception_fp_ieee_overflow 0
		.amdhsa_exception_fp_ieee_underflow 0
		.amdhsa_exception_fp_ieee_inexact 0
		.amdhsa_exception_int_div_zero 0
	.end_amdhsa_kernel
	.section	.text._ZN4vllm3moe10topkGatingILi1ELi1ELi4ELi2ELi32Ei14__hip_bfloat16LNS0_11ScoringFuncE0EEEvPKT5_PKbPfiPT4_PiiiibPKf,"axG",@progbits,_ZN4vllm3moe10topkGatingILi1ELi1ELi4ELi2ELi32Ei14__hip_bfloat16LNS0_11ScoringFuncE0EEEvPKT5_PKbPfiPT4_PiiiibPKf,comdat
.Lfunc_end128:
	.size	_ZN4vllm3moe10topkGatingILi1ELi1ELi4ELi2ELi32Ei14__hip_bfloat16LNS0_11ScoringFuncE0EEEvPKT5_PKbPfiPT4_PiiiibPKf, .Lfunc_end128-_ZN4vllm3moe10topkGatingILi1ELi1ELi4ELi2ELi32Ei14__hip_bfloat16LNS0_11ScoringFuncE0EEEvPKT5_PKbPfiPT4_PiiiibPKf
                                        ; -- End function
	.section	.AMDGPU.csdata,"",@progbits
; Kernel info:
; codeLenInByte = 900
; NumSgprs: 22
; NumVgprs: 12
; ScratchSize: 0
; MemoryBound: 0
; FloatMode: 240
; IeeeMode: 1
; LDSByteSize: 0 bytes/workgroup (compile time only)
; SGPRBlocks: 2
; VGPRBlocks: 1
; NumSGPRsForWavesPerEU: 22
; NumVGPRsForWavesPerEU: 12
; Occupancy: 16
; WaveLimiterHint : 0
; COMPUTE_PGM_RSRC2:SCRATCH_EN: 0
; COMPUTE_PGM_RSRC2:USER_SGPR: 15
; COMPUTE_PGM_RSRC2:TRAP_HANDLER: 0
; COMPUTE_PGM_RSRC2:TGID_X_EN: 1
; COMPUTE_PGM_RSRC2:TGID_Y_EN: 0
; COMPUTE_PGM_RSRC2:TGID_Z_EN: 0
; COMPUTE_PGM_RSRC2:TIDIG_COMP_CNT: 1
	.section	.text._ZN4vllm3moe10topkGatingILi2ELi2ELi4ELi4ELi64Ei14__hip_bfloat16LNS0_11ScoringFuncE0EEEvPKT5_PKbPfiPT4_PiiiibPKf,"axG",@progbits,_ZN4vllm3moe10topkGatingILi2ELi2ELi4ELi4ELi64Ei14__hip_bfloat16LNS0_11ScoringFuncE0EEEvPKT5_PKbPfiPT4_PiiiibPKf,comdat
	.protected	_ZN4vllm3moe10topkGatingILi2ELi2ELi4ELi4ELi64Ei14__hip_bfloat16LNS0_11ScoringFuncE0EEEvPKT5_PKbPfiPT4_PiiiibPKf ; -- Begin function _ZN4vllm3moe10topkGatingILi2ELi2ELi4ELi4ELi64Ei14__hip_bfloat16LNS0_11ScoringFuncE0EEEvPKT5_PKbPfiPT4_PiiiibPKf
	.globl	_ZN4vllm3moe10topkGatingILi2ELi2ELi4ELi4ELi64Ei14__hip_bfloat16LNS0_11ScoringFuncE0EEEvPKT5_PKbPfiPT4_PiiiibPKf
	.p2align	8
	.type	_ZN4vllm3moe10topkGatingILi2ELi2ELi4ELi4ELi64Ei14__hip_bfloat16LNS0_11ScoringFuncE0EEEvPKT5_PKbPfiPT4_PiiiibPKf,@function
_ZN4vllm3moe10topkGatingILi2ELi2ELi4ELi4ELi64Ei14__hip_bfloat16LNS0_11ScoringFuncE0EEEvPKT5_PKbPfiPT4_PiiiibPKf: ; @_ZN4vllm3moe10topkGatingILi2ELi2ELi4ELi4ELi64Ei14__hip_bfloat16LNS0_11ScoringFuncE0EEEvPKT5_PKbPfiPT4_PiiiibPKf
; %bb.0:
	s_load_b32 s10, s[0:1], 0x18
	v_bfe_u32 v1, v0, 10, 10
	v_and_b32_e32 v0, 0x3ff, v0
	s_lshl_b32 s2, s15, 8
	s_delay_alu instid0(VALU_DEP_2) | instskip(NEXT) | instid1(VALU_DEP_1)
	v_lshlrev_b32_e32 v1, 6, v1
	v_add3_u32 v10, v1, v0, s2
	s_mov_b32 s2, exec_lo
	s_waitcnt lgkmcnt(0)
	s_delay_alu instid0(VALU_DEP_1)
	v_cmpx_gt_i32_e64 s10, v10
	s_cbranch_execz .LBB129_14
; %bb.1:
	s_clause 0x1
	s_load_b128 s[4:7], s[0:1], 0x0
	s_load_b64 s[8:9], s[0:1], 0x10
	s_waitcnt lgkmcnt(0)
	s_cmp_eq_u64 s[6:7], 0
	s_cbranch_scc1 .LBB129_3
; %bb.2:
	v_ashrrev_i32_e32 v1, 31, v10
	v_add_co_u32 v0, vcc_lo, s6, v10
	s_delay_alu instid0(VALU_DEP_2) | instskip(SKIP_3) | instid1(VALU_DEP_1)
	v_add_co_ci_u32_e32 v1, vcc_lo, s7, v1, vcc_lo
	global_load_u8 v0, v[0:1], off
	s_waitcnt vmcnt(0)
	v_and_b32_e32 v0, 1, v0
	v_cmp_eq_u32_e32 vcc_lo, 1, v0
	s_xor_b32 s2, vcc_lo, -1
	s_delay_alu instid0(SALU_CYCLE_1)
	s_or_not1_b32 s11, s2, exec_lo
	s_branch .LBB129_4
.LBB129_3:
	s_mov_b32 s11, -1
.LBB129_4:
	v_lshlrev_b32_e32 v0, 1, v10
	s_load_b64 s[2:3], s[0:1], 0x40
	s_delay_alu instid0(VALU_DEP_1) | instskip(NEXT) | instid1(VALU_DEP_1)
	v_ashrrev_i32_e32 v1, 31, v0
	v_lshlrev_b64 v[0:1], 1, v[0:1]
	s_delay_alu instid0(VALU_DEP_1) | instskip(NEXT) | instid1(VALU_DEP_2)
	v_add_co_u32 v0, vcc_lo, s4, v0
	v_add_co_ci_u32_e32 v1, vcc_lo, s5, v1, vcc_lo
	s_waitcnt lgkmcnt(0)
	s_cmp_eq_u64 s[2:3], 0
	global_load_b32 v0, v[0:1], off
	s_waitcnt vmcnt(0)
	v_and_b32_e32 v1, 0xffff0000, v0
	v_lshlrev_b32_e32 v0, 16, v0
	s_delay_alu instid0(VALU_DEP_1) | instskip(NEXT) | instid1(VALU_DEP_1)
	v_dual_max_f32 v2, v1, v1 :: v_dual_max_f32 v3, v0, v0
	v_max_f32_e32 v2, v3, v2
	s_delay_alu instid0(VALU_DEP_1) | instskip(NEXT) | instid1(VALU_DEP_1)
	v_sub_f32_e32 v1, v1, v2
	v_mul_f32_e32 v3, 0x3fb8aa3b, v1
	s_delay_alu instid0(VALU_DEP_1) | instskip(SKIP_2) | instid1(VALU_DEP_2)
	v_fma_f32 v6, 0x3fb8aa3b, v1, -v3
	v_rndne_f32_e32 v7, v3
	v_sub_f32_e32 v0, v0, v2
	v_dual_fmac_f32 v6, 0x32a5705f, v1 :: v_dual_sub_f32 v3, v3, v7
	s_delay_alu instid0(VALU_DEP_2) | instskip(SKIP_1) | instid1(VALU_DEP_3)
	v_mul_f32_e32 v2, 0x3fb8aa3b, v0
	v_cmp_ngt_f32_e32 vcc_lo, 0xc2ce8ed0, v0
	v_add_f32_e32 v3, v3, v6
	s_delay_alu instid0(VALU_DEP_3) | instskip(SKIP_1) | instid1(VALU_DEP_3)
	v_fma_f32 v4, 0x3fb8aa3b, v0, -v2
	v_rndne_f32_e32 v5, v2
	v_exp_f32_e32 v3, v3
	s_delay_alu instid0(VALU_DEP_2) | instskip(NEXT) | instid1(VALU_DEP_2)
	v_fmac_f32_e32 v4, 0x32a5705f, v0
	v_sub_f32_e32 v2, v2, v5
	s_delay_alu instid0(VALU_DEP_1) | instskip(SKIP_2) | instid1(VALU_DEP_3)
	v_add_f32_e32 v2, v2, v4
	v_cvt_i32_f32_e32 v4, v5
	v_cvt_i32_f32_e32 v5, v7
	v_exp_f32_e32 v2, v2
	s_delay_alu instid0(TRANS32_DEP_2) | instid1(VALU_DEP_1)
	v_ldexp_f32 v3, v3, v5
	s_waitcnt_depctr 0xfff
	v_ldexp_f32 v2, v2, v4
	s_delay_alu instid0(VALU_DEP_1) | instskip(SKIP_3) | instid1(VALU_DEP_4)
	v_cndmask_b32_e32 v2, 0, v2, vcc_lo
	v_cmp_ngt_f32_e32 vcc_lo, 0xc2ce8ed0, v1
	v_cndmask_b32_e32 v3, 0, v3, vcc_lo
	v_cmp_nlt_f32_e32 vcc_lo, 0x42b17218, v0
	v_cndmask_b32_e32 v0, 0x7f800000, v2, vcc_lo
	v_cmp_nlt_f32_e32 vcc_lo, 0x42b17218, v1
	s_delay_alu instid0(VALU_DEP_4) | instskip(NEXT) | instid1(VALU_DEP_1)
	v_cndmask_b32_e32 v1, 0x7f800000, v3, vcc_lo
	v_add_f32_e32 v2, v0, v1
	s_delay_alu instid0(VALU_DEP_1) | instskip(SKIP_1) | instid1(VALU_DEP_2)
	v_div_scale_f32 v3, null, v2, v2, 1.0
	v_div_scale_f32 v6, vcc_lo, 1.0, v2, 1.0
	v_rcp_f32_e32 v4, v3
	s_waitcnt_depctr 0xfff
	v_fma_f32 v5, -v3, v4, 1.0
	s_delay_alu instid0(VALU_DEP_1) | instskip(NEXT) | instid1(VALU_DEP_1)
	v_fmac_f32_e32 v4, v5, v4
	v_mul_f32_e32 v5, v6, v4
	s_delay_alu instid0(VALU_DEP_1) | instskip(NEXT) | instid1(VALU_DEP_1)
	v_fma_f32 v7, -v3, v5, v6
	v_fmac_f32_e32 v5, v7, v4
	s_delay_alu instid0(VALU_DEP_1) | instskip(NEXT) | instid1(VALU_DEP_1)
	v_fma_f32 v3, -v3, v5, v6
	v_div_fmas_f32 v3, v3, v4, v5
	s_delay_alu instid0(VALU_DEP_1) | instskip(NEXT) | instid1(VALU_DEP_1)
	v_div_fixup_f32 v2, v3, v2, 1.0
	v_mul_f32_e32 v1, v2, v1
	v_mul_f32_e32 v0, v2, v0
	s_delay_alu instid0(VALU_DEP_1) | instskip(SKIP_1) | instid1(VALU_DEP_4)
	v_cmp_class_f32_e64 vcc_lo, v0, 0x1f8
	v_cndmask_b32_e32 v0, 0, v0, vcc_lo
	v_cmp_class_f32_e64 vcc_lo, v1, 0x1f8
	v_cndmask_b32_e32 v1, 0, v1, vcc_lo
	s_delay_alu instid0(VALU_DEP_1)
	v_dual_mov_b32 v3, v1 :: v_dual_mov_b32 v2, v0
	s_cbranch_scc1 .LBB129_6
; %bb.5:
	s_load_b64 s[2:3], s[2:3], 0x0
	s_waitcnt lgkmcnt(0)
	v_dual_add_f32 v2, s2, v0 :: v_dual_add_f32 v3, s3, v1
.LBB129_6:
	s_load_b128 s[4:7], s[0:1], 0x30
	s_waitcnt lgkmcnt(0)
	s_bitcmp1_b32 s7, 0
	s_cselect_b32 vcc_lo, -1, 0
	s_cmp_gt_i32 s4, 0
	s_cselect_b32 s3, -1, 0
	s_cmp_lt_i32 s4, 1
	s_cbranch_scc1 .LBB129_10
; %bb.7:
	v_mul_lo_u32 v4, v10, s4
	s_load_b128 s[12:15], s[0:1], 0x20
	v_dual_mov_b32 v11, 0 :: v_dual_mov_b32 v12, v10
	s_mov_b32 s7, 0
	s_delay_alu instid0(VALU_DEP_2) | instskip(NEXT) | instid1(VALU_DEP_1)
	v_ashrrev_i32_e32 v5, 31, v4
	v_lshlrev_b64 v[8:9], 2, v[4:5]
	s_delay_alu instid0(VALU_DEP_1) | instskip(NEXT) | instid1(VALU_DEP_1)
	v_add_co_u32 v4, s0, s8, v8
	v_add_co_ci_u32_e64 v5, s0, s9, v9, s0
	s_waitcnt lgkmcnt(0)
	v_add_co_u32 v6, s0, s12, v8
	s_delay_alu instid0(VALU_DEP_1) | instskip(SKIP_1) | instid1(VALU_DEP_1)
	v_add_co_ci_u32_e64 v7, s0, s13, v9, s0
	v_add_co_u32 v8, s0, s14, v8
	v_add_co_ci_u32_e64 v9, s0, s15, v9, s0
.LBB129_8:                              ; =>This Inner Loop Header: Depth=1
	v_cmp_gt_f32_e64 s0, v3, v2
	s_add_i32 s7, s7, 1
	s_delay_alu instid0(VALU_DEP_1) | instskip(SKIP_3) | instid1(VALU_DEP_4)
	v_cndmask_b32_e64 v14, 0, 1, s0
	v_cndmask_b32_e64 v13, v0, v1, s0
	;; [unrolled: 1-line block ×4, first 2 shown]
	v_cmp_le_i32_e64 s1, s5, v14
	v_cmp_gt_i32_e64 s2, s6, v14
	v_subrev_nc_u32_e32 v14, s5, v14
	global_store_b32 v[4:5], v13, off
	v_add_f32_e32 v13, v11, v13
	s_and_b32 s1, s1, s2
	s_delay_alu instid0(SALU_CYCLE_1)
	s_and_b32 s0, s11, s1
	s_cmp_lt_i32 s7, s4
	v_cndmask_b32_e64 v14, 2, v14, s0
	s_cselect_b32 s0, -1, 0
	s_cmp_eq_u32 s4, s7
	v_cndmask_b32_e64 v3, v3, v16, s0
	v_cndmask_b32_e64 v2, v2, v15, s0
	v_add_co_u32 v4, s0, v4, 4
	s_delay_alu instid0(VALU_DEP_1) | instskip(SKIP_4) | instid1(VALU_DEP_1)
	v_add_co_ci_u32_e64 v5, s0, 0, v5, s0
	global_store_b32 v[6:7], v14, off
	global_store_b32 v[8:9], v12, off
	v_add_nc_u32_e32 v12, s10, v12
	v_add_co_u32 v6, s0, v6, 4
	v_add_co_ci_u32_e64 v7, s0, 0, v7, s0
	v_add_co_u32 v8, s0, v8, 4
	v_cndmask_b32_e32 v11, v11, v13, vcc_lo
	v_add_co_ci_u32_e64 v9, s0, 0, v9, s0
	s_cbranch_scc0 .LBB129_8
; %bb.9:
	s_and_b32 vcc_lo, exec_lo, vcc_lo
	s_cbranch_vccnz .LBB129_11
	s_branch .LBB129_14
.LBB129_10:
	v_mov_b32_e32 v11, 0
	s_and_b32 vcc_lo, exec_lo, vcc_lo
	s_cbranch_vccz .LBB129_14
.LBB129_11:
	s_and_not1_b32 vcc_lo, exec_lo, s3
	s_cbranch_vccnz .LBB129_14
; %bb.12:
	v_mul_lo_u32 v0, v10, s4
	v_cmp_lt_f32_e32 vcc_lo, 0, v11
	v_cndmask_b32_e32 v2, 1.0, v11, vcc_lo
	s_delay_alu instid0(VALU_DEP_3) | instskip(NEXT) | instid1(VALU_DEP_1)
	v_ashrrev_i32_e32 v1, 31, v0
	v_lshlrev_b64 v[0:1], 2, v[0:1]
	s_delay_alu instid0(VALU_DEP_1) | instskip(NEXT) | instid1(VALU_DEP_2)
	v_add_co_u32 v0, vcc_lo, s8, v0
	v_add_co_ci_u32_e32 v1, vcc_lo, s9, v1, vcc_lo
	.p2align	6
.LBB129_13:                             ; =>This Inner Loop Header: Depth=1
	global_load_b32 v3, v[0:1], off
	s_add_i32 s4, s4, -1
	s_delay_alu instid0(SALU_CYCLE_1) | instskip(SKIP_3) | instid1(VALU_DEP_2)
	s_cmp_lg_u32 s4, 0
	s_waitcnt vmcnt(0)
	v_div_scale_f32 v4, null, v2, v2, v3
	v_div_scale_f32 v7, vcc_lo, v3, v2, v3
	v_rcp_f32_e32 v5, v4
	s_waitcnt_depctr 0xfff
	v_fma_f32 v6, -v4, v5, 1.0
	s_delay_alu instid0(VALU_DEP_1) | instskip(NEXT) | instid1(VALU_DEP_1)
	v_fmac_f32_e32 v5, v6, v5
	v_mul_f32_e32 v6, v7, v5
	s_delay_alu instid0(VALU_DEP_1) | instskip(NEXT) | instid1(VALU_DEP_1)
	v_fma_f32 v8, -v4, v6, v7
	v_fmac_f32_e32 v6, v8, v5
	s_delay_alu instid0(VALU_DEP_1) | instskip(NEXT) | instid1(VALU_DEP_1)
	v_fma_f32 v4, -v4, v6, v7
	v_div_fmas_f32 v4, v4, v5, v6
	s_delay_alu instid0(VALU_DEP_1)
	v_div_fixup_f32 v3, v4, v2, v3
	global_store_b32 v[0:1], v3, off
	v_add_co_u32 v0, vcc_lo, v0, 4
	v_add_co_ci_u32_e32 v1, vcc_lo, 0, v1, vcc_lo
	s_cbranch_scc1 .LBB129_13
.LBB129_14:
	s_nop 0
	s_sendmsg sendmsg(MSG_DEALLOC_VGPRS)
	s_endpgm
	.section	.rodata,"a",@progbits
	.p2align	6, 0x0
	.amdhsa_kernel _ZN4vllm3moe10topkGatingILi2ELi2ELi4ELi4ELi64Ei14__hip_bfloat16LNS0_11ScoringFuncE0EEEvPKT5_PKbPfiPT4_PiiiibPKf
		.amdhsa_group_segment_fixed_size 0
		.amdhsa_private_segment_fixed_size 0
		.amdhsa_kernarg_size 72
		.amdhsa_user_sgpr_count 15
		.amdhsa_user_sgpr_dispatch_ptr 0
		.amdhsa_user_sgpr_queue_ptr 0
		.amdhsa_user_sgpr_kernarg_segment_ptr 1
		.amdhsa_user_sgpr_dispatch_id 0
		.amdhsa_user_sgpr_private_segment_size 0
		.amdhsa_wavefront_size32 1
		.amdhsa_uses_dynamic_stack 0
		.amdhsa_enable_private_segment 0
		.amdhsa_system_sgpr_workgroup_id_x 1
		.amdhsa_system_sgpr_workgroup_id_y 0
		.amdhsa_system_sgpr_workgroup_id_z 0
		.amdhsa_system_sgpr_workgroup_info 0
		.amdhsa_system_vgpr_workitem_id 1
		.amdhsa_next_free_vgpr 17
		.amdhsa_next_free_sgpr 16
		.amdhsa_reserve_vcc 1
		.amdhsa_float_round_mode_32 0
		.amdhsa_float_round_mode_16_64 0
		.amdhsa_float_denorm_mode_32 3
		.amdhsa_float_denorm_mode_16_64 3
		.amdhsa_dx10_clamp 1
		.amdhsa_ieee_mode 1
		.amdhsa_fp16_overflow 0
		.amdhsa_workgroup_processor_mode 1
		.amdhsa_memory_ordered 1
		.amdhsa_forward_progress 0
		.amdhsa_shared_vgpr_count 0
		.amdhsa_exception_fp_ieee_invalid_op 0
		.amdhsa_exception_fp_denorm_src 0
		.amdhsa_exception_fp_ieee_div_zero 0
		.amdhsa_exception_fp_ieee_overflow 0
		.amdhsa_exception_fp_ieee_underflow 0
		.amdhsa_exception_fp_ieee_inexact 0
		.amdhsa_exception_int_div_zero 0
	.end_amdhsa_kernel
	.section	.text._ZN4vllm3moe10topkGatingILi2ELi2ELi4ELi4ELi64Ei14__hip_bfloat16LNS0_11ScoringFuncE0EEEvPKT5_PKbPfiPT4_PiiiibPKf,"axG",@progbits,_ZN4vllm3moe10topkGatingILi2ELi2ELi4ELi4ELi64Ei14__hip_bfloat16LNS0_11ScoringFuncE0EEEvPKT5_PKbPfiPT4_PiiiibPKf,comdat
.Lfunc_end129:
	.size	_ZN4vllm3moe10topkGatingILi2ELi2ELi4ELi4ELi64Ei14__hip_bfloat16LNS0_11ScoringFuncE0EEEvPKT5_PKbPfiPT4_PiiiibPKf, .Lfunc_end129-_ZN4vllm3moe10topkGatingILi2ELi2ELi4ELi4ELi64Ei14__hip_bfloat16LNS0_11ScoringFuncE0EEEvPKT5_PKbPfiPT4_PiiiibPKf
                                        ; -- End function
	.section	.AMDGPU.csdata,"",@progbits
; Kernel info:
; codeLenInByte = 1236
; NumSgprs: 18
; NumVgprs: 17
; ScratchSize: 0
; MemoryBound: 0
; FloatMode: 240
; IeeeMode: 1
; LDSByteSize: 0 bytes/workgroup (compile time only)
; SGPRBlocks: 2
; VGPRBlocks: 2
; NumSGPRsForWavesPerEU: 18
; NumVGPRsForWavesPerEU: 17
; Occupancy: 16
; WaveLimiterHint : 0
; COMPUTE_PGM_RSRC2:SCRATCH_EN: 0
; COMPUTE_PGM_RSRC2:USER_SGPR: 15
; COMPUTE_PGM_RSRC2:TRAP_HANDLER: 0
; COMPUTE_PGM_RSRC2:TGID_X_EN: 1
; COMPUTE_PGM_RSRC2:TGID_Y_EN: 0
; COMPUTE_PGM_RSRC2:TGID_Z_EN: 0
; COMPUTE_PGM_RSRC2:TIDIG_COMP_CNT: 1
	.section	.text._ZN4vllm3moe10topkGatingILi2ELi2ELi4ELi4ELi32Ei14__hip_bfloat16LNS0_11ScoringFuncE0EEEvPKT5_PKbPfiPT4_PiiiibPKf,"axG",@progbits,_ZN4vllm3moe10topkGatingILi2ELi2ELi4ELi4ELi32Ei14__hip_bfloat16LNS0_11ScoringFuncE0EEEvPKT5_PKbPfiPT4_PiiiibPKf,comdat
	.protected	_ZN4vllm3moe10topkGatingILi2ELi2ELi4ELi4ELi32Ei14__hip_bfloat16LNS0_11ScoringFuncE0EEEvPKT5_PKbPfiPT4_PiiiibPKf ; -- Begin function _ZN4vllm3moe10topkGatingILi2ELi2ELi4ELi4ELi32Ei14__hip_bfloat16LNS0_11ScoringFuncE0EEEvPKT5_PKbPfiPT4_PiiiibPKf
	.globl	_ZN4vllm3moe10topkGatingILi2ELi2ELi4ELi4ELi32Ei14__hip_bfloat16LNS0_11ScoringFuncE0EEEvPKT5_PKbPfiPT4_PiiiibPKf
	.p2align	8
	.type	_ZN4vllm3moe10topkGatingILi2ELi2ELi4ELi4ELi32Ei14__hip_bfloat16LNS0_11ScoringFuncE0EEEvPKT5_PKbPfiPT4_PiiiibPKf,@function
_ZN4vllm3moe10topkGatingILi2ELi2ELi4ELi4ELi32Ei14__hip_bfloat16LNS0_11ScoringFuncE0EEEvPKT5_PKbPfiPT4_PiiiibPKf: ; @_ZN4vllm3moe10topkGatingILi2ELi2ELi4ELi4ELi32Ei14__hip_bfloat16LNS0_11ScoringFuncE0EEEvPKT5_PKbPfiPT4_PiiiibPKf
; %bb.0:
	s_load_b32 s10, s[0:1], 0x18
	v_bfe_u32 v1, v0, 10, 10
	v_and_b32_e32 v0, 0x3ff, v0
	s_lshl_b32 s2, s15, 7
	s_delay_alu instid0(VALU_DEP_2) | instskip(NEXT) | instid1(VALU_DEP_1)
	v_lshlrev_b32_e32 v1, 5, v1
	v_add3_u32 v10, v1, v0, s2
	s_mov_b32 s2, exec_lo
	s_waitcnt lgkmcnt(0)
	s_delay_alu instid0(VALU_DEP_1)
	v_cmpx_gt_i32_e64 s10, v10
	s_cbranch_execz .LBB130_14
; %bb.1:
	s_clause 0x1
	s_load_b128 s[4:7], s[0:1], 0x0
	s_load_b64 s[8:9], s[0:1], 0x10
	s_waitcnt lgkmcnt(0)
	s_cmp_eq_u64 s[6:7], 0
	s_cbranch_scc1 .LBB130_3
; %bb.2:
	v_ashrrev_i32_e32 v1, 31, v10
	v_add_co_u32 v0, vcc_lo, s6, v10
	s_delay_alu instid0(VALU_DEP_2) | instskip(SKIP_3) | instid1(VALU_DEP_1)
	v_add_co_ci_u32_e32 v1, vcc_lo, s7, v1, vcc_lo
	global_load_u8 v0, v[0:1], off
	s_waitcnt vmcnt(0)
	v_and_b32_e32 v0, 1, v0
	v_cmp_eq_u32_e32 vcc_lo, 1, v0
	s_xor_b32 s2, vcc_lo, -1
	s_delay_alu instid0(SALU_CYCLE_1)
	s_or_not1_b32 s11, s2, exec_lo
	s_branch .LBB130_4
.LBB130_3:
	s_mov_b32 s11, -1
.LBB130_4:
	v_lshlrev_b32_e32 v0, 1, v10
	s_load_b64 s[2:3], s[0:1], 0x40
	s_delay_alu instid0(VALU_DEP_1) | instskip(NEXT) | instid1(VALU_DEP_1)
	v_ashrrev_i32_e32 v1, 31, v0
	v_lshlrev_b64 v[0:1], 1, v[0:1]
	s_delay_alu instid0(VALU_DEP_1) | instskip(NEXT) | instid1(VALU_DEP_2)
	v_add_co_u32 v0, vcc_lo, s4, v0
	v_add_co_ci_u32_e32 v1, vcc_lo, s5, v1, vcc_lo
	s_waitcnt lgkmcnt(0)
	s_cmp_eq_u64 s[2:3], 0
	global_load_b32 v0, v[0:1], off
	s_waitcnt vmcnt(0)
	v_and_b32_e32 v1, 0xffff0000, v0
	v_lshlrev_b32_e32 v0, 16, v0
	s_delay_alu instid0(VALU_DEP_1) | instskip(NEXT) | instid1(VALU_DEP_1)
	v_dual_max_f32 v2, v1, v1 :: v_dual_max_f32 v3, v0, v0
	v_max_f32_e32 v2, v3, v2
	s_delay_alu instid0(VALU_DEP_1) | instskip(NEXT) | instid1(VALU_DEP_1)
	v_sub_f32_e32 v1, v1, v2
	v_mul_f32_e32 v3, 0x3fb8aa3b, v1
	s_delay_alu instid0(VALU_DEP_1) | instskip(SKIP_2) | instid1(VALU_DEP_2)
	v_fma_f32 v6, 0x3fb8aa3b, v1, -v3
	v_rndne_f32_e32 v7, v3
	v_sub_f32_e32 v0, v0, v2
	v_dual_fmac_f32 v6, 0x32a5705f, v1 :: v_dual_sub_f32 v3, v3, v7
	s_delay_alu instid0(VALU_DEP_2) | instskip(SKIP_1) | instid1(VALU_DEP_3)
	v_mul_f32_e32 v2, 0x3fb8aa3b, v0
	v_cmp_ngt_f32_e32 vcc_lo, 0xc2ce8ed0, v0
	v_add_f32_e32 v3, v3, v6
	s_delay_alu instid0(VALU_DEP_3) | instskip(SKIP_1) | instid1(VALU_DEP_3)
	v_fma_f32 v4, 0x3fb8aa3b, v0, -v2
	v_rndne_f32_e32 v5, v2
	v_exp_f32_e32 v3, v3
	s_delay_alu instid0(VALU_DEP_2) | instskip(NEXT) | instid1(VALU_DEP_2)
	v_fmac_f32_e32 v4, 0x32a5705f, v0
	v_sub_f32_e32 v2, v2, v5
	s_delay_alu instid0(VALU_DEP_1) | instskip(SKIP_2) | instid1(VALU_DEP_3)
	v_add_f32_e32 v2, v2, v4
	v_cvt_i32_f32_e32 v4, v5
	v_cvt_i32_f32_e32 v5, v7
	v_exp_f32_e32 v2, v2
	s_delay_alu instid0(TRANS32_DEP_2) | instid1(VALU_DEP_1)
	v_ldexp_f32 v3, v3, v5
	s_waitcnt_depctr 0xfff
	v_ldexp_f32 v2, v2, v4
	s_delay_alu instid0(VALU_DEP_1) | instskip(SKIP_3) | instid1(VALU_DEP_4)
	v_cndmask_b32_e32 v2, 0, v2, vcc_lo
	v_cmp_ngt_f32_e32 vcc_lo, 0xc2ce8ed0, v1
	v_cndmask_b32_e32 v3, 0, v3, vcc_lo
	v_cmp_nlt_f32_e32 vcc_lo, 0x42b17218, v0
	v_cndmask_b32_e32 v0, 0x7f800000, v2, vcc_lo
	v_cmp_nlt_f32_e32 vcc_lo, 0x42b17218, v1
	s_delay_alu instid0(VALU_DEP_4) | instskip(NEXT) | instid1(VALU_DEP_1)
	v_cndmask_b32_e32 v1, 0x7f800000, v3, vcc_lo
	v_add_f32_e32 v2, v0, v1
	s_delay_alu instid0(VALU_DEP_1) | instskip(SKIP_1) | instid1(VALU_DEP_2)
	v_div_scale_f32 v3, null, v2, v2, 1.0
	v_div_scale_f32 v6, vcc_lo, 1.0, v2, 1.0
	v_rcp_f32_e32 v4, v3
	s_waitcnt_depctr 0xfff
	v_fma_f32 v5, -v3, v4, 1.0
	s_delay_alu instid0(VALU_DEP_1) | instskip(NEXT) | instid1(VALU_DEP_1)
	v_fmac_f32_e32 v4, v5, v4
	v_mul_f32_e32 v5, v6, v4
	s_delay_alu instid0(VALU_DEP_1) | instskip(NEXT) | instid1(VALU_DEP_1)
	v_fma_f32 v7, -v3, v5, v6
	v_fmac_f32_e32 v5, v7, v4
	s_delay_alu instid0(VALU_DEP_1) | instskip(NEXT) | instid1(VALU_DEP_1)
	v_fma_f32 v3, -v3, v5, v6
	v_div_fmas_f32 v3, v3, v4, v5
	s_delay_alu instid0(VALU_DEP_1) | instskip(NEXT) | instid1(VALU_DEP_1)
	v_div_fixup_f32 v2, v3, v2, 1.0
	v_mul_f32_e32 v1, v2, v1
	v_mul_f32_e32 v0, v2, v0
	s_delay_alu instid0(VALU_DEP_1) | instskip(SKIP_1) | instid1(VALU_DEP_4)
	v_cmp_class_f32_e64 vcc_lo, v0, 0x1f8
	v_cndmask_b32_e32 v0, 0, v0, vcc_lo
	v_cmp_class_f32_e64 vcc_lo, v1, 0x1f8
	v_cndmask_b32_e32 v1, 0, v1, vcc_lo
	s_delay_alu instid0(VALU_DEP_1)
	v_dual_mov_b32 v3, v1 :: v_dual_mov_b32 v2, v0
	s_cbranch_scc1 .LBB130_6
; %bb.5:
	s_load_b64 s[2:3], s[2:3], 0x0
	s_waitcnt lgkmcnt(0)
	v_dual_add_f32 v2, s2, v0 :: v_dual_add_f32 v3, s3, v1
.LBB130_6:
	s_load_b128 s[4:7], s[0:1], 0x30
	s_waitcnt lgkmcnt(0)
	s_bitcmp1_b32 s7, 0
	s_cselect_b32 vcc_lo, -1, 0
	s_cmp_gt_i32 s4, 0
	s_cselect_b32 s3, -1, 0
	s_cmp_lt_i32 s4, 1
	s_cbranch_scc1 .LBB130_10
; %bb.7:
	v_mul_lo_u32 v4, v10, s4
	s_load_b128 s[12:15], s[0:1], 0x20
	v_dual_mov_b32 v11, 0 :: v_dual_mov_b32 v12, v10
	s_mov_b32 s7, 0
	s_delay_alu instid0(VALU_DEP_2) | instskip(NEXT) | instid1(VALU_DEP_1)
	v_ashrrev_i32_e32 v5, 31, v4
	v_lshlrev_b64 v[8:9], 2, v[4:5]
	s_delay_alu instid0(VALU_DEP_1) | instskip(NEXT) | instid1(VALU_DEP_1)
	v_add_co_u32 v4, s0, s8, v8
	v_add_co_ci_u32_e64 v5, s0, s9, v9, s0
	s_waitcnt lgkmcnt(0)
	v_add_co_u32 v6, s0, s12, v8
	s_delay_alu instid0(VALU_DEP_1) | instskip(SKIP_1) | instid1(VALU_DEP_1)
	v_add_co_ci_u32_e64 v7, s0, s13, v9, s0
	v_add_co_u32 v8, s0, s14, v8
	v_add_co_ci_u32_e64 v9, s0, s15, v9, s0
.LBB130_8:                              ; =>This Inner Loop Header: Depth=1
	v_cmp_gt_f32_e64 s0, v3, v2
	s_add_i32 s7, s7, 1
	s_delay_alu instid0(VALU_DEP_1) | instskip(SKIP_3) | instid1(VALU_DEP_4)
	v_cndmask_b32_e64 v14, 0, 1, s0
	v_cndmask_b32_e64 v13, v0, v1, s0
	v_cndmask_b32_e64 v15, 0xc61c4000, v2, s0
	v_cndmask_b32_e64 v16, v3, 0xc61c4000, s0
	v_cmp_le_i32_e64 s1, s5, v14
	v_cmp_gt_i32_e64 s2, s6, v14
	v_subrev_nc_u32_e32 v14, s5, v14
	global_store_b32 v[4:5], v13, off
	v_add_f32_e32 v13, v11, v13
	s_and_b32 s1, s1, s2
	s_delay_alu instid0(SALU_CYCLE_1)
	s_and_b32 s0, s11, s1
	s_cmp_lt_i32 s7, s4
	v_cndmask_b32_e64 v14, 2, v14, s0
	s_cselect_b32 s0, -1, 0
	s_cmp_eq_u32 s4, s7
	v_cndmask_b32_e64 v3, v3, v16, s0
	v_cndmask_b32_e64 v2, v2, v15, s0
	v_add_co_u32 v4, s0, v4, 4
	s_delay_alu instid0(VALU_DEP_1) | instskip(SKIP_4) | instid1(VALU_DEP_1)
	v_add_co_ci_u32_e64 v5, s0, 0, v5, s0
	global_store_b32 v[6:7], v14, off
	global_store_b32 v[8:9], v12, off
	v_add_nc_u32_e32 v12, s10, v12
	v_add_co_u32 v6, s0, v6, 4
	v_add_co_ci_u32_e64 v7, s0, 0, v7, s0
	v_add_co_u32 v8, s0, v8, 4
	v_cndmask_b32_e32 v11, v11, v13, vcc_lo
	v_add_co_ci_u32_e64 v9, s0, 0, v9, s0
	s_cbranch_scc0 .LBB130_8
; %bb.9:
	s_and_b32 vcc_lo, exec_lo, vcc_lo
	s_cbranch_vccnz .LBB130_11
	s_branch .LBB130_14
.LBB130_10:
	v_mov_b32_e32 v11, 0
	s_and_b32 vcc_lo, exec_lo, vcc_lo
	s_cbranch_vccz .LBB130_14
.LBB130_11:
	s_and_not1_b32 vcc_lo, exec_lo, s3
	s_cbranch_vccnz .LBB130_14
; %bb.12:
	v_mul_lo_u32 v0, v10, s4
	v_cmp_lt_f32_e32 vcc_lo, 0, v11
	v_cndmask_b32_e32 v2, 1.0, v11, vcc_lo
	s_delay_alu instid0(VALU_DEP_3) | instskip(NEXT) | instid1(VALU_DEP_1)
	v_ashrrev_i32_e32 v1, 31, v0
	v_lshlrev_b64 v[0:1], 2, v[0:1]
	s_delay_alu instid0(VALU_DEP_1) | instskip(NEXT) | instid1(VALU_DEP_2)
	v_add_co_u32 v0, vcc_lo, s8, v0
	v_add_co_ci_u32_e32 v1, vcc_lo, s9, v1, vcc_lo
	.p2align	6
.LBB130_13:                             ; =>This Inner Loop Header: Depth=1
	global_load_b32 v3, v[0:1], off
	s_add_i32 s4, s4, -1
	s_delay_alu instid0(SALU_CYCLE_1) | instskip(SKIP_3) | instid1(VALU_DEP_2)
	s_cmp_lg_u32 s4, 0
	s_waitcnt vmcnt(0)
	v_div_scale_f32 v4, null, v2, v2, v3
	v_div_scale_f32 v7, vcc_lo, v3, v2, v3
	v_rcp_f32_e32 v5, v4
	s_waitcnt_depctr 0xfff
	v_fma_f32 v6, -v4, v5, 1.0
	s_delay_alu instid0(VALU_DEP_1) | instskip(NEXT) | instid1(VALU_DEP_1)
	v_fmac_f32_e32 v5, v6, v5
	v_mul_f32_e32 v6, v7, v5
	s_delay_alu instid0(VALU_DEP_1) | instskip(NEXT) | instid1(VALU_DEP_1)
	v_fma_f32 v8, -v4, v6, v7
	v_fmac_f32_e32 v6, v8, v5
	s_delay_alu instid0(VALU_DEP_1) | instskip(NEXT) | instid1(VALU_DEP_1)
	v_fma_f32 v4, -v4, v6, v7
	v_div_fmas_f32 v4, v4, v5, v6
	s_delay_alu instid0(VALU_DEP_1)
	v_div_fixup_f32 v3, v4, v2, v3
	global_store_b32 v[0:1], v3, off
	v_add_co_u32 v0, vcc_lo, v0, 4
	v_add_co_ci_u32_e32 v1, vcc_lo, 0, v1, vcc_lo
	s_cbranch_scc1 .LBB130_13
.LBB130_14:
	s_nop 0
	s_sendmsg sendmsg(MSG_DEALLOC_VGPRS)
	s_endpgm
	.section	.rodata,"a",@progbits
	.p2align	6, 0x0
	.amdhsa_kernel _ZN4vllm3moe10topkGatingILi2ELi2ELi4ELi4ELi32Ei14__hip_bfloat16LNS0_11ScoringFuncE0EEEvPKT5_PKbPfiPT4_PiiiibPKf
		.amdhsa_group_segment_fixed_size 0
		.amdhsa_private_segment_fixed_size 0
		.amdhsa_kernarg_size 72
		.amdhsa_user_sgpr_count 15
		.amdhsa_user_sgpr_dispatch_ptr 0
		.amdhsa_user_sgpr_queue_ptr 0
		.amdhsa_user_sgpr_kernarg_segment_ptr 1
		.amdhsa_user_sgpr_dispatch_id 0
		.amdhsa_user_sgpr_private_segment_size 0
		.amdhsa_wavefront_size32 1
		.amdhsa_uses_dynamic_stack 0
		.amdhsa_enable_private_segment 0
		.amdhsa_system_sgpr_workgroup_id_x 1
		.amdhsa_system_sgpr_workgroup_id_y 0
		.amdhsa_system_sgpr_workgroup_id_z 0
		.amdhsa_system_sgpr_workgroup_info 0
		.amdhsa_system_vgpr_workitem_id 1
		.amdhsa_next_free_vgpr 17
		.amdhsa_next_free_sgpr 16
		.amdhsa_reserve_vcc 1
		.amdhsa_float_round_mode_32 0
		.amdhsa_float_round_mode_16_64 0
		.amdhsa_float_denorm_mode_32 3
		.amdhsa_float_denorm_mode_16_64 3
		.amdhsa_dx10_clamp 1
		.amdhsa_ieee_mode 1
		.amdhsa_fp16_overflow 0
		.amdhsa_workgroup_processor_mode 1
		.amdhsa_memory_ordered 1
		.amdhsa_forward_progress 0
		.amdhsa_shared_vgpr_count 0
		.amdhsa_exception_fp_ieee_invalid_op 0
		.amdhsa_exception_fp_denorm_src 0
		.amdhsa_exception_fp_ieee_div_zero 0
		.amdhsa_exception_fp_ieee_overflow 0
		.amdhsa_exception_fp_ieee_underflow 0
		.amdhsa_exception_fp_ieee_inexact 0
		.amdhsa_exception_int_div_zero 0
	.end_amdhsa_kernel
	.section	.text._ZN4vllm3moe10topkGatingILi2ELi2ELi4ELi4ELi32Ei14__hip_bfloat16LNS0_11ScoringFuncE0EEEvPKT5_PKbPfiPT4_PiiiibPKf,"axG",@progbits,_ZN4vllm3moe10topkGatingILi2ELi2ELi4ELi4ELi32Ei14__hip_bfloat16LNS0_11ScoringFuncE0EEEvPKT5_PKbPfiPT4_PiiiibPKf,comdat
.Lfunc_end130:
	.size	_ZN4vllm3moe10topkGatingILi2ELi2ELi4ELi4ELi32Ei14__hip_bfloat16LNS0_11ScoringFuncE0EEEvPKT5_PKbPfiPT4_PiiiibPKf, .Lfunc_end130-_ZN4vllm3moe10topkGatingILi2ELi2ELi4ELi4ELi32Ei14__hip_bfloat16LNS0_11ScoringFuncE0EEEvPKT5_PKbPfiPT4_PiiiibPKf
                                        ; -- End function
	.section	.AMDGPU.csdata,"",@progbits
; Kernel info:
; codeLenInByte = 1236
; NumSgprs: 18
; NumVgprs: 17
; ScratchSize: 0
; MemoryBound: 0
; FloatMode: 240
; IeeeMode: 1
; LDSByteSize: 0 bytes/workgroup (compile time only)
; SGPRBlocks: 2
; VGPRBlocks: 2
; NumSGPRsForWavesPerEU: 18
; NumVGPRsForWavesPerEU: 17
; Occupancy: 16
; WaveLimiterHint : 0
; COMPUTE_PGM_RSRC2:SCRATCH_EN: 0
; COMPUTE_PGM_RSRC2:USER_SGPR: 15
; COMPUTE_PGM_RSRC2:TRAP_HANDLER: 0
; COMPUTE_PGM_RSRC2:TGID_X_EN: 1
; COMPUTE_PGM_RSRC2:TGID_Y_EN: 0
; COMPUTE_PGM_RSRC2:TGID_Z_EN: 0
; COMPUTE_PGM_RSRC2:TIDIG_COMP_CNT: 1
	.section	.text._ZN4vllm3moe10topkGatingILi4ELi4ELi4ELi8ELi64Ei14__hip_bfloat16LNS0_11ScoringFuncE0EEEvPKT5_PKbPfiPT4_PiiiibPKf,"axG",@progbits,_ZN4vllm3moe10topkGatingILi4ELi4ELi4ELi8ELi64Ei14__hip_bfloat16LNS0_11ScoringFuncE0EEEvPKT5_PKbPfiPT4_PiiiibPKf,comdat
	.protected	_ZN4vllm3moe10topkGatingILi4ELi4ELi4ELi8ELi64Ei14__hip_bfloat16LNS0_11ScoringFuncE0EEEvPKT5_PKbPfiPT4_PiiiibPKf ; -- Begin function _ZN4vllm3moe10topkGatingILi4ELi4ELi4ELi8ELi64Ei14__hip_bfloat16LNS0_11ScoringFuncE0EEEvPKT5_PKbPfiPT4_PiiiibPKf
	.globl	_ZN4vllm3moe10topkGatingILi4ELi4ELi4ELi8ELi64Ei14__hip_bfloat16LNS0_11ScoringFuncE0EEEvPKT5_PKbPfiPT4_PiiiibPKf
	.p2align	8
	.type	_ZN4vllm3moe10topkGatingILi4ELi4ELi4ELi8ELi64Ei14__hip_bfloat16LNS0_11ScoringFuncE0EEEvPKT5_PKbPfiPT4_PiiiibPKf,@function
_ZN4vllm3moe10topkGatingILi4ELi4ELi4ELi8ELi64Ei14__hip_bfloat16LNS0_11ScoringFuncE0EEEvPKT5_PKbPfiPT4_PiiiibPKf: ; @_ZN4vllm3moe10topkGatingILi4ELi4ELi4ELi8ELi64Ei14__hip_bfloat16LNS0_11ScoringFuncE0EEEvPKT5_PKbPfiPT4_PiiiibPKf
; %bb.0:
	s_load_b32 s10, s[0:1], 0x18
	v_bfe_u32 v1, v0, 10, 10
	v_and_b32_e32 v0, 0x3ff, v0
	s_lshl_b32 s2, s15, 8
	s_delay_alu instid0(VALU_DEP_2) | instskip(NEXT) | instid1(VALU_DEP_1)
	v_lshlrev_b32_e32 v1, 6, v1
	v_add3_u32 v14, v1, v0, s2
	s_mov_b32 s2, exec_lo
	s_waitcnt lgkmcnt(0)
	s_delay_alu instid0(VALU_DEP_1)
	v_cmpx_gt_i32_e64 s10, v14
	s_cbranch_execz .LBB131_15
; %bb.1:
	s_clause 0x1
	s_load_b128 s[4:7], s[0:1], 0x0
	s_load_b64 s[8:9], s[0:1], 0x10
	s_mov_b32 s12, -1
	s_mov_b32 s11, -1
	s_waitcnt lgkmcnt(0)
	s_cmp_eq_u64 s[6:7], 0
	s_cbranch_scc1 .LBB131_3
; %bb.2:
	v_ashrrev_i32_e32 v1, 31, v14
	v_add_co_u32 v0, vcc_lo, s6, v14
	s_delay_alu instid0(VALU_DEP_2) | instskip(SKIP_3) | instid1(VALU_DEP_1)
	v_add_co_ci_u32_e32 v1, vcc_lo, s7, v1, vcc_lo
	global_load_u8 v0, v[0:1], off
	s_waitcnt vmcnt(0)
	v_and_b32_e32 v0, 1, v0
	v_cmp_eq_u32_e32 vcc_lo, 1, v0
	s_xor_b32 s2, vcc_lo, -1
	s_delay_alu instid0(SALU_CYCLE_1)
	s_or_not1_b32 s11, s2, exec_lo
.LBB131_3:
	v_lshlrev_b32_e32 v0, 2, v14
	s_load_b64 s[2:3], s[0:1], 0x40
	s_delay_alu instid0(VALU_DEP_1) | instskip(NEXT) | instid1(VALU_DEP_1)
	v_ashrrev_i32_e32 v1, 31, v0
	v_lshlrev_b64 v[0:1], 1, v[0:1]
	s_delay_alu instid0(VALU_DEP_1) | instskip(NEXT) | instid1(VALU_DEP_2)
	v_add_co_u32 v0, vcc_lo, s4, v0
	v_add_co_ci_u32_e32 v1, vcc_lo, s5, v1, vcc_lo
	s_waitcnt lgkmcnt(0)
	s_cmp_eq_u64 s[2:3], 0
	global_load_b64 v[0:1], v[0:1], off
	s_waitcnt vmcnt(0)
	v_and_b32_e32 v2, 0xffff0000, v0
	v_lshlrev_b32_e32 v3, 16, v0
	v_alignbit_b32 v0, v1, v0, 16
	s_delay_alu instid0(VALU_DEP_2) | instskip(SKIP_1) | instid1(VALU_DEP_3)
	v_dual_max_f32 v4, v2, v2 :: v_dual_max_f32 v5, v3, v3
	v_and_b32_e32 v1, 0xffff0000, v1
	v_and_b32_e32 v0, 0xffff0000, v0
	s_delay_alu instid0(VALU_DEP_3) | instskip(NEXT) | instid1(VALU_DEP_1)
	v_max_f32_e32 v4, v5, v4
	v_max3_f32 v4, v4, v0, v1
	s_delay_alu instid0(VALU_DEP_1) | instskip(SKIP_1) | instid1(VALU_DEP_1)
	v_sub_f32_e32 v3, v3, v4
	v_sub_f32_e32 v1, v1, v4
	v_dual_sub_f32 v2, v2, v4 :: v_dual_mul_f32 v7, 0x3fb8aa3b, v1
	s_delay_alu instid0(VALU_DEP_1) | instskip(NEXT) | instid1(VALU_DEP_2)
	v_mul_f32_e32 v5, 0x3fb8aa3b, v2
	v_fma_f32 v15, 0x3fb8aa3b, v1, -v7
	s_delay_alu instid0(VALU_DEP_2) | instskip(SKIP_2) | instid1(VALU_DEP_2)
	v_fma_f32 v10, 0x3fb8aa3b, v2, -v5
	v_rndne_f32_e32 v11, v5
	v_rndne_f32_e32 v16, v7
	v_dual_fmac_f32 v10, 0x32a5705f, v2 :: v_dual_sub_f32 v5, v5, v11
	s_delay_alu instid0(VALU_DEP_2) | instskip(NEXT) | instid1(VALU_DEP_2)
	v_sub_f32_e32 v7, v7, v16
	v_dual_add_f32 v5, v5, v10 :: v_dual_sub_f32 v0, v0, v4
	v_mul_f32_e32 v4, 0x3fb8aa3b, v3
	v_fmac_f32_e32 v15, 0x32a5705f, v1
	s_delay_alu instid0(VALU_DEP_3) | instskip(NEXT) | instid1(VALU_DEP_3)
	v_exp_f32_e32 v5, v5
	v_mul_f32_e32 v6, 0x3fb8aa3b, v0
	s_delay_alu instid0(VALU_DEP_3) | instskip(SKIP_2) | instid1(VALU_DEP_4)
	v_fma_f32 v8, 0x3fb8aa3b, v3, -v4
	v_rndne_f32_e32 v9, v4
	v_add_f32_e32 v7, v7, v15
	v_fma_f32 v12, 0x3fb8aa3b, v0, -v6
	v_rndne_f32_e32 v13, v6
	s_delay_alu instid0(VALU_DEP_4) | instskip(SKIP_4) | instid1(VALU_DEP_3)
	v_sub_f32_e32 v4, v4, v9
	v_fmac_f32_e32 v8, 0x32a5705f, v3
	v_cmp_ngt_f32_e32 vcc_lo, 0xc2ce8ed0, v3
	v_exp_f32_e32 v7, v7
	v_cvt_i32_f32_e32 v10, v13
	v_add_f32_e32 v4, v4, v8
	v_cvt_i32_f32_e32 v8, v9
	v_cvt_i32_f32_e32 v9, v11
	;; [unrolled: 1-line block ×3, first 2 shown]
	s_delay_alu instid0(VALU_DEP_4) | instskip(NEXT) | instid1(VALU_DEP_2)
	v_exp_f32_e32 v4, v4
	v_ldexp_f32 v5, v5, v9
	s_delay_alu instid0(TRANS32_DEP_2) | instid1(VALU_DEP_2)
	v_ldexp_f32 v7, v7, v11
	s_waitcnt_depctr 0xfff
	v_ldexp_f32 v4, v4, v8
	s_delay_alu instid0(VALU_DEP_1) | instskip(SKIP_3) | instid1(VALU_DEP_1)
	v_cndmask_b32_e32 v4, 0, v4, vcc_lo
	v_sub_f32_e32 v6, v6, v13
	v_cmp_ngt_f32_e32 vcc_lo, 0xc2ce8ed0, v2
	v_dual_fmac_f32 v12, 0x32a5705f, v0 :: v_dual_cndmask_b32 v5, 0, v5
	v_add_f32_e32 v6, v6, v12
	v_cmp_ngt_f32_e32 vcc_lo, 0xc2ce8ed0, v0
	s_delay_alu instid0(VALU_DEP_2) | instskip(SKIP_2) | instid1(VALU_DEP_1)
	v_exp_f32_e32 v6, v6
	s_waitcnt_depctr 0xfff
	v_ldexp_f32 v6, v6, v10
	v_cndmask_b32_e32 v6, 0, v6, vcc_lo
	v_cmp_nlt_f32_e32 vcc_lo, 0x42b17218, v3
	v_cndmask_b32_e32 v3, 0x7f800000, v4, vcc_lo
	v_cmp_nlt_f32_e32 vcc_lo, 0x42b17218, v2
	v_cndmask_b32_e32 v2, 0x7f800000, v5, vcc_lo
	v_cmp_ngt_f32_e32 vcc_lo, 0xc2ce8ed0, v1
	s_delay_alu instid0(VALU_DEP_2) | instskip(SKIP_3) | instid1(VALU_DEP_4)
	v_dual_add_f32 v5, v3, v2 :: v_dual_cndmask_b32 v4, 0, v7
	v_cmp_nlt_f32_e32 vcc_lo, 0x42b17218, v0
	v_cndmask_b32_e32 v0, 0x7f800000, v6, vcc_lo
	v_cmp_nlt_f32_e32 vcc_lo, 0x42b17218, v1
	v_cndmask_b32_e32 v1, 0x7f800000, v4, vcc_lo
	s_delay_alu instid0(VALU_DEP_3) | instskip(NEXT) | instid1(VALU_DEP_1)
	v_add_f32_e32 v4, v5, v0
	v_add_f32_e32 v4, v4, v1
	s_delay_alu instid0(VALU_DEP_1) | instskip(SKIP_1) | instid1(VALU_DEP_2)
	v_div_scale_f32 v5, null, v4, v4, 1.0
	v_div_scale_f32 v8, vcc_lo, 1.0, v4, 1.0
	v_rcp_f32_e32 v6, v5
	s_waitcnt_depctr 0xfff
	v_fma_f32 v7, -v5, v6, 1.0
	s_delay_alu instid0(VALU_DEP_1) | instskip(NEXT) | instid1(VALU_DEP_1)
	v_fmac_f32_e32 v6, v7, v6
	v_mul_f32_e32 v7, v8, v6
	s_delay_alu instid0(VALU_DEP_1) | instskip(NEXT) | instid1(VALU_DEP_1)
	v_fma_f32 v9, -v5, v7, v8
	v_fmac_f32_e32 v7, v9, v6
	s_delay_alu instid0(VALU_DEP_1) | instskip(NEXT) | instid1(VALU_DEP_1)
	v_fma_f32 v5, -v5, v7, v8
	v_div_fmas_f32 v5, v5, v6, v7
	s_delay_alu instid0(VALU_DEP_1) | instskip(NEXT) | instid1(VALU_DEP_1)
	v_div_fixup_f32 v4, v5, v4, 1.0
	v_mul_f32_e32 v3, v4, v3
	v_mul_f32_e32 v2, v4, v2
	;; [unrolled: 1-line block ×4, first 2 shown]
	s_delay_alu instid0(VALU_DEP_4)
	v_cmp_class_f32_e64 vcc_lo, v3, 0x1f8
	v_cndmask_b32_e32 v0, 0, v3, vcc_lo
	v_cmp_class_f32_e64 vcc_lo, v2, 0x1f8
	v_cndmask_b32_e32 v1, 0, v2, vcc_lo
	v_cmp_class_f32_e64 vcc_lo, v5, 0x1f8
	v_cndmask_b32_e32 v2, 0, v5, vcc_lo
	v_cmp_class_f32_e64 vcc_lo, v4, 0x1f8
	v_cndmask_b32_e32 v3, 0, v4, vcc_lo
	s_cbranch_scc1 .LBB131_10
; %bb.4:
	s_load_b128 s[4:7], s[2:3], 0x0
	s_waitcnt lgkmcnt(0)
	v_dual_add_f32 v4, s4, v0 :: v_dual_add_f32 v5, s5, v1
	v_dual_add_f32 v6, s6, v2 :: v_dual_add_f32 v7, s7, v3
	s_cbranch_execnz .LBB131_6
.LBB131_5:
	v_dual_mov_b32 v7, v3 :: v_dual_mov_b32 v6, v2
	v_dual_mov_b32 v5, v1 :: v_dual_mov_b32 v4, v0
.LBB131_6:
	s_load_b128 s[4:7], s[0:1], 0x30
	s_waitcnt lgkmcnt(0)
	s_bitcmp1_b32 s7, 0
	s_mov_b32 s7, 0
	s_cselect_b32 vcc_lo, -1, 0
	s_cmp_gt_i32 s4, 0
	s_cselect_b32 s3, -1, 0
	s_cmp_lt_i32 s4, 1
	s_cbranch_scc1 .LBB131_11
; %bb.7:
	v_mul_lo_u32 v8, v14, s4
	s_load_b128 s[12:15], s[0:1], 0x20
	v_dual_mov_b32 v15, 0 :: v_dual_mov_b32 v16, v14
	s_delay_alu instid0(VALU_DEP_2) | instskip(NEXT) | instid1(VALU_DEP_1)
	v_ashrrev_i32_e32 v9, 31, v8
	v_lshlrev_b64 v[12:13], 2, v[8:9]
	s_delay_alu instid0(VALU_DEP_1) | instskip(NEXT) | instid1(VALU_DEP_1)
	v_add_co_u32 v8, s0, s8, v12
	v_add_co_ci_u32_e64 v9, s0, s9, v13, s0
	s_waitcnt lgkmcnt(0)
	v_add_co_u32 v10, s0, s12, v12
	s_delay_alu instid0(VALU_DEP_1) | instskip(SKIP_1) | instid1(VALU_DEP_1)
	v_add_co_ci_u32_e64 v11, s0, s13, v13, s0
	v_add_co_u32 v12, s0, s14, v12
	v_add_co_ci_u32_e64 v13, s0, s15, v13, s0
.LBB131_8:                              ; =>This Inner Loop Header: Depth=1
	v_cmp_gt_f32_e64 s0, v5, v4
	s_add_i32 s7, s7, 1
	s_delay_alu instid0(VALU_DEP_1) | instskip(SKIP_2) | instid1(VALU_DEP_3)
	v_cndmask_b32_e64 v17, v4, v5, s0
	v_cndmask_b32_e64 v18, v0, v1, s0
	;; [unrolled: 1-line block ×3, first 2 shown]
	v_cmp_gt_f32_e64 s1, v6, v17
	s_delay_alu instid0(VALU_DEP_1) | instskip(NEXT) | instid1(VALU_DEP_4)
	v_cndmask_b32_e64 v17, v17, v6, s1
	v_cndmask_b32_e64 v18, v18, v2, s1
	s_delay_alu instid0(VALU_DEP_4) | instskip(NEXT) | instid1(VALU_DEP_3)
	v_cndmask_b32_e64 v19, v19, 2, s1
	v_cmp_gt_f32_e64 s0, v7, v17
	s_delay_alu instid0(VALU_DEP_1) | instskip(NEXT) | instid1(VALU_DEP_3)
	v_cndmask_b32_e64 v17, v18, v3, s0
	v_cndmask_b32_e64 v18, v19, 3, s0
	global_store_b32 v[8:9], v17, off
	v_cmp_le_i32_e64 s0, s5, v18
	v_cmp_gt_i32_e64 s1, s6, v18
	v_subrev_nc_u32_e32 v19, s5, v18
	v_cmp_ne_u32_e64 s2, 0, v18
	v_add_f32_e32 v17, v15, v17
	s_delay_alu instid0(VALU_DEP_4) | instskip(SKIP_1) | instid1(VALU_DEP_3)
	s_and_b32 s1, s0, s1
	v_cmp_ne_u32_e64 s0, 2, v18
	v_cndmask_b32_e64 v20, 0xc61c4000, v4, s2
	v_cmp_ne_u32_e64 s2, 1, v18
	s_delay_alu instid0(VALU_DEP_3) | instskip(SKIP_1) | instid1(VALU_DEP_2)
	v_cndmask_b32_e64 v22, 0xc61c4000, v6, s0
	s_and_b32 s0, s11, s1
	v_cndmask_b32_e64 v21, 0xc61c4000, v5, s2
	v_cndmask_b32_e64 v19, 4, v19, s0
	v_cmp_ne_u32_e64 s0, 3, v18
	s_cmp_lt_i32 s7, s4
	global_store_b32 v[10:11], v19, off
	global_store_b32 v[12:13], v16, off
	v_add_nc_u32_e32 v16, s10, v16
	v_cndmask_b32_e64 v18, 0xc61c4000, v7, s0
	s_cselect_b32 s0, -1, 0
	v_cndmask_b32_e32 v15, v15, v17, vcc_lo
	v_cndmask_b32_e64 v6, v6, v22, s0
	v_cndmask_b32_e64 v5, v5, v21, s0
	;; [unrolled: 1-line block ×4, first 2 shown]
	v_add_co_u32 v8, s0, v8, 4
	s_delay_alu instid0(VALU_DEP_1) | instskip(SKIP_1) | instid1(VALU_DEP_1)
	v_add_co_ci_u32_e64 v9, s0, 0, v9, s0
	v_add_co_u32 v10, s0, v10, 4
	v_add_co_ci_u32_e64 v11, s0, 0, v11, s0
	v_add_co_u32 v12, s0, v12, 4
	s_delay_alu instid0(VALU_DEP_1)
	v_add_co_ci_u32_e64 v13, s0, 0, v13, s0
	s_cmp_eq_u32 s4, s7
	s_cbranch_scc0 .LBB131_8
; %bb.9:
	s_and_b32 vcc_lo, exec_lo, vcc_lo
	s_cbranch_vccnz .LBB131_12
	s_branch .LBB131_15
.LBB131_10:
                                        ; implicit-def: $vgpr4_vgpr5_vgpr6_vgpr7
	s_and_not1_b32 vcc_lo, exec_lo, s12
	s_cbranch_vccz .LBB131_5
	s_branch .LBB131_6
.LBB131_11:
	v_mov_b32_e32 v15, 0
	s_and_b32 vcc_lo, exec_lo, vcc_lo
	s_cbranch_vccz .LBB131_15
.LBB131_12:
	s_and_not1_b32 vcc_lo, exec_lo, s3
	s_cbranch_vccnz .LBB131_15
; %bb.13:
	v_mul_lo_u32 v0, v14, s4
	v_cmp_lt_f32_e32 vcc_lo, 0, v15
	v_cndmask_b32_e32 v2, 1.0, v15, vcc_lo
	s_delay_alu instid0(VALU_DEP_3) | instskip(NEXT) | instid1(VALU_DEP_1)
	v_ashrrev_i32_e32 v1, 31, v0
	v_lshlrev_b64 v[0:1], 2, v[0:1]
	s_delay_alu instid0(VALU_DEP_1) | instskip(NEXT) | instid1(VALU_DEP_2)
	v_add_co_u32 v0, vcc_lo, s8, v0
	v_add_co_ci_u32_e32 v1, vcc_lo, s9, v1, vcc_lo
	.p2align	6
.LBB131_14:                             ; =>This Inner Loop Header: Depth=1
	global_load_b32 v3, v[0:1], off
	s_add_i32 s4, s4, -1
	s_delay_alu instid0(SALU_CYCLE_1) | instskip(SKIP_3) | instid1(VALU_DEP_2)
	s_cmp_lg_u32 s4, 0
	s_waitcnt vmcnt(0)
	v_div_scale_f32 v4, null, v2, v2, v3
	v_div_scale_f32 v7, vcc_lo, v3, v2, v3
	v_rcp_f32_e32 v5, v4
	s_waitcnt_depctr 0xfff
	v_fma_f32 v6, -v4, v5, 1.0
	s_delay_alu instid0(VALU_DEP_1) | instskip(NEXT) | instid1(VALU_DEP_1)
	v_fmac_f32_e32 v5, v6, v5
	v_mul_f32_e32 v6, v7, v5
	s_delay_alu instid0(VALU_DEP_1) | instskip(NEXT) | instid1(VALU_DEP_1)
	v_fma_f32 v8, -v4, v6, v7
	v_fmac_f32_e32 v6, v8, v5
	s_delay_alu instid0(VALU_DEP_1) | instskip(NEXT) | instid1(VALU_DEP_1)
	v_fma_f32 v4, -v4, v6, v7
	v_div_fmas_f32 v4, v4, v5, v6
	s_delay_alu instid0(VALU_DEP_1)
	v_div_fixup_f32 v3, v4, v2, v3
	global_store_b32 v[0:1], v3, off
	v_add_co_u32 v0, vcc_lo, v0, 4
	v_add_co_ci_u32_e32 v1, vcc_lo, 0, v1, vcc_lo
	s_cbranch_scc1 .LBB131_14
.LBB131_15:
	s_nop 0
	s_sendmsg sendmsg(MSG_DEALLOC_VGPRS)
	s_endpgm
	.section	.rodata,"a",@progbits
	.p2align	6, 0x0
	.amdhsa_kernel _ZN4vllm3moe10topkGatingILi4ELi4ELi4ELi8ELi64Ei14__hip_bfloat16LNS0_11ScoringFuncE0EEEvPKT5_PKbPfiPT4_PiiiibPKf
		.amdhsa_group_segment_fixed_size 0
		.amdhsa_private_segment_fixed_size 0
		.amdhsa_kernarg_size 72
		.amdhsa_user_sgpr_count 15
		.amdhsa_user_sgpr_dispatch_ptr 0
		.amdhsa_user_sgpr_queue_ptr 0
		.amdhsa_user_sgpr_kernarg_segment_ptr 1
		.amdhsa_user_sgpr_dispatch_id 0
		.amdhsa_user_sgpr_private_segment_size 0
		.amdhsa_wavefront_size32 1
		.amdhsa_uses_dynamic_stack 0
		.amdhsa_enable_private_segment 0
		.amdhsa_system_sgpr_workgroup_id_x 1
		.amdhsa_system_sgpr_workgroup_id_y 0
		.amdhsa_system_sgpr_workgroup_id_z 0
		.amdhsa_system_sgpr_workgroup_info 0
		.amdhsa_system_vgpr_workitem_id 1
		.amdhsa_next_free_vgpr 23
		.amdhsa_next_free_sgpr 16
		.amdhsa_reserve_vcc 1
		.amdhsa_float_round_mode_32 0
		.amdhsa_float_round_mode_16_64 0
		.amdhsa_float_denorm_mode_32 3
		.amdhsa_float_denorm_mode_16_64 3
		.amdhsa_dx10_clamp 1
		.amdhsa_ieee_mode 1
		.amdhsa_fp16_overflow 0
		.amdhsa_workgroup_processor_mode 1
		.amdhsa_memory_ordered 1
		.amdhsa_forward_progress 0
		.amdhsa_shared_vgpr_count 0
		.amdhsa_exception_fp_ieee_invalid_op 0
		.amdhsa_exception_fp_denorm_src 0
		.amdhsa_exception_fp_ieee_div_zero 0
		.amdhsa_exception_fp_ieee_overflow 0
		.amdhsa_exception_fp_ieee_underflow 0
		.amdhsa_exception_fp_ieee_inexact 0
		.amdhsa_exception_int_div_zero 0
	.end_amdhsa_kernel
	.section	.text._ZN4vllm3moe10topkGatingILi4ELi4ELi4ELi8ELi64Ei14__hip_bfloat16LNS0_11ScoringFuncE0EEEvPKT5_PKbPfiPT4_PiiiibPKf,"axG",@progbits,_ZN4vllm3moe10topkGatingILi4ELi4ELi4ELi8ELi64Ei14__hip_bfloat16LNS0_11ScoringFuncE0EEEvPKT5_PKbPfiPT4_PiiiibPKf,comdat
.Lfunc_end131:
	.size	_ZN4vllm3moe10topkGatingILi4ELi4ELi4ELi8ELi64Ei14__hip_bfloat16LNS0_11ScoringFuncE0EEEvPKT5_PKbPfiPT4_PiiiibPKf, .Lfunc_end131-_ZN4vllm3moe10topkGatingILi4ELi4ELi4ELi8ELi64Ei14__hip_bfloat16LNS0_11ScoringFuncE0EEEvPKT5_PKbPfiPT4_PiiiibPKf
                                        ; -- End function
	.section	.AMDGPU.csdata,"",@progbits
; Kernel info:
; codeLenInByte = 1700
; NumSgprs: 18
; NumVgprs: 23
; ScratchSize: 0
; MemoryBound: 0
; FloatMode: 240
; IeeeMode: 1
; LDSByteSize: 0 bytes/workgroup (compile time only)
; SGPRBlocks: 2
; VGPRBlocks: 2
; NumSGPRsForWavesPerEU: 18
; NumVGPRsForWavesPerEU: 23
; Occupancy: 16
; WaveLimiterHint : 0
; COMPUTE_PGM_RSRC2:SCRATCH_EN: 0
; COMPUTE_PGM_RSRC2:USER_SGPR: 15
; COMPUTE_PGM_RSRC2:TRAP_HANDLER: 0
; COMPUTE_PGM_RSRC2:TGID_X_EN: 1
; COMPUTE_PGM_RSRC2:TGID_Y_EN: 0
; COMPUTE_PGM_RSRC2:TGID_Z_EN: 0
; COMPUTE_PGM_RSRC2:TIDIG_COMP_CNT: 1
	.section	.text._ZN4vllm3moe10topkGatingILi4ELi4ELi4ELi8ELi32Ei14__hip_bfloat16LNS0_11ScoringFuncE0EEEvPKT5_PKbPfiPT4_PiiiibPKf,"axG",@progbits,_ZN4vllm3moe10topkGatingILi4ELi4ELi4ELi8ELi32Ei14__hip_bfloat16LNS0_11ScoringFuncE0EEEvPKT5_PKbPfiPT4_PiiiibPKf,comdat
	.protected	_ZN4vllm3moe10topkGatingILi4ELi4ELi4ELi8ELi32Ei14__hip_bfloat16LNS0_11ScoringFuncE0EEEvPKT5_PKbPfiPT4_PiiiibPKf ; -- Begin function _ZN4vllm3moe10topkGatingILi4ELi4ELi4ELi8ELi32Ei14__hip_bfloat16LNS0_11ScoringFuncE0EEEvPKT5_PKbPfiPT4_PiiiibPKf
	.globl	_ZN4vllm3moe10topkGatingILi4ELi4ELi4ELi8ELi32Ei14__hip_bfloat16LNS0_11ScoringFuncE0EEEvPKT5_PKbPfiPT4_PiiiibPKf
	.p2align	8
	.type	_ZN4vllm3moe10topkGatingILi4ELi4ELi4ELi8ELi32Ei14__hip_bfloat16LNS0_11ScoringFuncE0EEEvPKT5_PKbPfiPT4_PiiiibPKf,@function
_ZN4vllm3moe10topkGatingILi4ELi4ELi4ELi8ELi32Ei14__hip_bfloat16LNS0_11ScoringFuncE0EEEvPKT5_PKbPfiPT4_PiiiibPKf: ; @_ZN4vllm3moe10topkGatingILi4ELi4ELi4ELi8ELi32Ei14__hip_bfloat16LNS0_11ScoringFuncE0EEEvPKT5_PKbPfiPT4_PiiiibPKf
; %bb.0:
	s_load_b32 s10, s[0:1], 0x18
	v_bfe_u32 v1, v0, 10, 10
	v_and_b32_e32 v0, 0x3ff, v0
	s_lshl_b32 s2, s15, 7
	s_delay_alu instid0(VALU_DEP_2) | instskip(NEXT) | instid1(VALU_DEP_1)
	v_lshlrev_b32_e32 v1, 5, v1
	v_add3_u32 v14, v1, v0, s2
	s_mov_b32 s2, exec_lo
	s_waitcnt lgkmcnt(0)
	s_delay_alu instid0(VALU_DEP_1)
	v_cmpx_gt_i32_e64 s10, v14
	s_cbranch_execz .LBB132_15
; %bb.1:
	s_clause 0x1
	s_load_b128 s[4:7], s[0:1], 0x0
	s_load_b64 s[8:9], s[0:1], 0x10
	s_mov_b32 s12, -1
	s_mov_b32 s11, -1
	s_waitcnt lgkmcnt(0)
	s_cmp_eq_u64 s[6:7], 0
	s_cbranch_scc1 .LBB132_3
; %bb.2:
	v_ashrrev_i32_e32 v1, 31, v14
	v_add_co_u32 v0, vcc_lo, s6, v14
	s_delay_alu instid0(VALU_DEP_2) | instskip(SKIP_3) | instid1(VALU_DEP_1)
	v_add_co_ci_u32_e32 v1, vcc_lo, s7, v1, vcc_lo
	global_load_u8 v0, v[0:1], off
	s_waitcnt vmcnt(0)
	v_and_b32_e32 v0, 1, v0
	v_cmp_eq_u32_e32 vcc_lo, 1, v0
	s_xor_b32 s2, vcc_lo, -1
	s_delay_alu instid0(SALU_CYCLE_1)
	s_or_not1_b32 s11, s2, exec_lo
.LBB132_3:
	v_lshlrev_b32_e32 v0, 2, v14
	s_load_b64 s[2:3], s[0:1], 0x40
	s_delay_alu instid0(VALU_DEP_1) | instskip(NEXT) | instid1(VALU_DEP_1)
	v_ashrrev_i32_e32 v1, 31, v0
	v_lshlrev_b64 v[0:1], 1, v[0:1]
	s_delay_alu instid0(VALU_DEP_1) | instskip(NEXT) | instid1(VALU_DEP_2)
	v_add_co_u32 v0, vcc_lo, s4, v0
	v_add_co_ci_u32_e32 v1, vcc_lo, s5, v1, vcc_lo
	s_waitcnt lgkmcnt(0)
	s_cmp_eq_u64 s[2:3], 0
	global_load_b64 v[0:1], v[0:1], off
	s_waitcnt vmcnt(0)
	v_and_b32_e32 v2, 0xffff0000, v0
	v_lshlrev_b32_e32 v3, 16, v0
	v_alignbit_b32 v0, v1, v0, 16
	s_delay_alu instid0(VALU_DEP_2) | instskip(SKIP_1) | instid1(VALU_DEP_3)
	v_dual_max_f32 v4, v2, v2 :: v_dual_max_f32 v5, v3, v3
	v_and_b32_e32 v1, 0xffff0000, v1
	v_and_b32_e32 v0, 0xffff0000, v0
	s_delay_alu instid0(VALU_DEP_3) | instskip(NEXT) | instid1(VALU_DEP_1)
	v_max_f32_e32 v4, v5, v4
	v_max3_f32 v4, v4, v0, v1
	s_delay_alu instid0(VALU_DEP_1) | instskip(SKIP_1) | instid1(VALU_DEP_1)
	v_sub_f32_e32 v3, v3, v4
	v_sub_f32_e32 v1, v1, v4
	v_dual_sub_f32 v2, v2, v4 :: v_dual_mul_f32 v7, 0x3fb8aa3b, v1
	s_delay_alu instid0(VALU_DEP_1) | instskip(NEXT) | instid1(VALU_DEP_2)
	v_mul_f32_e32 v5, 0x3fb8aa3b, v2
	v_fma_f32 v15, 0x3fb8aa3b, v1, -v7
	s_delay_alu instid0(VALU_DEP_2) | instskip(SKIP_2) | instid1(VALU_DEP_2)
	v_fma_f32 v10, 0x3fb8aa3b, v2, -v5
	v_rndne_f32_e32 v11, v5
	v_rndne_f32_e32 v16, v7
	v_dual_fmac_f32 v10, 0x32a5705f, v2 :: v_dual_sub_f32 v5, v5, v11
	s_delay_alu instid0(VALU_DEP_2) | instskip(NEXT) | instid1(VALU_DEP_2)
	v_sub_f32_e32 v7, v7, v16
	v_dual_add_f32 v5, v5, v10 :: v_dual_sub_f32 v0, v0, v4
	v_mul_f32_e32 v4, 0x3fb8aa3b, v3
	v_fmac_f32_e32 v15, 0x32a5705f, v1
	s_delay_alu instid0(VALU_DEP_3) | instskip(NEXT) | instid1(VALU_DEP_3)
	v_exp_f32_e32 v5, v5
	v_mul_f32_e32 v6, 0x3fb8aa3b, v0
	s_delay_alu instid0(VALU_DEP_3) | instskip(SKIP_2) | instid1(VALU_DEP_4)
	v_fma_f32 v8, 0x3fb8aa3b, v3, -v4
	v_rndne_f32_e32 v9, v4
	v_add_f32_e32 v7, v7, v15
	v_fma_f32 v12, 0x3fb8aa3b, v0, -v6
	v_rndne_f32_e32 v13, v6
	s_delay_alu instid0(VALU_DEP_4) | instskip(SKIP_4) | instid1(VALU_DEP_3)
	v_sub_f32_e32 v4, v4, v9
	v_fmac_f32_e32 v8, 0x32a5705f, v3
	v_cmp_ngt_f32_e32 vcc_lo, 0xc2ce8ed0, v3
	v_exp_f32_e32 v7, v7
	v_cvt_i32_f32_e32 v10, v13
	v_add_f32_e32 v4, v4, v8
	v_cvt_i32_f32_e32 v8, v9
	v_cvt_i32_f32_e32 v9, v11
	;; [unrolled: 1-line block ×3, first 2 shown]
	s_delay_alu instid0(VALU_DEP_4) | instskip(NEXT) | instid1(VALU_DEP_2)
	v_exp_f32_e32 v4, v4
	v_ldexp_f32 v5, v5, v9
	s_delay_alu instid0(TRANS32_DEP_2) | instid1(VALU_DEP_2)
	v_ldexp_f32 v7, v7, v11
	s_waitcnt_depctr 0xfff
	v_ldexp_f32 v4, v4, v8
	s_delay_alu instid0(VALU_DEP_1) | instskip(SKIP_3) | instid1(VALU_DEP_1)
	v_cndmask_b32_e32 v4, 0, v4, vcc_lo
	v_sub_f32_e32 v6, v6, v13
	v_cmp_ngt_f32_e32 vcc_lo, 0xc2ce8ed0, v2
	v_dual_fmac_f32 v12, 0x32a5705f, v0 :: v_dual_cndmask_b32 v5, 0, v5
	v_add_f32_e32 v6, v6, v12
	v_cmp_ngt_f32_e32 vcc_lo, 0xc2ce8ed0, v0
	s_delay_alu instid0(VALU_DEP_2) | instskip(SKIP_2) | instid1(VALU_DEP_1)
	v_exp_f32_e32 v6, v6
	s_waitcnt_depctr 0xfff
	v_ldexp_f32 v6, v6, v10
	v_cndmask_b32_e32 v6, 0, v6, vcc_lo
	v_cmp_nlt_f32_e32 vcc_lo, 0x42b17218, v3
	v_cndmask_b32_e32 v3, 0x7f800000, v4, vcc_lo
	v_cmp_nlt_f32_e32 vcc_lo, 0x42b17218, v2
	v_cndmask_b32_e32 v2, 0x7f800000, v5, vcc_lo
	v_cmp_ngt_f32_e32 vcc_lo, 0xc2ce8ed0, v1
	s_delay_alu instid0(VALU_DEP_2) | instskip(SKIP_3) | instid1(VALU_DEP_4)
	v_dual_add_f32 v5, v3, v2 :: v_dual_cndmask_b32 v4, 0, v7
	v_cmp_nlt_f32_e32 vcc_lo, 0x42b17218, v0
	v_cndmask_b32_e32 v0, 0x7f800000, v6, vcc_lo
	v_cmp_nlt_f32_e32 vcc_lo, 0x42b17218, v1
	v_cndmask_b32_e32 v1, 0x7f800000, v4, vcc_lo
	s_delay_alu instid0(VALU_DEP_3) | instskip(NEXT) | instid1(VALU_DEP_1)
	v_add_f32_e32 v4, v5, v0
	v_add_f32_e32 v4, v4, v1
	s_delay_alu instid0(VALU_DEP_1) | instskip(SKIP_1) | instid1(VALU_DEP_2)
	v_div_scale_f32 v5, null, v4, v4, 1.0
	v_div_scale_f32 v8, vcc_lo, 1.0, v4, 1.0
	v_rcp_f32_e32 v6, v5
	s_waitcnt_depctr 0xfff
	v_fma_f32 v7, -v5, v6, 1.0
	s_delay_alu instid0(VALU_DEP_1) | instskip(NEXT) | instid1(VALU_DEP_1)
	v_fmac_f32_e32 v6, v7, v6
	v_mul_f32_e32 v7, v8, v6
	s_delay_alu instid0(VALU_DEP_1) | instskip(NEXT) | instid1(VALU_DEP_1)
	v_fma_f32 v9, -v5, v7, v8
	v_fmac_f32_e32 v7, v9, v6
	s_delay_alu instid0(VALU_DEP_1) | instskip(NEXT) | instid1(VALU_DEP_1)
	v_fma_f32 v5, -v5, v7, v8
	v_div_fmas_f32 v5, v5, v6, v7
	s_delay_alu instid0(VALU_DEP_1) | instskip(NEXT) | instid1(VALU_DEP_1)
	v_div_fixup_f32 v4, v5, v4, 1.0
	v_mul_f32_e32 v3, v4, v3
	v_mul_f32_e32 v2, v4, v2
	;; [unrolled: 1-line block ×4, first 2 shown]
	s_delay_alu instid0(VALU_DEP_4)
	v_cmp_class_f32_e64 vcc_lo, v3, 0x1f8
	v_cndmask_b32_e32 v0, 0, v3, vcc_lo
	v_cmp_class_f32_e64 vcc_lo, v2, 0x1f8
	v_cndmask_b32_e32 v1, 0, v2, vcc_lo
	v_cmp_class_f32_e64 vcc_lo, v5, 0x1f8
	v_cndmask_b32_e32 v2, 0, v5, vcc_lo
	v_cmp_class_f32_e64 vcc_lo, v4, 0x1f8
	v_cndmask_b32_e32 v3, 0, v4, vcc_lo
	s_cbranch_scc1 .LBB132_10
; %bb.4:
	s_load_b128 s[4:7], s[2:3], 0x0
	s_waitcnt lgkmcnt(0)
	v_dual_add_f32 v4, s4, v0 :: v_dual_add_f32 v5, s5, v1
	v_dual_add_f32 v6, s6, v2 :: v_dual_add_f32 v7, s7, v3
	s_cbranch_execnz .LBB132_6
.LBB132_5:
	v_dual_mov_b32 v7, v3 :: v_dual_mov_b32 v6, v2
	v_dual_mov_b32 v5, v1 :: v_dual_mov_b32 v4, v0
.LBB132_6:
	s_load_b128 s[4:7], s[0:1], 0x30
	s_waitcnt lgkmcnt(0)
	s_bitcmp1_b32 s7, 0
	s_mov_b32 s7, 0
	s_cselect_b32 vcc_lo, -1, 0
	s_cmp_gt_i32 s4, 0
	s_cselect_b32 s3, -1, 0
	s_cmp_lt_i32 s4, 1
	s_cbranch_scc1 .LBB132_11
; %bb.7:
	v_mul_lo_u32 v8, v14, s4
	s_load_b128 s[12:15], s[0:1], 0x20
	v_dual_mov_b32 v15, 0 :: v_dual_mov_b32 v16, v14
	s_delay_alu instid0(VALU_DEP_2) | instskip(NEXT) | instid1(VALU_DEP_1)
	v_ashrrev_i32_e32 v9, 31, v8
	v_lshlrev_b64 v[12:13], 2, v[8:9]
	s_delay_alu instid0(VALU_DEP_1) | instskip(NEXT) | instid1(VALU_DEP_1)
	v_add_co_u32 v8, s0, s8, v12
	v_add_co_ci_u32_e64 v9, s0, s9, v13, s0
	s_waitcnt lgkmcnt(0)
	v_add_co_u32 v10, s0, s12, v12
	s_delay_alu instid0(VALU_DEP_1) | instskip(SKIP_1) | instid1(VALU_DEP_1)
	v_add_co_ci_u32_e64 v11, s0, s13, v13, s0
	v_add_co_u32 v12, s0, s14, v12
	v_add_co_ci_u32_e64 v13, s0, s15, v13, s0
.LBB132_8:                              ; =>This Inner Loop Header: Depth=1
	v_cmp_gt_f32_e64 s0, v5, v4
	s_add_i32 s7, s7, 1
	s_delay_alu instid0(VALU_DEP_1) | instskip(SKIP_2) | instid1(VALU_DEP_3)
	v_cndmask_b32_e64 v17, v4, v5, s0
	v_cndmask_b32_e64 v18, v0, v1, s0
	;; [unrolled: 1-line block ×3, first 2 shown]
	v_cmp_gt_f32_e64 s1, v6, v17
	s_delay_alu instid0(VALU_DEP_1) | instskip(NEXT) | instid1(VALU_DEP_4)
	v_cndmask_b32_e64 v17, v17, v6, s1
	v_cndmask_b32_e64 v18, v18, v2, s1
	s_delay_alu instid0(VALU_DEP_4) | instskip(NEXT) | instid1(VALU_DEP_3)
	v_cndmask_b32_e64 v19, v19, 2, s1
	v_cmp_gt_f32_e64 s0, v7, v17
	s_delay_alu instid0(VALU_DEP_1) | instskip(NEXT) | instid1(VALU_DEP_3)
	v_cndmask_b32_e64 v17, v18, v3, s0
	v_cndmask_b32_e64 v18, v19, 3, s0
	global_store_b32 v[8:9], v17, off
	v_cmp_le_i32_e64 s0, s5, v18
	v_cmp_gt_i32_e64 s1, s6, v18
	v_subrev_nc_u32_e32 v19, s5, v18
	v_cmp_ne_u32_e64 s2, 0, v18
	v_add_f32_e32 v17, v15, v17
	s_delay_alu instid0(VALU_DEP_4) | instskip(SKIP_1) | instid1(VALU_DEP_3)
	s_and_b32 s1, s0, s1
	v_cmp_ne_u32_e64 s0, 2, v18
	v_cndmask_b32_e64 v20, 0xc61c4000, v4, s2
	v_cmp_ne_u32_e64 s2, 1, v18
	s_delay_alu instid0(VALU_DEP_3) | instskip(SKIP_1) | instid1(VALU_DEP_2)
	v_cndmask_b32_e64 v22, 0xc61c4000, v6, s0
	s_and_b32 s0, s11, s1
	v_cndmask_b32_e64 v21, 0xc61c4000, v5, s2
	v_cndmask_b32_e64 v19, 4, v19, s0
	v_cmp_ne_u32_e64 s0, 3, v18
	s_cmp_lt_i32 s7, s4
	global_store_b32 v[10:11], v19, off
	global_store_b32 v[12:13], v16, off
	v_add_nc_u32_e32 v16, s10, v16
	v_cndmask_b32_e64 v18, 0xc61c4000, v7, s0
	s_cselect_b32 s0, -1, 0
	v_cndmask_b32_e32 v15, v15, v17, vcc_lo
	v_cndmask_b32_e64 v6, v6, v22, s0
	v_cndmask_b32_e64 v5, v5, v21, s0
	;; [unrolled: 1-line block ×4, first 2 shown]
	v_add_co_u32 v8, s0, v8, 4
	s_delay_alu instid0(VALU_DEP_1) | instskip(SKIP_1) | instid1(VALU_DEP_1)
	v_add_co_ci_u32_e64 v9, s0, 0, v9, s0
	v_add_co_u32 v10, s0, v10, 4
	v_add_co_ci_u32_e64 v11, s0, 0, v11, s0
	v_add_co_u32 v12, s0, v12, 4
	s_delay_alu instid0(VALU_DEP_1)
	v_add_co_ci_u32_e64 v13, s0, 0, v13, s0
	s_cmp_eq_u32 s4, s7
	s_cbranch_scc0 .LBB132_8
; %bb.9:
	s_and_b32 vcc_lo, exec_lo, vcc_lo
	s_cbranch_vccnz .LBB132_12
	s_branch .LBB132_15
.LBB132_10:
                                        ; implicit-def: $vgpr4_vgpr5_vgpr6_vgpr7
	s_and_not1_b32 vcc_lo, exec_lo, s12
	s_cbranch_vccz .LBB132_5
	s_branch .LBB132_6
.LBB132_11:
	v_mov_b32_e32 v15, 0
	s_and_b32 vcc_lo, exec_lo, vcc_lo
	s_cbranch_vccz .LBB132_15
.LBB132_12:
	s_and_not1_b32 vcc_lo, exec_lo, s3
	s_cbranch_vccnz .LBB132_15
; %bb.13:
	v_mul_lo_u32 v0, v14, s4
	v_cmp_lt_f32_e32 vcc_lo, 0, v15
	v_cndmask_b32_e32 v2, 1.0, v15, vcc_lo
	s_delay_alu instid0(VALU_DEP_3) | instskip(NEXT) | instid1(VALU_DEP_1)
	v_ashrrev_i32_e32 v1, 31, v0
	v_lshlrev_b64 v[0:1], 2, v[0:1]
	s_delay_alu instid0(VALU_DEP_1) | instskip(NEXT) | instid1(VALU_DEP_2)
	v_add_co_u32 v0, vcc_lo, s8, v0
	v_add_co_ci_u32_e32 v1, vcc_lo, s9, v1, vcc_lo
	.p2align	6
.LBB132_14:                             ; =>This Inner Loop Header: Depth=1
	global_load_b32 v3, v[0:1], off
	s_add_i32 s4, s4, -1
	s_delay_alu instid0(SALU_CYCLE_1) | instskip(SKIP_3) | instid1(VALU_DEP_2)
	s_cmp_lg_u32 s4, 0
	s_waitcnt vmcnt(0)
	v_div_scale_f32 v4, null, v2, v2, v3
	v_div_scale_f32 v7, vcc_lo, v3, v2, v3
	v_rcp_f32_e32 v5, v4
	s_waitcnt_depctr 0xfff
	v_fma_f32 v6, -v4, v5, 1.0
	s_delay_alu instid0(VALU_DEP_1) | instskip(NEXT) | instid1(VALU_DEP_1)
	v_fmac_f32_e32 v5, v6, v5
	v_mul_f32_e32 v6, v7, v5
	s_delay_alu instid0(VALU_DEP_1) | instskip(NEXT) | instid1(VALU_DEP_1)
	v_fma_f32 v8, -v4, v6, v7
	v_fmac_f32_e32 v6, v8, v5
	s_delay_alu instid0(VALU_DEP_1) | instskip(NEXT) | instid1(VALU_DEP_1)
	v_fma_f32 v4, -v4, v6, v7
	v_div_fmas_f32 v4, v4, v5, v6
	s_delay_alu instid0(VALU_DEP_1)
	v_div_fixup_f32 v3, v4, v2, v3
	global_store_b32 v[0:1], v3, off
	v_add_co_u32 v0, vcc_lo, v0, 4
	v_add_co_ci_u32_e32 v1, vcc_lo, 0, v1, vcc_lo
	s_cbranch_scc1 .LBB132_14
.LBB132_15:
	s_nop 0
	s_sendmsg sendmsg(MSG_DEALLOC_VGPRS)
	s_endpgm
	.section	.rodata,"a",@progbits
	.p2align	6, 0x0
	.amdhsa_kernel _ZN4vllm3moe10topkGatingILi4ELi4ELi4ELi8ELi32Ei14__hip_bfloat16LNS0_11ScoringFuncE0EEEvPKT5_PKbPfiPT4_PiiiibPKf
		.amdhsa_group_segment_fixed_size 0
		.amdhsa_private_segment_fixed_size 0
		.amdhsa_kernarg_size 72
		.amdhsa_user_sgpr_count 15
		.amdhsa_user_sgpr_dispatch_ptr 0
		.amdhsa_user_sgpr_queue_ptr 0
		.amdhsa_user_sgpr_kernarg_segment_ptr 1
		.amdhsa_user_sgpr_dispatch_id 0
		.amdhsa_user_sgpr_private_segment_size 0
		.amdhsa_wavefront_size32 1
		.amdhsa_uses_dynamic_stack 0
		.amdhsa_enable_private_segment 0
		.amdhsa_system_sgpr_workgroup_id_x 1
		.amdhsa_system_sgpr_workgroup_id_y 0
		.amdhsa_system_sgpr_workgroup_id_z 0
		.amdhsa_system_sgpr_workgroup_info 0
		.amdhsa_system_vgpr_workitem_id 1
		.amdhsa_next_free_vgpr 23
		.amdhsa_next_free_sgpr 16
		.amdhsa_reserve_vcc 1
		.amdhsa_float_round_mode_32 0
		.amdhsa_float_round_mode_16_64 0
		.amdhsa_float_denorm_mode_32 3
		.amdhsa_float_denorm_mode_16_64 3
		.amdhsa_dx10_clamp 1
		.amdhsa_ieee_mode 1
		.amdhsa_fp16_overflow 0
		.amdhsa_workgroup_processor_mode 1
		.amdhsa_memory_ordered 1
		.amdhsa_forward_progress 0
		.amdhsa_shared_vgpr_count 0
		.amdhsa_exception_fp_ieee_invalid_op 0
		.amdhsa_exception_fp_denorm_src 0
		.amdhsa_exception_fp_ieee_div_zero 0
		.amdhsa_exception_fp_ieee_overflow 0
		.amdhsa_exception_fp_ieee_underflow 0
		.amdhsa_exception_fp_ieee_inexact 0
		.amdhsa_exception_int_div_zero 0
	.end_amdhsa_kernel
	.section	.text._ZN4vllm3moe10topkGatingILi4ELi4ELi4ELi8ELi32Ei14__hip_bfloat16LNS0_11ScoringFuncE0EEEvPKT5_PKbPfiPT4_PiiiibPKf,"axG",@progbits,_ZN4vllm3moe10topkGatingILi4ELi4ELi4ELi8ELi32Ei14__hip_bfloat16LNS0_11ScoringFuncE0EEEvPKT5_PKbPfiPT4_PiiiibPKf,comdat
.Lfunc_end132:
	.size	_ZN4vllm3moe10topkGatingILi4ELi4ELi4ELi8ELi32Ei14__hip_bfloat16LNS0_11ScoringFuncE0EEEvPKT5_PKbPfiPT4_PiiiibPKf, .Lfunc_end132-_ZN4vllm3moe10topkGatingILi4ELi4ELi4ELi8ELi32Ei14__hip_bfloat16LNS0_11ScoringFuncE0EEEvPKT5_PKbPfiPT4_PiiiibPKf
                                        ; -- End function
	.section	.AMDGPU.csdata,"",@progbits
; Kernel info:
; codeLenInByte = 1700
; NumSgprs: 18
; NumVgprs: 23
; ScratchSize: 0
; MemoryBound: 0
; FloatMode: 240
; IeeeMode: 1
; LDSByteSize: 0 bytes/workgroup (compile time only)
; SGPRBlocks: 2
; VGPRBlocks: 2
; NumSGPRsForWavesPerEU: 18
; NumVGPRsForWavesPerEU: 23
; Occupancy: 16
; WaveLimiterHint : 0
; COMPUTE_PGM_RSRC2:SCRATCH_EN: 0
; COMPUTE_PGM_RSRC2:USER_SGPR: 15
; COMPUTE_PGM_RSRC2:TRAP_HANDLER: 0
; COMPUTE_PGM_RSRC2:TGID_X_EN: 1
; COMPUTE_PGM_RSRC2:TGID_Y_EN: 0
; COMPUTE_PGM_RSRC2:TGID_Z_EN: 0
; COMPUTE_PGM_RSRC2:TIDIG_COMP_CNT: 1
	.section	.text._ZN4vllm3moe10topkGatingILi8ELi8ELi4ELi16ELi64Ei14__hip_bfloat16LNS0_11ScoringFuncE0EEEvPKT5_PKbPfiPT4_PiiiibPKf,"axG",@progbits,_ZN4vllm3moe10topkGatingILi8ELi8ELi4ELi16ELi64Ei14__hip_bfloat16LNS0_11ScoringFuncE0EEEvPKT5_PKbPfiPT4_PiiiibPKf,comdat
	.protected	_ZN4vllm3moe10topkGatingILi8ELi8ELi4ELi16ELi64Ei14__hip_bfloat16LNS0_11ScoringFuncE0EEEvPKT5_PKbPfiPT4_PiiiibPKf ; -- Begin function _ZN4vllm3moe10topkGatingILi8ELi8ELi4ELi16ELi64Ei14__hip_bfloat16LNS0_11ScoringFuncE0EEEvPKT5_PKbPfiPT4_PiiiibPKf
	.globl	_ZN4vllm3moe10topkGatingILi8ELi8ELi4ELi16ELi64Ei14__hip_bfloat16LNS0_11ScoringFuncE0EEEvPKT5_PKbPfiPT4_PiiiibPKf
	.p2align	8
	.type	_ZN4vllm3moe10topkGatingILi8ELi8ELi4ELi16ELi64Ei14__hip_bfloat16LNS0_11ScoringFuncE0EEEvPKT5_PKbPfiPT4_PiiiibPKf,@function
_ZN4vllm3moe10topkGatingILi8ELi8ELi4ELi16ELi64Ei14__hip_bfloat16LNS0_11ScoringFuncE0EEEvPKT5_PKbPfiPT4_PiiiibPKf: ; @_ZN4vllm3moe10topkGatingILi8ELi8ELi4ELi16ELi64Ei14__hip_bfloat16LNS0_11ScoringFuncE0EEEvPKT5_PKbPfiPT4_PiiiibPKf
; %bb.0:
	s_load_b32 s14, s[0:1], 0x18
	v_bfe_u32 v1, v0, 10, 10
	v_and_b32_e32 v0, 0x3ff, v0
	s_lshl_b32 s2, s15, 8
	s_delay_alu instid0(VALU_DEP_2) | instskip(NEXT) | instid1(VALU_DEP_1)
	v_lshlrev_b32_e32 v1, 6, v1
	v_add3_u32 v16, v1, v0, s2
	s_mov_b32 s2, exec_lo
	s_waitcnt lgkmcnt(0)
	s_delay_alu instid0(VALU_DEP_1)
	v_cmpx_gt_i32_e64 s14, v16
	s_cbranch_execz .LBB133_15
; %bb.1:
	s_clause 0x1
	s_load_b128 s[4:7], s[0:1], 0x0
	s_load_b64 s[12:13], s[0:1], 0x10
	s_mov_b32 s8, -1
	s_mov_b32 s15, -1
	s_waitcnt lgkmcnt(0)
	s_cmp_eq_u64 s[6:7], 0
	s_cbranch_scc1 .LBB133_3
; %bb.2:
	v_ashrrev_i32_e32 v1, 31, v16
	v_add_co_u32 v0, vcc_lo, s6, v16
	s_delay_alu instid0(VALU_DEP_2) | instskip(SKIP_3) | instid1(VALU_DEP_1)
	v_add_co_ci_u32_e32 v1, vcc_lo, s7, v1, vcc_lo
	global_load_u8 v0, v[0:1], off
	s_waitcnt vmcnt(0)
	v_and_b32_e32 v0, 1, v0
	v_cmp_eq_u32_e32 vcc_lo, 1, v0
	s_xor_b32 s2, vcc_lo, -1
	s_delay_alu instid0(SALU_CYCLE_1)
	s_or_not1_b32 s15, s2, exec_lo
.LBB133_3:
	v_lshlrev_b32_e32 v0, 3, v16
	s_load_b64 s[2:3], s[0:1], 0x40
	s_delay_alu instid0(VALU_DEP_1) | instskip(NEXT) | instid1(VALU_DEP_1)
	v_ashrrev_i32_e32 v1, 31, v0
	v_lshlrev_b64 v[0:1], 1, v[0:1]
	s_delay_alu instid0(VALU_DEP_1) | instskip(NEXT) | instid1(VALU_DEP_2)
	v_add_co_u32 v0, vcc_lo, s4, v0
	v_add_co_ci_u32_e32 v1, vcc_lo, s5, v1, vcc_lo
	s_waitcnt lgkmcnt(0)
	s_cmp_eq_u64 s[2:3], 0
	global_load_b128 v[0:3], v[0:1], off
	s_waitcnt vmcnt(0)
	v_lshlrev_b32_e32 v7, 16, v1
	v_and_b32_e32 v4, 0xffff0000, v0
	v_and_b32_e32 v1, 0xffff0000, v1
	v_lshlrev_b32_e32 v0, 16, v0
	v_lshlrev_b32_e32 v8, 16, v3
	v_and_b32_e32 v3, 0xffff0000, v3
	v_max_f32_e32 v5, v4, v4
	s_delay_alu instid0(VALU_DEP_4) | instskip(NEXT) | instid1(VALU_DEP_1)
	v_max_f32_e32 v6, v0, v0
	v_dual_max_f32 v5, v6, v5 :: v_dual_lshlrev_b32 v6, 16, v2
	v_and_b32_e32 v2, 0xffff0000, v2
	s_delay_alu instid0(VALU_DEP_2) | instskip(NEXT) | instid1(VALU_DEP_1)
	v_max3_f32 v5, v5, v7, v1
	v_max3_f32 v5, v5, v6, v2
	s_delay_alu instid0(VALU_DEP_1) | instskip(NEXT) | instid1(VALU_DEP_1)
	v_max3_f32 v5, v5, v8, v3
	v_sub_f32_e32 v3, v3, v5
	v_sub_f32_e32 v6, v6, v5
	;; [unrolled: 1-line block ×3, first 2 shown]
	s_delay_alu instid0(VALU_DEP_3) | instskip(NEXT) | instid1(VALU_DEP_3)
	v_dual_sub_f32 v8, v8, v5 :: v_dual_mul_f32 v15, 0x3fb8aa3b, v3
	v_dual_mul_f32 v12, 0x3fb8aa3b, v6 :: v_dual_sub_f32 v7, v7, v5
	s_delay_alu instid0(VALU_DEP_3) | instskip(NEXT) | instid1(VALU_DEP_3)
	v_dual_sub_f32 v4, v4, v5 :: v_dual_mul_f32 v13, 0x3fb8aa3b, v2
	v_rndne_f32_e32 v32, v15
	s_delay_alu instid0(VALU_DEP_3) | instskip(NEXT) | instid1(VALU_DEP_4)
	v_fma_f32 v25, 0x3fb8aa3b, v6, -v12
	v_mul_f32_e32 v10, 0x3fb8aa3b, v7
	v_rndne_f32_e32 v26, v12
	v_rndne_f32_e32 v28, v13
	v_fma_f32 v31, 0x3fb8aa3b, v3, -v15
	v_mul_f32_e32 v9, 0x3fb8aa3b, v4
	v_rndne_f32_e32 v22, v10
	v_fma_f32 v21, 0x3fb8aa3b, v7, -v10
	v_sub_f32_e32 v12, v12, v26
	v_cvt_i32_f32_e32 v26, v26
	v_fma_f32 v19, 0x3fb8aa3b, v4, -v9
	v_dual_sub_f32 v10, v10, v22 :: v_dual_sub_f32 v1, v1, v5
	v_sub_f32_e32 v0, v0, v5
	v_rndne_f32_e32 v20, v9
	s_delay_alu instid0(VALU_DEP_4)
	v_fmac_f32_e32 v19, 0x32a5705f, v4
	v_cvt_i32_f32_e32 v22, v22
	v_mul_f32_e32 v11, 0x3fb8aa3b, v1
	v_mul_f32_e32 v5, 0x3fb8aa3b, v0
	v_cmp_ngt_f32_e32 vcc_lo, 0xc2ce8ed0, v0
	v_fmac_f32_e32 v31, 0x32a5705f, v3
	s_delay_alu instid0(VALU_DEP_4) | instskip(NEXT) | instid1(VALU_DEP_4)
	v_rndne_f32_e32 v24, v11
	v_fma_f32 v17, 0x3fb8aa3b, v0, -v5
	v_rndne_f32_e32 v18, v5
	v_fma_f32 v23, 0x3fb8aa3b, v1, -v11
	s_delay_alu instid0(VALU_DEP_3) | instskip(NEXT) | instid1(VALU_DEP_3)
	v_fmac_f32_e32 v17, 0x32a5705f, v0
	v_dual_sub_f32 v5, v5, v18 :: v_dual_mul_f32 v14, 0x3fb8aa3b, v8
	v_cvt_i32_f32_e32 v18, v18
	v_fma_f32 v27, 0x3fb8aa3b, v2, -v13
	s_delay_alu instid0(VALU_DEP_3) | instskip(NEXT) | instid1(VALU_DEP_4)
	v_add_f32_e32 v5, v5, v17
	v_fma_f32 v29, 0x3fb8aa3b, v8, -v14
	v_rndne_f32_e32 v30, v14
	v_sub_f32_e32 v9, v9, v20
	v_cvt_i32_f32_e32 v20, v20
	v_exp_f32_e32 v5, v5
	s_delay_alu instid0(VALU_DEP_3)
	v_dual_fmac_f32 v29, 0x32a5705f, v8 :: v_dual_sub_f32 v14, v14, v30
	v_fmac_f32_e32 v25, 0x32a5705f, v6
	v_add_f32_e32 v9, v9, v19
	v_cvt_i32_f32_e32 v17, v30
	v_cvt_i32_f32_e32 v19, v32
	v_dual_add_f32 v14, v14, v29 :: v_dual_fmac_f32 v21, 0x32a5705f, v7
	v_dual_add_f32 v12, v12, v25 :: v_dual_sub_f32 v11, v11, v24
	v_exp_f32_e32 v9, v9
	s_delay_alu instid0(TRANS32_DEP_2) | instskip(NEXT) | instid1(VALU_DEP_3)
	v_ldexp_f32 v5, v5, v18
	v_add_f32_e32 v10, v10, v21
	v_cvt_i32_f32_e32 v24, v24
	v_exp_f32_e32 v12, v12
	v_exp_f32_e32 v14, v14
	v_cndmask_b32_e32 v5, 0, v5, vcc_lo
	v_exp_f32_e32 v10, v10
	v_cmp_ngt_f32_e32 vcc_lo, 0xc2ce8ed0, v4
	v_ldexp_f32 v9, v9, v20
	s_delay_alu instid0(TRANS32_DEP_3) | instskip(NEXT) | instid1(VALU_DEP_2)
	v_ldexp_f32 v12, v12, v26
	v_cndmask_b32_e32 v9, 0, v9, vcc_lo
	v_cmp_ngt_f32_e32 vcc_lo, 0xc2ce8ed0, v7
	s_waitcnt_depctr 0xfff
	v_ldexp_f32 v10, v10, v22
	v_fmac_f32_e32 v23, 0x32a5705f, v1
	v_ldexp_f32 v14, v14, v17
	s_delay_alu instid0(VALU_DEP_2) | instskip(SKIP_3) | instid1(VALU_DEP_4)
	v_dual_cndmask_b32 v10, 0, v10 :: v_dual_add_f32 v11, v11, v23
	v_cmp_nlt_f32_e32 vcc_lo, 0x42b17218, v0
	v_sub_f32_e32 v13, v13, v28
	v_cvt_i32_f32_e32 v28, v28
	v_exp_f32_e32 v11, v11
	v_cndmask_b32_e32 v0, 0x7f800000, v5, vcc_lo
	v_cmp_nlt_f32_e32 vcc_lo, 0x42b17218, v4
	v_dual_sub_f32 v15, v15, v32 :: v_dual_cndmask_b32 v4, 0x7f800000, v9
	v_cmp_ngt_f32_e32 vcc_lo, 0xc2ce8ed0, v1
	s_delay_alu instid0(VALU_DEP_2) | instskip(SKIP_4) | instid1(VALU_DEP_2)
	v_add_f32_e32 v15, v15, v31
	s_waitcnt_depctr 0xfff
	v_ldexp_f32 v11, v11, v24
	v_add_f32_e32 v9, v0, v4
	v_exp_f32_e32 v15, v15
	v_cndmask_b32_e32 v5, 0, v11, vcc_lo
	v_cmp_nlt_f32_e32 vcc_lo, 0x42b17218, v7
	v_cndmask_b32_e32 v7, 0x7f800000, v10, vcc_lo
	v_cmp_ngt_f32_e32 vcc_lo, 0xc2ce8ed0, v6
	v_fmac_f32_e32 v27, 0x32a5705f, v2
	s_waitcnt_depctr 0xfff
	v_ldexp_f32 v15, v15, v19
	v_dual_cndmask_b32 v10, 0, v12 :: v_dual_add_f32 v13, v13, v27
	v_cmp_nlt_f32_e32 vcc_lo, 0x42b17218, v1
	s_delay_alu instid0(VALU_DEP_2) | instskip(SKIP_3) | instid1(VALU_DEP_1)
	v_exp_f32_e32 v13, v13
	v_cndmask_b32_e32 v1, 0x7f800000, v5, vcc_lo
	v_cmp_ngt_f32_e32 vcc_lo, 0xc2ce8ed0, v2
	v_add_f32_e32 v5, v9, v7
	v_add_f32_e32 v5, v5, v1
	s_waitcnt_depctr 0xfff
	v_ldexp_f32 v13, v13, v28
	s_delay_alu instid0(VALU_DEP_1) | instskip(SKIP_3) | instid1(VALU_DEP_2)
	v_cndmask_b32_e32 v9, 0, v13, vcc_lo
	v_cmp_nlt_f32_e32 vcc_lo, 0x42b17218, v6
	v_cndmask_b32_e32 v6, 0x7f800000, v10, vcc_lo
	v_cmp_ngt_f32_e32 vcc_lo, 0xc2ce8ed0, v8
	v_add_f32_e32 v5, v5, v6
	v_cndmask_b32_e32 v10, 0, v14, vcc_lo
	v_cmp_nlt_f32_e32 vcc_lo, 0x42b17218, v2
	v_cndmask_b32_e32 v2, 0x7f800000, v9, vcc_lo
	v_cmp_ngt_f32_e32 vcc_lo, 0xc2ce8ed0, v3
	s_delay_alu instid0(VALU_DEP_2) | instskip(SKIP_4) | instid1(VALU_DEP_2)
	v_add_f32_e32 v5, v5, v2
	v_cndmask_b32_e32 v9, 0, v15, vcc_lo
	v_cmp_nlt_f32_e32 vcc_lo, 0x42b17218, v8
	v_cndmask_b32_e32 v8, 0x7f800000, v10, vcc_lo
	v_cmp_nlt_f32_e32 vcc_lo, 0x42b17218, v3
	v_add_f32_e32 v5, v5, v8
	v_cndmask_b32_e32 v3, 0x7f800000, v9, vcc_lo
	s_delay_alu instid0(VALU_DEP_1) | instskip(NEXT) | instid1(VALU_DEP_1)
	v_add_f32_e32 v5, v5, v3
	v_div_scale_f32 v9, null, v5, v5, 1.0
	v_div_scale_f32 v12, vcc_lo, 1.0, v5, 1.0
	s_delay_alu instid0(VALU_DEP_2) | instskip(SKIP_2) | instid1(VALU_DEP_1)
	v_rcp_f32_e32 v10, v9
	s_waitcnt_depctr 0xfff
	v_fma_f32 v11, -v9, v10, 1.0
	v_fmac_f32_e32 v10, v11, v10
	s_delay_alu instid0(VALU_DEP_1) | instskip(NEXT) | instid1(VALU_DEP_1)
	v_mul_f32_e32 v11, v12, v10
	v_fma_f32 v13, -v9, v11, v12
	s_delay_alu instid0(VALU_DEP_1) | instskip(NEXT) | instid1(VALU_DEP_1)
	v_fmac_f32_e32 v11, v13, v10
	v_fma_f32 v9, -v9, v11, v12
	s_delay_alu instid0(VALU_DEP_1) | instskip(NEXT) | instid1(VALU_DEP_1)
	v_div_fmas_f32 v9, v9, v10, v11
	v_div_fixup_f32 v5, v9, v5, 1.0
	s_delay_alu instid0(VALU_DEP_1)
	v_mul_f32_e32 v0, v5, v0
	v_mul_f32_e32 v4, v5, v4
	;; [unrolled: 1-line block ×5, first 2 shown]
	v_cmp_class_f32_e64 vcc_lo, v0, 0x1f8
	v_mul_f32_e32 v9, v5, v1
	v_mul_f32_e32 v6, v5, v6
	v_dual_mul_f32 v11, v5, v3 :: v_dual_cndmask_b32 v0, 0, v0
	v_cmp_class_f32_e64 vcc_lo, v4, 0x1f8
	v_cndmask_b32_e32 v1, 0, v4, vcc_lo
	v_cmp_class_f32_e64 vcc_lo, v7, 0x1f8
	v_cndmask_b32_e32 v2, 0, v7, vcc_lo
	;; [unrolled: 2-line block ×7, first 2 shown]
	s_cbranch_scc1 .LBB133_10
; %bb.4:
	s_load_b256 s[4:11], s[2:3], 0x0
	s_waitcnt lgkmcnt(0)
	v_dual_add_f32 v8, s4, v0 :: v_dual_add_f32 v9, s5, v1
	v_dual_add_f32 v10, s6, v2 :: v_dual_add_f32 v11, s7, v3
	;; [unrolled: 1-line block ×4, first 2 shown]
	s_cbranch_execnz .LBB133_6
.LBB133_5:
	v_dual_mov_b32 v15, v7 :: v_dual_mov_b32 v14, v6
	v_dual_mov_b32 v13, v5 :: v_dual_mov_b32 v12, v4
	;; [unrolled: 1-line block ×4, first 2 shown]
.LBB133_6:
	s_load_b128 s[4:7], s[0:1], 0x30
	s_waitcnt lgkmcnt(0)
	s_bitcmp1_b32 s7, 0
	s_mov_b32 s7, 0
	s_cselect_b32 vcc_lo, -1, 0
	s_cmp_gt_i32 s4, 0
	s_cselect_b32 s3, -1, 0
	s_cmp_lt_i32 s4, 1
	s_cbranch_scc1 .LBB133_11
; %bb.7:
	s_load_b128 s[8:11], s[0:1], 0x20
	v_mul_lo_u32 v18, v16, s4
	v_mov_b32_e32 v17, 0
	v_mov_b32_e32 v19, v16
.LBB133_8:                              ; =>This Inner Loop Header: Depth=1
	s_delay_alu instid0(VALU_DEP_1) | instskip(NEXT) | instid1(VALU_DEP_1)
	v_cmp_gt_f32_e64 s0, v9, v8
	v_cndmask_b32_e64 v20, v8, v9, s0
	v_cndmask_b32_e64 v21, v0, v1, s0
	;; [unrolled: 1-line block ×3, first 2 shown]
	s_delay_alu instid0(VALU_DEP_3) | instskip(NEXT) | instid1(VALU_DEP_1)
	v_cmp_gt_f32_e64 s1, v10, v20
	v_cndmask_b32_e64 v20, v20, v10, s1
	s_delay_alu instid0(VALU_DEP_4) | instskip(NEXT) | instid1(VALU_DEP_4)
	v_cndmask_b32_e64 v21, v21, v2, s1
	v_cndmask_b32_e64 v22, v22, 2, s1
	s_delay_alu instid0(VALU_DEP_3) | instskip(NEXT) | instid1(VALU_DEP_1)
	v_cmp_gt_f32_e64 s0, v11, v20
	v_cndmask_b32_e64 v20, v20, v11, s0
	s_delay_alu instid0(VALU_DEP_4) | instskip(NEXT) | instid1(VALU_DEP_4)
	v_cndmask_b32_e64 v21, v21, v3, s0
	v_cndmask_b32_e64 v22, v22, 3, s0
	;; [unrolled: 6-line block ×5, first 2 shown]
	s_delay_alu instid0(VALU_DEP_3) | instskip(NEXT) | instid1(VALU_DEP_1)
	v_cmp_gt_f32_e64 s0, v15, v23
	v_cndmask_b32_e64 v26, v24, v7, s0
	s_delay_alu instid0(VALU_DEP_3) | instskip(NEXT) | instid1(VALU_DEP_2)
	v_cndmask_b32_e64 v27, v22, 7, s0
	v_add_f32_e32 v29, v17, v26
	v_add_nc_u32_e32 v20, s7, v18
	s_delay_alu instid0(VALU_DEP_3) | instskip(SKIP_4) | instid1(VALU_DEP_1)
	v_cmp_gt_i32_e64 s1, s6, v27
	v_subrev_nc_u32_e32 v28, s5, v27
	s_add_i32 s7, s7, 1
	v_cndmask_b32_e32 v17, v17, v29, vcc_lo
	v_ashrrev_i32_e32 v21, 31, v20
	v_lshlrev_b64 v[20:21], 2, v[20:21]
	s_waitcnt lgkmcnt(0)
	s_delay_alu instid0(VALU_DEP_1) | instskip(NEXT) | instid1(VALU_DEP_1)
	v_add_co_u32 v22, s0, s8, v20
	v_add_co_ci_u32_e64 v23, s0, s9, v21, s0
	v_cmp_le_i32_e64 s0, s5, v27
	v_add_co_u32 v24, s2, s10, v20
	s_delay_alu instid0(VALU_DEP_1) | instskip(NEXT) | instid1(VALU_DEP_3)
	v_add_co_ci_u32_e64 v25, s2, s11, v21, s2
	s_and_b32 s0, s0, s1
	s_delay_alu instid0(SALU_CYCLE_1) | instskip(SKIP_3) | instid1(VALU_DEP_1)
	s_and_b32 s0, s15, s0
	s_cmp_lt_i32 s7, s4
	v_cndmask_b32_e64 v28, 8, v28, s0
	v_add_co_u32 v20, s0, s12, v20
	v_add_co_ci_u32_e64 v21, s0, s13, v21, s0
	v_cmp_ne_u32_e64 s0, 0, v27
	global_store_b32 v[22:23], v28, off
	global_store_b32 v[24:25], v19, off
	v_add_nc_u32_e32 v19, s14, v19
	global_store_b32 v[20:21], v26, off
	v_cndmask_b32_e64 v22, 0xc61c4000, v8, s0
	v_cmp_ne_u32_e64 s0, 1, v27
	s_delay_alu instid0(VALU_DEP_1) | instskip(SKIP_1) | instid1(VALU_DEP_1)
	v_cndmask_b32_e64 v23, 0xc61c4000, v9, s0
	v_cmp_ne_u32_e64 s0, 2, v27
	v_cndmask_b32_e64 v24, 0xc61c4000, v10, s0
	v_cmp_ne_u32_e64 s0, 3, v27
	s_delay_alu instid0(VALU_DEP_1) | instskip(SKIP_1) | instid1(VALU_DEP_1)
	v_cndmask_b32_e64 v25, 0xc61c4000, v11, s0
	v_cmp_ne_u32_e64 s0, 5, v27
	;; [unrolled: 5-line block ×3, first 2 shown]
	v_cndmask_b32_e64 v30, 0xc61c4000, v14, s0
	v_cmp_ne_u32_e64 s0, 4, v27
	s_delay_alu instid0(VALU_DEP_1)
	v_cndmask_b32_e64 v27, 0xc61c4000, v12, s0
	s_cselect_b32 s0, -1, 0
	s_cmp_eq_u32 s4, s7
	v_cndmask_b32_e64 v15, v15, v29, s0
	v_cndmask_b32_e64 v14, v14, v30, s0
	;; [unrolled: 1-line block ×8, first 2 shown]
	s_cbranch_scc0 .LBB133_8
; %bb.9:
	s_and_b32 vcc_lo, exec_lo, vcc_lo
	s_cbranch_vccnz .LBB133_12
	s_branch .LBB133_15
.LBB133_10:
                                        ; implicit-def: $vgpr8_vgpr9_vgpr10_vgpr11_vgpr12_vgpr13_vgpr14_vgpr15
	s_and_not1_b32 vcc_lo, exec_lo, s8
	s_cbranch_vccz .LBB133_5
	s_branch .LBB133_6
.LBB133_11:
	v_mov_b32_e32 v17, 0
	s_and_b32 vcc_lo, exec_lo, vcc_lo
	s_cbranch_vccz .LBB133_15
.LBB133_12:
	s_and_not1_b32 vcc_lo, exec_lo, s3
	s_cbranch_vccnz .LBB133_15
; %bb.13:
	v_mul_lo_u32 v0, v16, s4
	v_cmp_lt_f32_e32 vcc_lo, 0, v17
	v_cndmask_b32_e32 v2, 1.0, v17, vcc_lo
	s_delay_alu instid0(VALU_DEP_3) | instskip(NEXT) | instid1(VALU_DEP_1)
	v_ashrrev_i32_e32 v1, 31, v0
	v_lshlrev_b64 v[0:1], 2, v[0:1]
	s_delay_alu instid0(VALU_DEP_1) | instskip(NEXT) | instid1(VALU_DEP_2)
	v_add_co_u32 v0, vcc_lo, s12, v0
	v_add_co_ci_u32_e32 v1, vcc_lo, s13, v1, vcc_lo
	.p2align	6
.LBB133_14:                             ; =>This Inner Loop Header: Depth=1
	global_load_b32 v3, v[0:1], off
	s_add_i32 s4, s4, -1
	s_delay_alu instid0(SALU_CYCLE_1) | instskip(SKIP_3) | instid1(VALU_DEP_2)
	s_cmp_lg_u32 s4, 0
	s_waitcnt vmcnt(0)
	v_div_scale_f32 v4, null, v2, v2, v3
	v_div_scale_f32 v7, vcc_lo, v3, v2, v3
	v_rcp_f32_e32 v5, v4
	s_waitcnt_depctr 0xfff
	v_fma_f32 v6, -v4, v5, 1.0
	s_delay_alu instid0(VALU_DEP_1) | instskip(NEXT) | instid1(VALU_DEP_1)
	v_fmac_f32_e32 v5, v6, v5
	v_mul_f32_e32 v6, v7, v5
	s_delay_alu instid0(VALU_DEP_1) | instskip(NEXT) | instid1(VALU_DEP_1)
	v_fma_f32 v8, -v4, v6, v7
	v_fmac_f32_e32 v6, v8, v5
	s_delay_alu instid0(VALU_DEP_1) | instskip(NEXT) | instid1(VALU_DEP_1)
	v_fma_f32 v4, -v4, v6, v7
	v_div_fmas_f32 v4, v4, v5, v6
	s_delay_alu instid0(VALU_DEP_1)
	v_div_fixup_f32 v3, v4, v2, v3
	global_store_b32 v[0:1], v3, off
	v_add_co_u32 v0, vcc_lo, v0, 4
	v_add_co_ci_u32_e32 v1, vcc_lo, 0, v1, vcc_lo
	s_cbranch_scc1 .LBB133_14
.LBB133_15:
	s_nop 0
	s_sendmsg sendmsg(MSG_DEALLOC_VGPRS)
	s_endpgm
	.section	.rodata,"a",@progbits
	.p2align	6, 0x0
	.amdhsa_kernel _ZN4vllm3moe10topkGatingILi8ELi8ELi4ELi16ELi64Ei14__hip_bfloat16LNS0_11ScoringFuncE0EEEvPKT5_PKbPfiPT4_PiiiibPKf
		.amdhsa_group_segment_fixed_size 0
		.amdhsa_private_segment_fixed_size 0
		.amdhsa_kernarg_size 72
		.amdhsa_user_sgpr_count 15
		.amdhsa_user_sgpr_dispatch_ptr 0
		.amdhsa_user_sgpr_queue_ptr 0
		.amdhsa_user_sgpr_kernarg_segment_ptr 1
		.amdhsa_user_sgpr_dispatch_id 0
		.amdhsa_user_sgpr_private_segment_size 0
		.amdhsa_wavefront_size32 1
		.amdhsa_uses_dynamic_stack 0
		.amdhsa_enable_private_segment 0
		.amdhsa_system_sgpr_workgroup_id_x 1
		.amdhsa_system_sgpr_workgroup_id_y 0
		.amdhsa_system_sgpr_workgroup_id_z 0
		.amdhsa_system_sgpr_workgroup_info 0
		.amdhsa_system_vgpr_workitem_id 1
		.amdhsa_next_free_vgpr 33
		.amdhsa_next_free_sgpr 16
		.amdhsa_reserve_vcc 1
		.amdhsa_float_round_mode_32 0
		.amdhsa_float_round_mode_16_64 0
		.amdhsa_float_denorm_mode_32 3
		.amdhsa_float_denorm_mode_16_64 3
		.amdhsa_dx10_clamp 1
		.amdhsa_ieee_mode 1
		.amdhsa_fp16_overflow 0
		.amdhsa_workgroup_processor_mode 1
		.amdhsa_memory_ordered 1
		.amdhsa_forward_progress 0
		.amdhsa_shared_vgpr_count 0
		.amdhsa_exception_fp_ieee_invalid_op 0
		.amdhsa_exception_fp_denorm_src 0
		.amdhsa_exception_fp_ieee_div_zero 0
		.amdhsa_exception_fp_ieee_overflow 0
		.amdhsa_exception_fp_ieee_underflow 0
		.amdhsa_exception_fp_ieee_inexact 0
		.amdhsa_exception_int_div_zero 0
	.end_amdhsa_kernel
	.section	.text._ZN4vllm3moe10topkGatingILi8ELi8ELi4ELi16ELi64Ei14__hip_bfloat16LNS0_11ScoringFuncE0EEEvPKT5_PKbPfiPT4_PiiiibPKf,"axG",@progbits,_ZN4vllm3moe10topkGatingILi8ELi8ELi4ELi16ELi64Ei14__hip_bfloat16LNS0_11ScoringFuncE0EEEvPKT5_PKbPfiPT4_PiiiibPKf,comdat
.Lfunc_end133:
	.size	_ZN4vllm3moe10topkGatingILi8ELi8ELi4ELi16ELi64Ei14__hip_bfloat16LNS0_11ScoringFuncE0EEEvPKT5_PKbPfiPT4_PiiiibPKf, .Lfunc_end133-_ZN4vllm3moe10topkGatingILi8ELi8ELi4ELi16ELi64Ei14__hip_bfloat16LNS0_11ScoringFuncE0EEEvPKT5_PKbPfiPT4_PiiiibPKf
                                        ; -- End function
	.section	.AMDGPU.csdata,"",@progbits
; Kernel info:
; codeLenInByte = 2464
; NumSgprs: 18
; NumVgprs: 33
; ScratchSize: 0
; MemoryBound: 0
; FloatMode: 240
; IeeeMode: 1
; LDSByteSize: 0 bytes/workgroup (compile time only)
; SGPRBlocks: 2
; VGPRBlocks: 4
; NumSGPRsForWavesPerEU: 18
; NumVGPRsForWavesPerEU: 33
; Occupancy: 16
; WaveLimiterHint : 0
; COMPUTE_PGM_RSRC2:SCRATCH_EN: 0
; COMPUTE_PGM_RSRC2:USER_SGPR: 15
; COMPUTE_PGM_RSRC2:TRAP_HANDLER: 0
; COMPUTE_PGM_RSRC2:TGID_X_EN: 1
; COMPUTE_PGM_RSRC2:TGID_Y_EN: 0
; COMPUTE_PGM_RSRC2:TGID_Z_EN: 0
; COMPUTE_PGM_RSRC2:TIDIG_COMP_CNT: 1
	.section	.text._ZN4vllm3moe10topkGatingILi8ELi8ELi4ELi16ELi32Ei14__hip_bfloat16LNS0_11ScoringFuncE0EEEvPKT5_PKbPfiPT4_PiiiibPKf,"axG",@progbits,_ZN4vllm3moe10topkGatingILi8ELi8ELi4ELi16ELi32Ei14__hip_bfloat16LNS0_11ScoringFuncE0EEEvPKT5_PKbPfiPT4_PiiiibPKf,comdat
	.protected	_ZN4vllm3moe10topkGatingILi8ELi8ELi4ELi16ELi32Ei14__hip_bfloat16LNS0_11ScoringFuncE0EEEvPKT5_PKbPfiPT4_PiiiibPKf ; -- Begin function _ZN4vllm3moe10topkGatingILi8ELi8ELi4ELi16ELi32Ei14__hip_bfloat16LNS0_11ScoringFuncE0EEEvPKT5_PKbPfiPT4_PiiiibPKf
	.globl	_ZN4vllm3moe10topkGatingILi8ELi8ELi4ELi16ELi32Ei14__hip_bfloat16LNS0_11ScoringFuncE0EEEvPKT5_PKbPfiPT4_PiiiibPKf
	.p2align	8
	.type	_ZN4vllm3moe10topkGatingILi8ELi8ELi4ELi16ELi32Ei14__hip_bfloat16LNS0_11ScoringFuncE0EEEvPKT5_PKbPfiPT4_PiiiibPKf,@function
_ZN4vllm3moe10topkGatingILi8ELi8ELi4ELi16ELi32Ei14__hip_bfloat16LNS0_11ScoringFuncE0EEEvPKT5_PKbPfiPT4_PiiiibPKf: ; @_ZN4vllm3moe10topkGatingILi8ELi8ELi4ELi16ELi32Ei14__hip_bfloat16LNS0_11ScoringFuncE0EEEvPKT5_PKbPfiPT4_PiiiibPKf
; %bb.0:
	s_load_b32 s14, s[0:1], 0x18
	v_bfe_u32 v1, v0, 10, 10
	v_and_b32_e32 v0, 0x3ff, v0
	s_lshl_b32 s2, s15, 7
	s_delay_alu instid0(VALU_DEP_2) | instskip(NEXT) | instid1(VALU_DEP_1)
	v_lshlrev_b32_e32 v1, 5, v1
	v_add3_u32 v16, v1, v0, s2
	s_mov_b32 s2, exec_lo
	s_waitcnt lgkmcnt(0)
	s_delay_alu instid0(VALU_DEP_1)
	v_cmpx_gt_i32_e64 s14, v16
	s_cbranch_execz .LBB134_15
; %bb.1:
	s_clause 0x1
	s_load_b128 s[4:7], s[0:1], 0x0
	s_load_b64 s[12:13], s[0:1], 0x10
	s_mov_b32 s8, -1
	s_mov_b32 s15, -1
	s_waitcnt lgkmcnt(0)
	s_cmp_eq_u64 s[6:7], 0
	s_cbranch_scc1 .LBB134_3
; %bb.2:
	v_ashrrev_i32_e32 v1, 31, v16
	v_add_co_u32 v0, vcc_lo, s6, v16
	s_delay_alu instid0(VALU_DEP_2) | instskip(SKIP_3) | instid1(VALU_DEP_1)
	v_add_co_ci_u32_e32 v1, vcc_lo, s7, v1, vcc_lo
	global_load_u8 v0, v[0:1], off
	s_waitcnt vmcnt(0)
	v_and_b32_e32 v0, 1, v0
	v_cmp_eq_u32_e32 vcc_lo, 1, v0
	s_xor_b32 s2, vcc_lo, -1
	s_delay_alu instid0(SALU_CYCLE_1)
	s_or_not1_b32 s15, s2, exec_lo
.LBB134_3:
	v_lshlrev_b32_e32 v0, 3, v16
	s_load_b64 s[2:3], s[0:1], 0x40
	s_delay_alu instid0(VALU_DEP_1) | instskip(NEXT) | instid1(VALU_DEP_1)
	v_ashrrev_i32_e32 v1, 31, v0
	v_lshlrev_b64 v[0:1], 1, v[0:1]
	s_delay_alu instid0(VALU_DEP_1) | instskip(NEXT) | instid1(VALU_DEP_2)
	v_add_co_u32 v0, vcc_lo, s4, v0
	v_add_co_ci_u32_e32 v1, vcc_lo, s5, v1, vcc_lo
	s_waitcnt lgkmcnt(0)
	s_cmp_eq_u64 s[2:3], 0
	global_load_b128 v[0:3], v[0:1], off
	s_waitcnt vmcnt(0)
	v_lshlrev_b32_e32 v7, 16, v1
	v_and_b32_e32 v4, 0xffff0000, v0
	v_and_b32_e32 v1, 0xffff0000, v1
	v_lshlrev_b32_e32 v0, 16, v0
	v_lshlrev_b32_e32 v8, 16, v3
	v_and_b32_e32 v3, 0xffff0000, v3
	v_max_f32_e32 v5, v4, v4
	s_delay_alu instid0(VALU_DEP_4) | instskip(NEXT) | instid1(VALU_DEP_1)
	v_max_f32_e32 v6, v0, v0
	v_dual_max_f32 v5, v6, v5 :: v_dual_lshlrev_b32 v6, 16, v2
	v_and_b32_e32 v2, 0xffff0000, v2
	s_delay_alu instid0(VALU_DEP_2) | instskip(NEXT) | instid1(VALU_DEP_1)
	v_max3_f32 v5, v5, v7, v1
	v_max3_f32 v5, v5, v6, v2
	s_delay_alu instid0(VALU_DEP_1) | instskip(NEXT) | instid1(VALU_DEP_1)
	v_max3_f32 v5, v5, v8, v3
	v_sub_f32_e32 v3, v3, v5
	v_sub_f32_e32 v6, v6, v5
	;; [unrolled: 1-line block ×3, first 2 shown]
	s_delay_alu instid0(VALU_DEP_3) | instskip(NEXT) | instid1(VALU_DEP_3)
	v_dual_sub_f32 v8, v8, v5 :: v_dual_mul_f32 v15, 0x3fb8aa3b, v3
	v_dual_mul_f32 v12, 0x3fb8aa3b, v6 :: v_dual_sub_f32 v7, v7, v5
	s_delay_alu instid0(VALU_DEP_3) | instskip(NEXT) | instid1(VALU_DEP_3)
	v_dual_sub_f32 v4, v4, v5 :: v_dual_mul_f32 v13, 0x3fb8aa3b, v2
	v_rndne_f32_e32 v32, v15
	s_delay_alu instid0(VALU_DEP_3) | instskip(NEXT) | instid1(VALU_DEP_4)
	v_fma_f32 v25, 0x3fb8aa3b, v6, -v12
	v_mul_f32_e32 v10, 0x3fb8aa3b, v7
	v_rndne_f32_e32 v26, v12
	v_rndne_f32_e32 v28, v13
	v_fma_f32 v31, 0x3fb8aa3b, v3, -v15
	v_mul_f32_e32 v9, 0x3fb8aa3b, v4
	v_rndne_f32_e32 v22, v10
	v_fma_f32 v21, 0x3fb8aa3b, v7, -v10
	v_sub_f32_e32 v12, v12, v26
	v_cvt_i32_f32_e32 v26, v26
	v_fma_f32 v19, 0x3fb8aa3b, v4, -v9
	v_dual_sub_f32 v10, v10, v22 :: v_dual_sub_f32 v1, v1, v5
	v_sub_f32_e32 v0, v0, v5
	v_rndne_f32_e32 v20, v9
	s_delay_alu instid0(VALU_DEP_4)
	v_fmac_f32_e32 v19, 0x32a5705f, v4
	v_cvt_i32_f32_e32 v22, v22
	v_mul_f32_e32 v11, 0x3fb8aa3b, v1
	v_mul_f32_e32 v5, 0x3fb8aa3b, v0
	v_cmp_ngt_f32_e32 vcc_lo, 0xc2ce8ed0, v0
	v_fmac_f32_e32 v31, 0x32a5705f, v3
	s_delay_alu instid0(VALU_DEP_4) | instskip(NEXT) | instid1(VALU_DEP_4)
	v_rndne_f32_e32 v24, v11
	v_fma_f32 v17, 0x3fb8aa3b, v0, -v5
	v_rndne_f32_e32 v18, v5
	v_fma_f32 v23, 0x3fb8aa3b, v1, -v11
	s_delay_alu instid0(VALU_DEP_3) | instskip(NEXT) | instid1(VALU_DEP_3)
	v_fmac_f32_e32 v17, 0x32a5705f, v0
	v_dual_sub_f32 v5, v5, v18 :: v_dual_mul_f32 v14, 0x3fb8aa3b, v8
	v_cvt_i32_f32_e32 v18, v18
	v_fma_f32 v27, 0x3fb8aa3b, v2, -v13
	s_delay_alu instid0(VALU_DEP_3) | instskip(NEXT) | instid1(VALU_DEP_4)
	v_add_f32_e32 v5, v5, v17
	v_fma_f32 v29, 0x3fb8aa3b, v8, -v14
	v_rndne_f32_e32 v30, v14
	v_sub_f32_e32 v9, v9, v20
	v_cvt_i32_f32_e32 v20, v20
	v_exp_f32_e32 v5, v5
	s_delay_alu instid0(VALU_DEP_3)
	v_dual_fmac_f32 v29, 0x32a5705f, v8 :: v_dual_sub_f32 v14, v14, v30
	v_fmac_f32_e32 v25, 0x32a5705f, v6
	v_add_f32_e32 v9, v9, v19
	v_cvt_i32_f32_e32 v17, v30
	v_cvt_i32_f32_e32 v19, v32
	v_dual_add_f32 v14, v14, v29 :: v_dual_fmac_f32 v21, 0x32a5705f, v7
	v_dual_add_f32 v12, v12, v25 :: v_dual_sub_f32 v11, v11, v24
	v_exp_f32_e32 v9, v9
	s_delay_alu instid0(TRANS32_DEP_2) | instskip(NEXT) | instid1(VALU_DEP_3)
	v_ldexp_f32 v5, v5, v18
	v_add_f32_e32 v10, v10, v21
	v_cvt_i32_f32_e32 v24, v24
	v_exp_f32_e32 v12, v12
	v_exp_f32_e32 v14, v14
	v_cndmask_b32_e32 v5, 0, v5, vcc_lo
	v_exp_f32_e32 v10, v10
	v_cmp_ngt_f32_e32 vcc_lo, 0xc2ce8ed0, v4
	v_ldexp_f32 v9, v9, v20
	s_delay_alu instid0(TRANS32_DEP_3) | instskip(NEXT) | instid1(VALU_DEP_2)
	v_ldexp_f32 v12, v12, v26
	v_cndmask_b32_e32 v9, 0, v9, vcc_lo
	v_cmp_ngt_f32_e32 vcc_lo, 0xc2ce8ed0, v7
	s_waitcnt_depctr 0xfff
	v_ldexp_f32 v10, v10, v22
	v_fmac_f32_e32 v23, 0x32a5705f, v1
	v_ldexp_f32 v14, v14, v17
	s_delay_alu instid0(VALU_DEP_2) | instskip(SKIP_3) | instid1(VALU_DEP_4)
	v_dual_cndmask_b32 v10, 0, v10 :: v_dual_add_f32 v11, v11, v23
	v_cmp_nlt_f32_e32 vcc_lo, 0x42b17218, v0
	v_sub_f32_e32 v13, v13, v28
	v_cvt_i32_f32_e32 v28, v28
	v_exp_f32_e32 v11, v11
	v_cndmask_b32_e32 v0, 0x7f800000, v5, vcc_lo
	v_cmp_nlt_f32_e32 vcc_lo, 0x42b17218, v4
	v_dual_sub_f32 v15, v15, v32 :: v_dual_cndmask_b32 v4, 0x7f800000, v9
	v_cmp_ngt_f32_e32 vcc_lo, 0xc2ce8ed0, v1
	s_delay_alu instid0(VALU_DEP_2) | instskip(SKIP_4) | instid1(VALU_DEP_2)
	v_add_f32_e32 v15, v15, v31
	s_waitcnt_depctr 0xfff
	v_ldexp_f32 v11, v11, v24
	v_add_f32_e32 v9, v0, v4
	v_exp_f32_e32 v15, v15
	v_cndmask_b32_e32 v5, 0, v11, vcc_lo
	v_cmp_nlt_f32_e32 vcc_lo, 0x42b17218, v7
	v_cndmask_b32_e32 v7, 0x7f800000, v10, vcc_lo
	v_cmp_ngt_f32_e32 vcc_lo, 0xc2ce8ed0, v6
	v_fmac_f32_e32 v27, 0x32a5705f, v2
	s_waitcnt_depctr 0xfff
	v_ldexp_f32 v15, v15, v19
	v_dual_cndmask_b32 v10, 0, v12 :: v_dual_add_f32 v13, v13, v27
	v_cmp_nlt_f32_e32 vcc_lo, 0x42b17218, v1
	s_delay_alu instid0(VALU_DEP_2) | instskip(SKIP_3) | instid1(VALU_DEP_1)
	v_exp_f32_e32 v13, v13
	v_cndmask_b32_e32 v1, 0x7f800000, v5, vcc_lo
	v_cmp_ngt_f32_e32 vcc_lo, 0xc2ce8ed0, v2
	v_add_f32_e32 v5, v9, v7
	v_add_f32_e32 v5, v5, v1
	s_waitcnt_depctr 0xfff
	v_ldexp_f32 v13, v13, v28
	s_delay_alu instid0(VALU_DEP_1) | instskip(SKIP_3) | instid1(VALU_DEP_2)
	v_cndmask_b32_e32 v9, 0, v13, vcc_lo
	v_cmp_nlt_f32_e32 vcc_lo, 0x42b17218, v6
	v_cndmask_b32_e32 v6, 0x7f800000, v10, vcc_lo
	v_cmp_ngt_f32_e32 vcc_lo, 0xc2ce8ed0, v8
	v_add_f32_e32 v5, v5, v6
	v_cndmask_b32_e32 v10, 0, v14, vcc_lo
	v_cmp_nlt_f32_e32 vcc_lo, 0x42b17218, v2
	v_cndmask_b32_e32 v2, 0x7f800000, v9, vcc_lo
	v_cmp_ngt_f32_e32 vcc_lo, 0xc2ce8ed0, v3
	s_delay_alu instid0(VALU_DEP_2) | instskip(SKIP_4) | instid1(VALU_DEP_2)
	v_add_f32_e32 v5, v5, v2
	v_cndmask_b32_e32 v9, 0, v15, vcc_lo
	v_cmp_nlt_f32_e32 vcc_lo, 0x42b17218, v8
	v_cndmask_b32_e32 v8, 0x7f800000, v10, vcc_lo
	v_cmp_nlt_f32_e32 vcc_lo, 0x42b17218, v3
	v_add_f32_e32 v5, v5, v8
	v_cndmask_b32_e32 v3, 0x7f800000, v9, vcc_lo
	s_delay_alu instid0(VALU_DEP_1) | instskip(NEXT) | instid1(VALU_DEP_1)
	v_add_f32_e32 v5, v5, v3
	v_div_scale_f32 v9, null, v5, v5, 1.0
	v_div_scale_f32 v12, vcc_lo, 1.0, v5, 1.0
	s_delay_alu instid0(VALU_DEP_2) | instskip(SKIP_2) | instid1(VALU_DEP_1)
	v_rcp_f32_e32 v10, v9
	s_waitcnt_depctr 0xfff
	v_fma_f32 v11, -v9, v10, 1.0
	v_fmac_f32_e32 v10, v11, v10
	s_delay_alu instid0(VALU_DEP_1) | instskip(NEXT) | instid1(VALU_DEP_1)
	v_mul_f32_e32 v11, v12, v10
	v_fma_f32 v13, -v9, v11, v12
	s_delay_alu instid0(VALU_DEP_1) | instskip(NEXT) | instid1(VALU_DEP_1)
	v_fmac_f32_e32 v11, v13, v10
	v_fma_f32 v9, -v9, v11, v12
	s_delay_alu instid0(VALU_DEP_1) | instskip(NEXT) | instid1(VALU_DEP_1)
	v_div_fmas_f32 v9, v9, v10, v11
	v_div_fixup_f32 v5, v9, v5, 1.0
	s_delay_alu instid0(VALU_DEP_1)
	v_mul_f32_e32 v0, v5, v0
	v_mul_f32_e32 v4, v5, v4
	;; [unrolled: 1-line block ×5, first 2 shown]
	v_cmp_class_f32_e64 vcc_lo, v0, 0x1f8
	v_mul_f32_e32 v9, v5, v1
	v_mul_f32_e32 v6, v5, v6
	v_dual_mul_f32 v11, v5, v3 :: v_dual_cndmask_b32 v0, 0, v0
	v_cmp_class_f32_e64 vcc_lo, v4, 0x1f8
	v_cndmask_b32_e32 v1, 0, v4, vcc_lo
	v_cmp_class_f32_e64 vcc_lo, v7, 0x1f8
	v_cndmask_b32_e32 v2, 0, v7, vcc_lo
	;; [unrolled: 2-line block ×7, first 2 shown]
	s_cbranch_scc1 .LBB134_10
; %bb.4:
	s_load_b256 s[4:11], s[2:3], 0x0
	s_waitcnt lgkmcnt(0)
	v_dual_add_f32 v8, s4, v0 :: v_dual_add_f32 v9, s5, v1
	v_dual_add_f32 v10, s6, v2 :: v_dual_add_f32 v11, s7, v3
	;; [unrolled: 1-line block ×4, first 2 shown]
	s_cbranch_execnz .LBB134_6
.LBB134_5:
	v_dual_mov_b32 v15, v7 :: v_dual_mov_b32 v14, v6
	v_dual_mov_b32 v13, v5 :: v_dual_mov_b32 v12, v4
	;; [unrolled: 1-line block ×4, first 2 shown]
.LBB134_6:
	s_load_b128 s[4:7], s[0:1], 0x30
	s_waitcnt lgkmcnt(0)
	s_bitcmp1_b32 s7, 0
	s_mov_b32 s7, 0
	s_cselect_b32 vcc_lo, -1, 0
	s_cmp_gt_i32 s4, 0
	s_cselect_b32 s3, -1, 0
	s_cmp_lt_i32 s4, 1
	s_cbranch_scc1 .LBB134_11
; %bb.7:
	s_load_b128 s[8:11], s[0:1], 0x20
	v_mul_lo_u32 v18, v16, s4
	v_mov_b32_e32 v17, 0
	v_mov_b32_e32 v19, v16
.LBB134_8:                              ; =>This Inner Loop Header: Depth=1
	s_delay_alu instid0(VALU_DEP_1) | instskip(NEXT) | instid1(VALU_DEP_1)
	v_cmp_gt_f32_e64 s0, v9, v8
	v_cndmask_b32_e64 v20, v8, v9, s0
	v_cndmask_b32_e64 v21, v0, v1, s0
	;; [unrolled: 1-line block ×3, first 2 shown]
	s_delay_alu instid0(VALU_DEP_3) | instskip(NEXT) | instid1(VALU_DEP_1)
	v_cmp_gt_f32_e64 s1, v10, v20
	v_cndmask_b32_e64 v20, v20, v10, s1
	s_delay_alu instid0(VALU_DEP_4) | instskip(NEXT) | instid1(VALU_DEP_4)
	v_cndmask_b32_e64 v21, v21, v2, s1
	v_cndmask_b32_e64 v22, v22, 2, s1
	s_delay_alu instid0(VALU_DEP_3) | instskip(NEXT) | instid1(VALU_DEP_1)
	v_cmp_gt_f32_e64 s0, v11, v20
	v_cndmask_b32_e64 v20, v20, v11, s0
	s_delay_alu instid0(VALU_DEP_4) | instskip(NEXT) | instid1(VALU_DEP_4)
	v_cndmask_b32_e64 v21, v21, v3, s0
	v_cndmask_b32_e64 v22, v22, 3, s0
	;; [unrolled: 6-line block ×5, first 2 shown]
	s_delay_alu instid0(VALU_DEP_3) | instskip(NEXT) | instid1(VALU_DEP_1)
	v_cmp_gt_f32_e64 s0, v15, v23
	v_cndmask_b32_e64 v26, v24, v7, s0
	s_delay_alu instid0(VALU_DEP_3) | instskip(NEXT) | instid1(VALU_DEP_2)
	v_cndmask_b32_e64 v27, v22, 7, s0
	v_add_f32_e32 v29, v17, v26
	v_add_nc_u32_e32 v20, s7, v18
	s_delay_alu instid0(VALU_DEP_3) | instskip(SKIP_4) | instid1(VALU_DEP_1)
	v_cmp_gt_i32_e64 s1, s6, v27
	v_subrev_nc_u32_e32 v28, s5, v27
	s_add_i32 s7, s7, 1
	v_cndmask_b32_e32 v17, v17, v29, vcc_lo
	v_ashrrev_i32_e32 v21, 31, v20
	v_lshlrev_b64 v[20:21], 2, v[20:21]
	s_waitcnt lgkmcnt(0)
	s_delay_alu instid0(VALU_DEP_1) | instskip(NEXT) | instid1(VALU_DEP_1)
	v_add_co_u32 v22, s0, s8, v20
	v_add_co_ci_u32_e64 v23, s0, s9, v21, s0
	v_cmp_le_i32_e64 s0, s5, v27
	v_add_co_u32 v24, s2, s10, v20
	s_delay_alu instid0(VALU_DEP_1) | instskip(NEXT) | instid1(VALU_DEP_3)
	v_add_co_ci_u32_e64 v25, s2, s11, v21, s2
	s_and_b32 s0, s0, s1
	s_delay_alu instid0(SALU_CYCLE_1) | instskip(SKIP_3) | instid1(VALU_DEP_1)
	s_and_b32 s0, s15, s0
	s_cmp_lt_i32 s7, s4
	v_cndmask_b32_e64 v28, 8, v28, s0
	v_add_co_u32 v20, s0, s12, v20
	v_add_co_ci_u32_e64 v21, s0, s13, v21, s0
	v_cmp_ne_u32_e64 s0, 0, v27
	global_store_b32 v[22:23], v28, off
	global_store_b32 v[24:25], v19, off
	v_add_nc_u32_e32 v19, s14, v19
	global_store_b32 v[20:21], v26, off
	v_cndmask_b32_e64 v22, 0xc61c4000, v8, s0
	v_cmp_ne_u32_e64 s0, 1, v27
	s_delay_alu instid0(VALU_DEP_1) | instskip(SKIP_1) | instid1(VALU_DEP_1)
	v_cndmask_b32_e64 v23, 0xc61c4000, v9, s0
	v_cmp_ne_u32_e64 s0, 2, v27
	v_cndmask_b32_e64 v24, 0xc61c4000, v10, s0
	v_cmp_ne_u32_e64 s0, 3, v27
	s_delay_alu instid0(VALU_DEP_1) | instskip(SKIP_1) | instid1(VALU_DEP_1)
	v_cndmask_b32_e64 v25, 0xc61c4000, v11, s0
	v_cmp_ne_u32_e64 s0, 5, v27
	;; [unrolled: 5-line block ×3, first 2 shown]
	v_cndmask_b32_e64 v30, 0xc61c4000, v14, s0
	v_cmp_ne_u32_e64 s0, 4, v27
	s_delay_alu instid0(VALU_DEP_1)
	v_cndmask_b32_e64 v27, 0xc61c4000, v12, s0
	s_cselect_b32 s0, -1, 0
	s_cmp_eq_u32 s4, s7
	v_cndmask_b32_e64 v15, v15, v29, s0
	v_cndmask_b32_e64 v14, v14, v30, s0
	;; [unrolled: 1-line block ×8, first 2 shown]
	s_cbranch_scc0 .LBB134_8
; %bb.9:
	s_and_b32 vcc_lo, exec_lo, vcc_lo
	s_cbranch_vccnz .LBB134_12
	s_branch .LBB134_15
.LBB134_10:
                                        ; implicit-def: $vgpr8_vgpr9_vgpr10_vgpr11_vgpr12_vgpr13_vgpr14_vgpr15
	s_and_not1_b32 vcc_lo, exec_lo, s8
	s_cbranch_vccz .LBB134_5
	s_branch .LBB134_6
.LBB134_11:
	v_mov_b32_e32 v17, 0
	s_and_b32 vcc_lo, exec_lo, vcc_lo
	s_cbranch_vccz .LBB134_15
.LBB134_12:
	s_and_not1_b32 vcc_lo, exec_lo, s3
	s_cbranch_vccnz .LBB134_15
; %bb.13:
	v_mul_lo_u32 v0, v16, s4
	v_cmp_lt_f32_e32 vcc_lo, 0, v17
	v_cndmask_b32_e32 v2, 1.0, v17, vcc_lo
	s_delay_alu instid0(VALU_DEP_3) | instskip(NEXT) | instid1(VALU_DEP_1)
	v_ashrrev_i32_e32 v1, 31, v0
	v_lshlrev_b64 v[0:1], 2, v[0:1]
	s_delay_alu instid0(VALU_DEP_1) | instskip(NEXT) | instid1(VALU_DEP_2)
	v_add_co_u32 v0, vcc_lo, s12, v0
	v_add_co_ci_u32_e32 v1, vcc_lo, s13, v1, vcc_lo
	.p2align	6
.LBB134_14:                             ; =>This Inner Loop Header: Depth=1
	global_load_b32 v3, v[0:1], off
	s_add_i32 s4, s4, -1
	s_delay_alu instid0(SALU_CYCLE_1) | instskip(SKIP_3) | instid1(VALU_DEP_2)
	s_cmp_lg_u32 s4, 0
	s_waitcnt vmcnt(0)
	v_div_scale_f32 v4, null, v2, v2, v3
	v_div_scale_f32 v7, vcc_lo, v3, v2, v3
	v_rcp_f32_e32 v5, v4
	s_waitcnt_depctr 0xfff
	v_fma_f32 v6, -v4, v5, 1.0
	s_delay_alu instid0(VALU_DEP_1) | instskip(NEXT) | instid1(VALU_DEP_1)
	v_fmac_f32_e32 v5, v6, v5
	v_mul_f32_e32 v6, v7, v5
	s_delay_alu instid0(VALU_DEP_1) | instskip(NEXT) | instid1(VALU_DEP_1)
	v_fma_f32 v8, -v4, v6, v7
	v_fmac_f32_e32 v6, v8, v5
	s_delay_alu instid0(VALU_DEP_1) | instskip(NEXT) | instid1(VALU_DEP_1)
	v_fma_f32 v4, -v4, v6, v7
	v_div_fmas_f32 v4, v4, v5, v6
	s_delay_alu instid0(VALU_DEP_1)
	v_div_fixup_f32 v3, v4, v2, v3
	global_store_b32 v[0:1], v3, off
	v_add_co_u32 v0, vcc_lo, v0, 4
	v_add_co_ci_u32_e32 v1, vcc_lo, 0, v1, vcc_lo
	s_cbranch_scc1 .LBB134_14
.LBB134_15:
	s_nop 0
	s_sendmsg sendmsg(MSG_DEALLOC_VGPRS)
	s_endpgm
	.section	.rodata,"a",@progbits
	.p2align	6, 0x0
	.amdhsa_kernel _ZN4vllm3moe10topkGatingILi8ELi8ELi4ELi16ELi32Ei14__hip_bfloat16LNS0_11ScoringFuncE0EEEvPKT5_PKbPfiPT4_PiiiibPKf
		.amdhsa_group_segment_fixed_size 0
		.amdhsa_private_segment_fixed_size 0
		.amdhsa_kernarg_size 72
		.amdhsa_user_sgpr_count 15
		.amdhsa_user_sgpr_dispatch_ptr 0
		.amdhsa_user_sgpr_queue_ptr 0
		.amdhsa_user_sgpr_kernarg_segment_ptr 1
		.amdhsa_user_sgpr_dispatch_id 0
		.amdhsa_user_sgpr_private_segment_size 0
		.amdhsa_wavefront_size32 1
		.amdhsa_uses_dynamic_stack 0
		.amdhsa_enable_private_segment 0
		.amdhsa_system_sgpr_workgroup_id_x 1
		.amdhsa_system_sgpr_workgroup_id_y 0
		.amdhsa_system_sgpr_workgroup_id_z 0
		.amdhsa_system_sgpr_workgroup_info 0
		.amdhsa_system_vgpr_workitem_id 1
		.amdhsa_next_free_vgpr 33
		.amdhsa_next_free_sgpr 16
		.amdhsa_reserve_vcc 1
		.amdhsa_float_round_mode_32 0
		.amdhsa_float_round_mode_16_64 0
		.amdhsa_float_denorm_mode_32 3
		.amdhsa_float_denorm_mode_16_64 3
		.amdhsa_dx10_clamp 1
		.amdhsa_ieee_mode 1
		.amdhsa_fp16_overflow 0
		.amdhsa_workgroup_processor_mode 1
		.amdhsa_memory_ordered 1
		.amdhsa_forward_progress 0
		.amdhsa_shared_vgpr_count 0
		.amdhsa_exception_fp_ieee_invalid_op 0
		.amdhsa_exception_fp_denorm_src 0
		.amdhsa_exception_fp_ieee_div_zero 0
		.amdhsa_exception_fp_ieee_overflow 0
		.amdhsa_exception_fp_ieee_underflow 0
		.amdhsa_exception_fp_ieee_inexact 0
		.amdhsa_exception_int_div_zero 0
	.end_amdhsa_kernel
	.section	.text._ZN4vllm3moe10topkGatingILi8ELi8ELi4ELi16ELi32Ei14__hip_bfloat16LNS0_11ScoringFuncE0EEEvPKT5_PKbPfiPT4_PiiiibPKf,"axG",@progbits,_ZN4vllm3moe10topkGatingILi8ELi8ELi4ELi16ELi32Ei14__hip_bfloat16LNS0_11ScoringFuncE0EEEvPKT5_PKbPfiPT4_PiiiibPKf,comdat
.Lfunc_end134:
	.size	_ZN4vllm3moe10topkGatingILi8ELi8ELi4ELi16ELi32Ei14__hip_bfloat16LNS0_11ScoringFuncE0EEEvPKT5_PKbPfiPT4_PiiiibPKf, .Lfunc_end134-_ZN4vllm3moe10topkGatingILi8ELi8ELi4ELi16ELi32Ei14__hip_bfloat16LNS0_11ScoringFuncE0EEEvPKT5_PKbPfiPT4_PiiiibPKf
                                        ; -- End function
	.section	.AMDGPU.csdata,"",@progbits
; Kernel info:
; codeLenInByte = 2464
; NumSgprs: 18
; NumVgprs: 33
; ScratchSize: 0
; MemoryBound: 0
; FloatMode: 240
; IeeeMode: 1
; LDSByteSize: 0 bytes/workgroup (compile time only)
; SGPRBlocks: 2
; VGPRBlocks: 4
; NumSGPRsForWavesPerEU: 18
; NumVGPRsForWavesPerEU: 33
; Occupancy: 16
; WaveLimiterHint : 0
; COMPUTE_PGM_RSRC2:SCRATCH_EN: 0
; COMPUTE_PGM_RSRC2:USER_SGPR: 15
; COMPUTE_PGM_RSRC2:TRAP_HANDLER: 0
; COMPUTE_PGM_RSRC2:TGID_X_EN: 1
; COMPUTE_PGM_RSRC2:TGID_Y_EN: 0
; COMPUTE_PGM_RSRC2:TGID_Z_EN: 0
; COMPUTE_PGM_RSRC2:TIDIG_COMP_CNT: 1
	.section	.text._ZN4vllm3moe10topkGatingILi8ELi16ELi4ELi16ELi64Ei14__hip_bfloat16LNS0_11ScoringFuncE0EEEvPKT5_PKbPfiPT4_PiiiibPKf,"axG",@progbits,_ZN4vllm3moe10topkGatingILi8ELi16ELi4ELi16ELi64Ei14__hip_bfloat16LNS0_11ScoringFuncE0EEEvPKT5_PKbPfiPT4_PiiiibPKf,comdat
	.protected	_ZN4vllm3moe10topkGatingILi8ELi16ELi4ELi16ELi64Ei14__hip_bfloat16LNS0_11ScoringFuncE0EEEvPKT5_PKbPfiPT4_PiiiibPKf ; -- Begin function _ZN4vllm3moe10topkGatingILi8ELi16ELi4ELi16ELi64Ei14__hip_bfloat16LNS0_11ScoringFuncE0EEEvPKT5_PKbPfiPT4_PiiiibPKf
	.globl	_ZN4vllm3moe10topkGatingILi8ELi16ELi4ELi16ELi64Ei14__hip_bfloat16LNS0_11ScoringFuncE0EEEvPKT5_PKbPfiPT4_PiiiibPKf
	.p2align	8
	.type	_ZN4vllm3moe10topkGatingILi8ELi16ELi4ELi16ELi64Ei14__hip_bfloat16LNS0_11ScoringFuncE0EEEvPKT5_PKbPfiPT4_PiiiibPKf,@function
_ZN4vllm3moe10topkGatingILi8ELi16ELi4ELi16ELi64Ei14__hip_bfloat16LNS0_11ScoringFuncE0EEEvPKT5_PKbPfiPT4_PiiiibPKf: ; @_ZN4vllm3moe10topkGatingILi8ELi16ELi4ELi16ELi64Ei14__hip_bfloat16LNS0_11ScoringFuncE0EEEvPKT5_PKbPfiPT4_PiiiibPKf
; %bb.0:
	s_load_b32 s14, s[0:1], 0x18
	v_bfe_u32 v1, v0, 10, 10
	v_and_b32_e32 v0, 0x3ff, v0
	s_lshl_b32 s2, s15, 7
	s_delay_alu instid0(VALU_DEP_2) | instskip(NEXT) | instid1(VALU_DEP_2)
	v_lshlrev_b32_e32 v1, 5, v1
	v_lshrrev_b32_e32 v2, 1, v0
	s_delay_alu instid0(VALU_DEP_1) | instskip(SKIP_2) | instid1(VALU_DEP_1)
	v_add3_u32 v16, s2, v1, v2
	s_mov_b32 s2, exec_lo
	s_waitcnt lgkmcnt(0)
	v_cmpx_gt_i32_e64 s14, v16
	s_cbranch_execz .LBB135_25
; %bb.1:
	s_clause 0x1
	s_load_b128 s[4:7], s[0:1], 0x0
	s_load_b64 s[12:13], s[0:1], 0x10
	s_mov_b32 s8, -1
	s_mov_b32 s15, -1
	s_waitcnt lgkmcnt(0)
	s_cmp_eq_u64 s[6:7], 0
	s_cbranch_scc1 .LBB135_3
; %bb.2:
	v_ashrrev_i32_e32 v2, 31, v16
	v_add_co_u32 v1, vcc_lo, s6, v16
	s_delay_alu instid0(VALU_DEP_2) | instskip(SKIP_3) | instid1(VALU_DEP_1)
	v_add_co_ci_u32_e32 v2, vcc_lo, s7, v2, vcc_lo
	global_load_u8 v1, v[1:2], off
	s_waitcnt vmcnt(0)
	v_and_b32_e32 v1, 1, v1
	v_cmp_eq_u32_e32 vcc_lo, 1, v1
	s_xor_b32 s2, vcc_lo, -1
	s_delay_alu instid0(SALU_CYCLE_1)
	s_or_not1_b32 s15, s2, exec_lo
.LBB135_3:
	v_lshlrev_b32_e32 v1, 4, v16
	v_and_b32_e32 v17, 1, v0
	v_mbcnt_lo_u32_b32 v5, -1, 0
	s_load_b64 s[2:3], s[0:1], 0x40
	s_delay_alu instid0(VALU_DEP_3) | instskip(NEXT) | instid1(VALU_DEP_2)
	v_ashrrev_i32_e32 v2, 31, v1
	v_xor_b32_e32 v9, 1, v5
	v_and_b32_e32 v8, 30, v5
	s_delay_alu instid0(VALU_DEP_3) | instskip(SKIP_1) | instid1(VALU_DEP_2)
	v_lshlrev_b64 v[0:1], 1, v[1:2]
	v_lshlrev_b32_e32 v2, 4, v17
	v_add_co_u32 v0, vcc_lo, s4, v0
	s_delay_alu instid0(VALU_DEP_3) | instskip(NEXT) | instid1(VALU_DEP_2)
	v_add_co_ci_u32_e32 v1, vcc_lo, s5, v1, vcc_lo
	v_add_co_u32 v0, vcc_lo, v0, v2
	s_delay_alu instid0(VALU_DEP_2)
	v_add_co_ci_u32_e32 v1, vcc_lo, 0, v1, vcc_lo
	s_waitcnt lgkmcnt(0)
	s_cmp_eq_u64 s[2:3], 0
	global_load_b128 v[0:3], v[0:1], off
	s_waitcnt vmcnt(0)
	v_and_b32_e32 v4, 0xffff0000, v0
	v_lshlrev_b32_e32 v0, 16, v0
	v_lshlrev_b32_e32 v10, 16, v1
	s_delay_alu instid0(VALU_DEP_3) | instskip(NEXT) | instid1(VALU_DEP_3)
	v_dual_max_f32 v6, v4, v4 :: v_dual_and_b32 v1, 0xffff0000, v1
	v_max_f32_e32 v7, v0, v0
	s_delay_alu instid0(VALU_DEP_1) | instskip(SKIP_1) | instid1(VALU_DEP_2)
	v_dual_max_f32 v6, v7, v6 :: v_dual_add_nc_u32 v7, 2, v8
	v_lshlrev_b32_e32 v8, 16, v2
	v_max3_f32 v6, v6, v10, v1
	s_delay_alu instid0(VALU_DEP_3) | instskip(SKIP_4) | instid1(VALU_DEP_4)
	v_cmp_lt_i32_e32 vcc_lo, v9, v7
	v_cndmask_b32_e32 v5, v5, v9, vcc_lo
	v_lshlrev_b32_e32 v7, 16, v3
	v_and_b32_e32 v2, 0xffff0000, v2
	v_and_b32_e32 v3, 0xffff0000, v3
	v_lshlrev_b32_e32 v18, 2, v5
	s_delay_alu instid0(VALU_DEP_3) | instskip(NEXT) | instid1(VALU_DEP_1)
	v_max3_f32 v6, v6, v8, v2
	v_max3_f32 v5, v6, v7, v3
	ds_bpermute_b32 v6, v18, v5
	s_waitcnt lgkmcnt(0)
	v_max_f32_e32 v6, v6, v6
	s_delay_alu instid0(VALU_DEP_1) | instskip(NEXT) | instid1(VALU_DEP_1)
	v_max_f32_e32 v5, v5, v6
	v_sub_f32_e32 v4, v4, v5
	v_sub_f32_e32 v0, v0, v5
	;; [unrolled: 1-line block ×4, first 2 shown]
	s_delay_alu instid0(VALU_DEP_4) | instskip(SKIP_3) | instid1(VALU_DEP_4)
	v_dual_sub_f32 v2, v2, v5 :: v_dual_mul_f32 v9, 0x3fb8aa3b, v4
	v_sub_f32_e32 v6, v10, v5
	v_sub_f32_e32 v3, v3, v5
	v_cmp_ngt_f32_e32 vcc_lo, 0xc2ce8ed0, v0
	v_fma_f32 v21, 0x3fb8aa3b, v4, -v9
	s_delay_alu instid0(VALU_DEP_4) | instskip(NEXT) | instid1(VALU_DEP_4)
	v_mul_f32_e32 v10, 0x3fb8aa3b, v6
	v_dual_sub_f32 v8, v8, v5 :: v_dual_mul_f32 v15, 0x3fb8aa3b, v3
	v_mul_f32_e32 v5, 0x3fb8aa3b, v0
	v_mul_f32_e32 v11, 0x3fb8aa3b, v1
	v_rndne_f32_e32 v22, v9
	s_delay_alu instid0(VALU_DEP_4)
	v_mul_f32_e32 v12, 0x3fb8aa3b, v8
	v_fma_f32 v23, 0x3fb8aa3b, v6, -v10
	v_fma_f32 v19, 0x3fb8aa3b, v0, -v5
	v_rndne_f32_e32 v20, v5
	v_mul_f32_e32 v14, 0x3fb8aa3b, v7
	v_rndne_f32_e32 v24, v10
	v_rndne_f32_e32 v28, v12
	v_fmac_f32_e32 v19, 0x32a5705f, v0
	v_sub_f32_e32 v5, v5, v20
	v_fma_f32 v27, 0x3fb8aa3b, v8, -v12
	v_dual_sub_f32 v9, v9, v22 :: v_dual_sub_f32 v10, v10, v24
	v_dual_fmac_f32 v23, 0x32a5705f, v6 :: v_dual_sub_f32 v12, v12, v28
	v_fmac_f32_e32 v21, 0x32a5705f, v4
	v_add_f32_e32 v5, v5, v19
	v_cvt_i32_f32_e32 v20, v20
	s_delay_alu instid0(VALU_DEP_4)
	v_add_f32_e32 v10, v10, v23
	v_cvt_i32_f32_e32 v22, v22
	v_add_f32_e32 v9, v9, v21
	v_exp_f32_e32 v5, v5
	v_fma_f32 v25, 0x3fb8aa3b, v1, -v11
	v_exp_f32_e32 v10, v10
	v_fma_f32 v31, 0x3fb8aa3b, v7, -v14
	v_exp_f32_e32 v9, v9
	v_rndne_f32_e32 v32, v14
	v_cvt_i32_f32_e32 v24, v24
	v_mul_f32_e32 v13, 0x3fb8aa3b, v2
	v_rndne_f32_e32 v26, v11
	s_delay_alu instid0(VALU_DEP_4) | instskip(SKIP_1) | instid1(TRANS32_DEP_2)
	v_dual_fmac_f32 v25, 0x32a5705f, v1 :: v_dual_sub_f32 v14, v14, v32
	v_ldexp_f32 v5, v5, v20
	v_ldexp_f32 v10, v10, v24
	v_rndne_f32_e32 v30, v13
	s_delay_alu instid0(TRANS32_DEP_1)
	v_ldexp_f32 v9, v9, v22
	v_fma_f32 v29, 0x3fb8aa3b, v2, -v13
	v_cndmask_b32_e32 v5, 0, v5, vcc_lo
	v_cmp_ngt_f32_e32 vcc_lo, 0xc2ce8ed0, v4
	v_rndne_f32_e32 v34, v15
	v_fma_f32 v33, 0x3fb8aa3b, v3, -v15
	v_cvt_i32_f32_e32 v28, v28
	v_cvt_i32_f32_e32 v19, v32
	v_cndmask_b32_e32 v9, 0, v9, vcc_lo
	v_cmp_ngt_f32_e32 vcc_lo, 0xc2ce8ed0, v6
	v_fmac_f32_e32 v31, 0x32a5705f, v7
	v_cvt_i32_f32_e32 v21, v34
	v_dual_cndmask_b32 v10, 0, v10 :: v_dual_fmac_f32 v27, 0x32a5705f, v8
	s_delay_alu instid0(VALU_DEP_3) | instskip(SKIP_1) | instid1(VALU_DEP_3)
	v_dual_add_f32 v14, v14, v31 :: v_dual_sub_f32 v11, v11, v26
	v_cmp_nlt_f32_e32 vcc_lo, 0x42b17218, v0
	v_dual_sub_f32 v13, v13, v30 :: v_dual_add_f32 v12, v12, v27
	v_cvt_i32_f32_e32 v26, v26
	v_cvt_i32_f32_e32 v30, v30
	v_cndmask_b32_e32 v0, 0x7f800000, v5, vcc_lo
	v_add_f32_e32 v11, v11, v25
	v_cmp_nlt_f32_e32 vcc_lo, 0x42b17218, v4
	v_sub_f32_e32 v15, v15, v34
	v_exp_f32_e32 v12, v12
	v_exp_f32_e32 v14, v14
	;; [unrolled: 1-line block ×3, first 2 shown]
	v_cndmask_b32_e32 v4, 0x7f800000, v9, vcc_lo
	v_cmp_ngt_f32_e32 vcc_lo, 0xc2ce8ed0, v1
	s_delay_alu instid0(VALU_DEP_2) | instskip(NEXT) | instid1(TRANS32_DEP_3)
	v_add_f32_e32 v9, v0, v4
	v_ldexp_f32 v12, v12, v28
	s_waitcnt_depctr 0xfff
	v_ldexp_f32 v14, v14, v19
	v_ldexp_f32 v11, v11, v26
	v_lshlrev_b32_e32 v19, 3, v17
	s_delay_alu instid0(VALU_DEP_2) | instskip(SKIP_4) | instid1(VALU_DEP_1)
	v_cndmask_b32_e32 v5, 0, v11, vcc_lo
	v_cmp_nlt_f32_e32 vcc_lo, 0x42b17218, v6
	v_cndmask_b32_e32 v6, 0x7f800000, v10, vcc_lo
	v_cmp_ngt_f32_e32 vcc_lo, 0xc2ce8ed0, v8
	v_dual_fmac_f32 v29, 0x32a5705f, v2 :: v_dual_cndmask_b32 v10, 0, v12
	v_add_f32_e32 v13, v13, v29
	v_cmp_nlt_f32_e32 vcc_lo, 0x42b17218, v1
	s_delay_alu instid0(VALU_DEP_2)
	v_exp_f32_e32 v13, v13
	v_cndmask_b32_e32 v1, 0x7f800000, v5, vcc_lo
	v_cmp_ngt_f32_e32 vcc_lo, 0xc2ce8ed0, v2
	v_add_f32_e32 v5, v9, v6
	s_waitcnt_depctr 0xfff
	v_ldexp_f32 v13, v13, v30
	s_delay_alu instid0(VALU_DEP_1) | instskip(SKIP_4) | instid1(VALU_DEP_1)
	v_cndmask_b32_e32 v9, 0, v13, vcc_lo
	v_cmp_nlt_f32_e32 vcc_lo, 0x42b17218, v8
	v_cndmask_b32_e32 v8, 0x7f800000, v10, vcc_lo
	v_cmp_ngt_f32_e32 vcc_lo, 0xc2ce8ed0, v7
	v_dual_fmac_f32 v33, 0x32a5705f, v3 :: v_dual_cndmask_b32 v10, 0, v14
	v_add_f32_e32 v15, v15, v33
	v_cmp_nlt_f32_e32 vcc_lo, 0x42b17218, v2
	s_delay_alu instid0(VALU_DEP_2) | instskip(SKIP_3) | instid1(VALU_DEP_2)
	v_exp_f32_e32 v15, v15
	v_cndmask_b32_e32 v2, 0x7f800000, v9, vcc_lo
	v_add_f32_e32 v5, v5, v1
	v_cmp_ngt_f32_e32 vcc_lo, 0xc2ce8ed0, v3
	v_add_f32_e32 v5, v5, v8
	s_waitcnt_depctr 0xfff
	v_ldexp_f32 v15, v15, v21
	v_add_f32_e32 v5, v5, v2
	s_delay_alu instid0(VALU_DEP_2) | instskip(SKIP_3) | instid1(VALU_DEP_2)
	v_cndmask_b32_e32 v9, 0, v15, vcc_lo
	v_cmp_nlt_f32_e32 vcc_lo, 0x42b17218, v7
	v_cndmask_b32_e32 v7, 0x7f800000, v10, vcc_lo
	v_cmp_nlt_f32_e32 vcc_lo, 0x42b17218, v3
	v_add_f32_e32 v5, v5, v7
	v_cndmask_b32_e32 v3, 0x7f800000, v9, vcc_lo
	s_delay_alu instid0(VALU_DEP_1) | instskip(SKIP_3) | instid1(VALU_DEP_1)
	v_add_f32_e32 v5, v5, v3
	ds_bpermute_b32 v9, v18, v5
	s_waitcnt lgkmcnt(0)
	v_add_f32_e32 v5, v5, v9
	v_div_scale_f32 v9, null, v5, v5, 1.0
	v_div_scale_f32 v12, vcc_lo, 1.0, v5, 1.0
	s_delay_alu instid0(VALU_DEP_2) | instskip(SKIP_2) | instid1(VALU_DEP_1)
	v_rcp_f32_e32 v10, v9
	s_waitcnt_depctr 0xfff
	v_fma_f32 v11, -v9, v10, 1.0
	v_fmac_f32_e32 v10, v11, v10
	s_delay_alu instid0(VALU_DEP_1) | instskip(NEXT) | instid1(VALU_DEP_1)
	v_mul_f32_e32 v11, v12, v10
	v_fma_f32 v13, -v9, v11, v12
	s_delay_alu instid0(VALU_DEP_1) | instskip(NEXT) | instid1(VALU_DEP_1)
	v_fmac_f32_e32 v11, v13, v10
	v_fma_f32 v9, -v9, v11, v12
	s_delay_alu instid0(VALU_DEP_1) | instskip(NEXT) | instid1(VALU_DEP_1)
	v_div_fmas_f32 v9, v9, v10, v11
	v_div_fixup_f32 v5, v9, v5, 1.0
	s_delay_alu instid0(VALU_DEP_1)
	v_mul_f32_e32 v0, v5, v0
	v_mul_f32_e32 v4, v5, v4
	;; [unrolled: 1-line block ×5, first 2 shown]
	v_cmp_class_f32_e64 vcc_lo, v0, 0x1f8
	v_mul_f32_e32 v10, v5, v2
	v_mul_f32_e32 v11, v5, v3
	v_dual_mul_f32 v7, v5, v7 :: v_dual_cndmask_b32 v0, 0, v0
	v_cmp_class_f32_e64 vcc_lo, v4, 0x1f8
	v_cndmask_b32_e32 v1, 0, v4, vcc_lo
	v_cmp_class_f32_e64 vcc_lo, v6, 0x1f8
	v_cndmask_b32_e32 v2, 0, v6, vcc_lo
	;; [unrolled: 2-line block ×7, first 2 shown]
	s_cbranch_scc1 .LBB135_19
; %bb.4:
	v_lshlrev_b32_e32 v12, 2, v19
	s_clause 0x1
	global_load_b128 v[8:11], v12, s[2:3]
	global_load_b128 v[12:15], v12, s[2:3] offset:16
	s_waitcnt vmcnt(1)
	v_dual_add_f32 v9, v9, v1 :: v_dual_add_f32 v8, v8, v0
	v_dual_add_f32 v11, v11, v3 :: v_dual_add_f32 v10, v10, v2
	s_waitcnt vmcnt(0)
	v_dual_add_f32 v13, v13, v5 :: v_dual_add_f32 v12, v12, v4
	v_dual_add_f32 v15, v15, v7 :: v_dual_add_f32 v14, v14, v6
	s_cbranch_execnz .LBB135_6
.LBB135_5:
	v_dual_mov_b32 v15, v7 :: v_dual_mov_b32 v14, v6
	v_dual_mov_b32 v13, v5 :: v_dual_mov_b32 v12, v4
	;; [unrolled: 1-line block ×4, first 2 shown]
.LBB135_6:
	s_load_b128 s[4:7], s[0:1], 0x30
	v_cmp_eq_u32_e64 s2, 0, v17
	s_waitcnt lgkmcnt(0)
	s_bitcmp1_b32 s7, 0
	s_mov_b32 s7, 0
	s_cselect_b32 vcc_lo, -1, 0
	s_cmp_gt_i32 s4, 0
	s_cselect_b32 s3, -1, 0
	s_cmp_lt_i32 s4, 1
	s_cbranch_scc1 .LBB135_20
; %bb.7:
	s_load_b128 s[8:11], s[0:1], 0x20
	v_mul_lo_u32 v21, v16, s4
	v_mov_b32_e32 v20, 0
	v_mov_b32_e32 v22, v16
	s_branch .LBB135_10
.LBB135_8:                              ;   in Loop: Header=BB135_10 Depth=1
	s_or_b32 exec_lo, exec_lo, s1
.LBB135_9:                              ;   in Loop: Header=BB135_10 Depth=1
	v_add_nc_u32_e32 v22, s14, v22
	s_cmp_eq_u32 s4, s7
	s_cbranch_scc1 .LBB135_21
.LBB135_10:                             ; =>This Inner Loop Header: Depth=1
	v_cmp_gt_f32_e64 s0, v9, v8
	s_mov_b32 s17, exec_lo
	s_delay_alu instid0(VALU_DEP_1) | instskip(SKIP_2) | instid1(VALU_DEP_3)
	v_cndmask_b32_e64 v23, v8, v9, s0
	v_cndmask_b32_e64 v24, 0, 1, s0
	;; [unrolled: 1-line block ×3, first 2 shown]
	v_cmp_gt_f32_e64 s1, v10, v23
	s_delay_alu instid0(VALU_DEP_1) | instskip(NEXT) | instid1(VALU_DEP_4)
	v_cndmask_b32_e64 v23, v23, v10, s1
	v_cndmask_b32_e64 v24, v24, 2, s1
	s_delay_alu instid0(VALU_DEP_4) | instskip(NEXT) | instid1(VALU_DEP_3)
	v_cndmask_b32_e64 v25, v25, v2, s1
	v_cmp_gt_f32_e64 s0, v11, v23
	s_delay_alu instid0(VALU_DEP_1) | instskip(NEXT) | instid1(VALU_DEP_4)
	v_cndmask_b32_e64 v23, v23, v11, s0
	v_cndmask_b32_e64 v24, v24, 3, s0
	s_delay_alu instid0(VALU_DEP_4) | instskip(NEXT) | instid1(VALU_DEP_3)
	v_cndmask_b32_e64 v25, v25, v3, s0
	;; [unrolled: 6-line block ×5, first 2 shown]
	v_cmp_gt_f32_e64 s0, v15, v23
	s_delay_alu instid0(VALU_DEP_1) | instskip(NEXT) | instid1(VALU_DEP_4)
	v_cndmask_b32_e64 v27, v23, v15, s0
	v_cndmask_b32_e64 v23, v24, 7, s0
	s_delay_alu instid0(VALU_DEP_4)
	v_cndmask_b32_e64 v24, v25, v7, s0
	ds_bpermute_b32 v28, v18, v27
	v_or_b32_e32 v23, v19, v23
	ds_bpermute_b32 v26, v18, v24
	ds_bpermute_b32 v25, v18, v23
	s_waitcnt lgkmcnt(0)
	v_cmp_lt_f32_e64 s16, v27, v28
	v_cmpx_nlt_f32_e32 v27, v28
	s_cbranch_execnz .LBB135_14
; %bb.11:                               ;   in Loop: Header=BB135_10 Depth=1
	s_or_b32 exec_lo, exec_lo, s17
	s_delay_alu instid0(VALU_DEP_2)
	s_and_saveexec_b32 s0, s16
	s_cbranch_execnz .LBB135_15
.LBB135_12:                             ;   in Loop: Header=BB135_10 Depth=1
	s_or_b32 exec_lo, exec_lo, s0
	s_and_saveexec_b32 s16, s2
	s_cbranch_execnz .LBB135_16
.LBB135_13:                             ;   in Loop: Header=BB135_10 Depth=1
	s_or_b32 exec_lo, exec_lo, s16
	s_add_i32 s7, s7, 1
	s_delay_alu instid0(SALU_CYCLE_1)
	s_cmp_ge_i32 s7, s4
	s_cbranch_scc1 .LBB135_9
	s_branch .LBB135_17
.LBB135_14:                             ;   in Loop: Header=BB135_10 Depth=1
	v_cmp_eq_f32_e64 s0, v27, v28
	v_cmp_lt_i32_e64 s1, v25, v23
	s_delay_alu instid0(VALU_DEP_1) | instskip(SKIP_2) | instid1(SALU_CYCLE_1)
	s_and_b32 s0, s0, s1
	s_and_not1_b32 s1, s16, exec_lo
	s_and_b32 s0, s0, exec_lo
	s_or_b32 s16, s1, s0
	s_or_b32 exec_lo, exec_lo, s17
	s_and_saveexec_b32 s0, s16
	s_cbranch_execz .LBB135_12
.LBB135_15:                             ;   in Loop: Header=BB135_10 Depth=1
	v_dual_mov_b32 v24, v26 :: v_dual_mov_b32 v23, v25
	s_or_b32 exec_lo, exec_lo, s0
	s_and_saveexec_b32 s16, s2
	s_cbranch_execz .LBB135_13
.LBB135_16:                             ;   in Loop: Header=BB135_10 Depth=1
	s_delay_alu instid0(VALU_DEP_1) | instskip(SKIP_3) | instid1(VALU_DEP_4)
	v_dual_add_f32 v32, v20, v24 :: v_dual_add_nc_u32 v25, s7, v21
	v_cmp_le_i32_e64 s0, s5, v23
	v_cmp_gt_i32_e64 s1, s6, v23
	v_subrev_nc_u32_e32 v27, s5, v23
	v_ashrrev_i32_e32 v26, 31, v25
	v_cndmask_b32_e32 v20, v20, v32, vcc_lo
	s_delay_alu instid0(VALU_DEP_4) | instskip(NEXT) | instid1(SALU_CYCLE_1)
	s_and_b32 s0, s0, s1
	s_and_b32 s0, s15, s0
	s_delay_alu instid0(VALU_DEP_2) | instskip(SKIP_1) | instid1(VALU_DEP_2)
	v_lshlrev_b64 v[25:26], 2, v[25:26]
	v_cndmask_b32_e64 v31, 16, v27, s0
	v_add_co_u32 v27, s0, s12, v25
	s_delay_alu instid0(VALU_DEP_1) | instskip(SKIP_1) | instid1(VALU_DEP_1)
	v_add_co_ci_u32_e64 v28, s0, s13, v26, s0
	v_add_co_u32 v29, s0, s8, v25
	v_add_co_ci_u32_e64 v30, s0, s9, v26, s0
	v_add_co_u32 v25, s0, s10, v25
	s_delay_alu instid0(VALU_DEP_1)
	v_add_co_ci_u32_e64 v26, s0, s11, v26, s0
	global_store_b32 v[27:28], v24, off
	global_store_b32 v[29:30], v31, off
	;; [unrolled: 1-line block ×3, first 2 shown]
	s_or_b32 exec_lo, exec_lo, s16
	s_add_i32 s7, s7, 1
	s_delay_alu instid0(SALU_CYCLE_1)
	s_cmp_ge_i32 s7, s4
	s_cbranch_scc1 .LBB135_9
.LBB135_17:                             ;   in Loop: Header=BB135_10 Depth=1
	v_ashrrev_i32_e32 v25, 31, v23
	s_mov_b32 s1, exec_lo
	s_delay_alu instid0(VALU_DEP_1) | instskip(NEXT) | instid1(VALU_DEP_1)
	v_lshrrev_b32_e32 v24, 29, v25
	v_add_nc_u32_e32 v26, v23, v24
	s_delay_alu instid0(VALU_DEP_1) | instskip(SKIP_1) | instid1(VALU_DEP_1)
	v_ashrrev_i32_e32 v24, 3, v26
	v_lshrrev_b32_e32 v26, 31, v26
	v_add_nc_u32_e32 v26, v24, v26
	s_delay_alu instid0(VALU_DEP_1) | instskip(NEXT) | instid1(VALU_DEP_1)
	v_and_b32_e32 v26, -2, v26
	v_sub_nc_u32_e32 v26, v24, v26
	s_delay_alu instid0(VALU_DEP_1)
	v_cmpx_eq_u32_e64 v17, v26
	s_cbranch_execz .LBB135_8
; %bb.18:                               ;   in Loop: Header=BB135_10 Depth=1
	v_lshrrev_b32_e32 v25, 28, v25
	v_lshlrev_b32_e32 v24, 3, v24
	s_delay_alu instid0(VALU_DEP_2) | instskip(NEXT) | instid1(VALU_DEP_2)
	v_add_nc_u32_e32 v25, v23, v25
	v_sub_nc_u32_e32 v23, v23, v24
	s_delay_alu instid0(VALU_DEP_2) | instskip(NEXT) | instid1(VALU_DEP_1)
	v_ashrrev_i32_e32 v24, 4, v25
	v_lshl_add_u32 v23, v24, 3, v23
	s_delay_alu instid0(VALU_DEP_1) | instskip(NEXT) | instid1(VALU_DEP_1)
	v_cmp_ne_u32_e64 s0, 7, v23
	v_cndmask_b32_e64 v15, 0xc61c4000, v15, s0
	v_cmp_ne_u32_e64 s0, 6, v23
	s_delay_alu instid0(VALU_DEP_1) | instskip(SKIP_1) | instid1(VALU_DEP_1)
	v_cndmask_b32_e64 v14, 0xc61c4000, v14, s0
	v_cmp_ne_u32_e64 s0, 5, v23
	v_cndmask_b32_e64 v13, 0xc61c4000, v13, s0
	v_cmp_ne_u32_e64 s0, 4, v23
	s_delay_alu instid0(VALU_DEP_1) | instskip(SKIP_1) | instid1(VALU_DEP_1)
	v_cndmask_b32_e64 v12, 0xc61c4000, v12, s0
	;; [unrolled: 5-line block ×3, first 2 shown]
	v_cmp_ne_u32_e64 s0, 1, v23
	v_cndmask_b32_e64 v9, 0xc61c4000, v9, s0
	v_cmp_ne_u32_e64 s0, 0, v23
	s_delay_alu instid0(VALU_DEP_1)
	v_cndmask_b32_e64 v8, 0xc61c4000, v8, s0
	s_branch .LBB135_8
.LBB135_19:
                                        ; implicit-def: $vgpr8_vgpr9_vgpr10_vgpr11_vgpr12_vgpr13_vgpr14_vgpr15
	s_and_not1_b32 vcc_lo, exec_lo, s8
	s_cbranch_vccz .LBB135_5
	s_branch .LBB135_6
.LBB135_20:
	v_mov_b32_e32 v20, 0
.LBB135_21:
	v_cmp_eq_u32_e64 s0, 0, v17
	s_delay_alu instid0(VALU_DEP_1) | instskip(NEXT) | instid1(SALU_CYCLE_1)
	s_and_b32 s0, s0, vcc_lo
	s_and_b32 exec_lo, exec_lo, s0
	s_cbranch_execz .LBB135_25
; %bb.22:
	s_and_not1_b32 vcc_lo, exec_lo, s3
	s_cbranch_vccnz .LBB135_25
; %bb.23:
	v_mul_lo_u32 v0, v16, s4
	v_cmp_lt_f32_e32 vcc_lo, 0, v20
	v_cndmask_b32_e32 v2, 1.0, v20, vcc_lo
	s_delay_alu instid0(VALU_DEP_3) | instskip(NEXT) | instid1(VALU_DEP_1)
	v_ashrrev_i32_e32 v1, 31, v0
	v_lshlrev_b64 v[0:1], 2, v[0:1]
	s_delay_alu instid0(VALU_DEP_1) | instskip(NEXT) | instid1(VALU_DEP_2)
	v_add_co_u32 v0, vcc_lo, s12, v0
	v_add_co_ci_u32_e32 v1, vcc_lo, s13, v1, vcc_lo
	.p2align	6
.LBB135_24:                             ; =>This Inner Loop Header: Depth=1
	global_load_b32 v3, v[0:1], off
	s_add_i32 s4, s4, -1
	s_delay_alu instid0(SALU_CYCLE_1) | instskip(SKIP_3) | instid1(VALU_DEP_2)
	s_cmp_lg_u32 s4, 0
	s_waitcnt vmcnt(0)
	v_div_scale_f32 v4, null, v2, v2, v3
	v_div_scale_f32 v7, vcc_lo, v3, v2, v3
	v_rcp_f32_e32 v5, v4
	s_waitcnt_depctr 0xfff
	v_fma_f32 v6, -v4, v5, 1.0
	s_delay_alu instid0(VALU_DEP_1) | instskip(NEXT) | instid1(VALU_DEP_1)
	v_fmac_f32_e32 v5, v6, v5
	v_mul_f32_e32 v6, v7, v5
	s_delay_alu instid0(VALU_DEP_1) | instskip(NEXT) | instid1(VALU_DEP_1)
	v_fma_f32 v8, -v4, v6, v7
	v_fmac_f32_e32 v6, v8, v5
	s_delay_alu instid0(VALU_DEP_1) | instskip(NEXT) | instid1(VALU_DEP_1)
	v_fma_f32 v4, -v4, v6, v7
	v_div_fmas_f32 v4, v4, v5, v6
	s_delay_alu instid0(VALU_DEP_1)
	v_div_fixup_f32 v3, v4, v2, v3
	global_store_b32 v[0:1], v3, off
	v_add_co_u32 v0, vcc_lo, v0, 4
	v_add_co_ci_u32_e32 v1, vcc_lo, 0, v1, vcc_lo
	s_cbranch_scc1 .LBB135_24
.LBB135_25:
	s_nop 0
	s_sendmsg sendmsg(MSG_DEALLOC_VGPRS)
	s_endpgm
	.section	.rodata,"a",@progbits
	.p2align	6, 0x0
	.amdhsa_kernel _ZN4vllm3moe10topkGatingILi8ELi16ELi4ELi16ELi64Ei14__hip_bfloat16LNS0_11ScoringFuncE0EEEvPKT5_PKbPfiPT4_PiiiibPKf
		.amdhsa_group_segment_fixed_size 0
		.amdhsa_private_segment_fixed_size 0
		.amdhsa_kernarg_size 72
		.amdhsa_user_sgpr_count 15
		.amdhsa_user_sgpr_dispatch_ptr 0
		.amdhsa_user_sgpr_queue_ptr 0
		.amdhsa_user_sgpr_kernarg_segment_ptr 1
		.amdhsa_user_sgpr_dispatch_id 0
		.amdhsa_user_sgpr_private_segment_size 0
		.amdhsa_wavefront_size32 1
		.amdhsa_uses_dynamic_stack 0
		.amdhsa_enable_private_segment 0
		.amdhsa_system_sgpr_workgroup_id_x 1
		.amdhsa_system_sgpr_workgroup_id_y 0
		.amdhsa_system_sgpr_workgroup_id_z 0
		.amdhsa_system_sgpr_workgroup_info 0
		.amdhsa_system_vgpr_workitem_id 1
		.amdhsa_next_free_vgpr 35
		.amdhsa_next_free_sgpr 18
		.amdhsa_reserve_vcc 1
		.amdhsa_float_round_mode_32 0
		.amdhsa_float_round_mode_16_64 0
		.amdhsa_float_denorm_mode_32 3
		.amdhsa_float_denorm_mode_16_64 3
		.amdhsa_dx10_clamp 1
		.amdhsa_ieee_mode 1
		.amdhsa_fp16_overflow 0
		.amdhsa_workgroup_processor_mode 1
		.amdhsa_memory_ordered 1
		.amdhsa_forward_progress 0
		.amdhsa_shared_vgpr_count 0
		.amdhsa_exception_fp_ieee_invalid_op 0
		.amdhsa_exception_fp_denorm_src 0
		.amdhsa_exception_fp_ieee_div_zero 0
		.amdhsa_exception_fp_ieee_overflow 0
		.amdhsa_exception_fp_ieee_underflow 0
		.amdhsa_exception_fp_ieee_inexact 0
		.amdhsa_exception_int_div_zero 0
	.end_amdhsa_kernel
	.section	.text._ZN4vllm3moe10topkGatingILi8ELi16ELi4ELi16ELi64Ei14__hip_bfloat16LNS0_11ScoringFuncE0EEEvPKT5_PKbPfiPT4_PiiiibPKf,"axG",@progbits,_ZN4vllm3moe10topkGatingILi8ELi16ELi4ELi16ELi64Ei14__hip_bfloat16LNS0_11ScoringFuncE0EEEvPKT5_PKbPfiPT4_PiiiibPKf,comdat
.Lfunc_end135:
	.size	_ZN4vllm3moe10topkGatingILi8ELi16ELi4ELi16ELi64Ei14__hip_bfloat16LNS0_11ScoringFuncE0EEEvPKT5_PKbPfiPT4_PiiiibPKf, .Lfunc_end135-_ZN4vllm3moe10topkGatingILi8ELi16ELi4ELi16ELi64Ei14__hip_bfloat16LNS0_11ScoringFuncE0EEEvPKT5_PKbPfiPT4_PiiiibPKf
                                        ; -- End function
	.section	.AMDGPU.csdata,"",@progbits
; Kernel info:
; codeLenInByte = 2836
; NumSgprs: 20
; NumVgprs: 35
; ScratchSize: 0
; MemoryBound: 0
; FloatMode: 240
; IeeeMode: 1
; LDSByteSize: 0 bytes/workgroup (compile time only)
; SGPRBlocks: 2
; VGPRBlocks: 4
; NumSGPRsForWavesPerEU: 20
; NumVGPRsForWavesPerEU: 35
; Occupancy: 16
; WaveLimiterHint : 0
; COMPUTE_PGM_RSRC2:SCRATCH_EN: 0
; COMPUTE_PGM_RSRC2:USER_SGPR: 15
; COMPUTE_PGM_RSRC2:TRAP_HANDLER: 0
; COMPUTE_PGM_RSRC2:TGID_X_EN: 1
; COMPUTE_PGM_RSRC2:TGID_Y_EN: 0
; COMPUTE_PGM_RSRC2:TGID_Z_EN: 0
; COMPUTE_PGM_RSRC2:TIDIG_COMP_CNT: 1
	.section	.text._ZN4vllm3moe10topkGatingILi8ELi16ELi4ELi16ELi32Ei14__hip_bfloat16LNS0_11ScoringFuncE0EEEvPKT5_PKbPfiPT4_PiiiibPKf,"axG",@progbits,_ZN4vllm3moe10topkGatingILi8ELi16ELi4ELi16ELi32Ei14__hip_bfloat16LNS0_11ScoringFuncE0EEEvPKT5_PKbPfiPT4_PiiiibPKf,comdat
	.protected	_ZN4vllm3moe10topkGatingILi8ELi16ELi4ELi16ELi32Ei14__hip_bfloat16LNS0_11ScoringFuncE0EEEvPKT5_PKbPfiPT4_PiiiibPKf ; -- Begin function _ZN4vllm3moe10topkGatingILi8ELi16ELi4ELi16ELi32Ei14__hip_bfloat16LNS0_11ScoringFuncE0EEEvPKT5_PKbPfiPT4_PiiiibPKf
	.globl	_ZN4vllm3moe10topkGatingILi8ELi16ELi4ELi16ELi32Ei14__hip_bfloat16LNS0_11ScoringFuncE0EEEvPKT5_PKbPfiPT4_PiiiibPKf
	.p2align	8
	.type	_ZN4vllm3moe10topkGatingILi8ELi16ELi4ELi16ELi32Ei14__hip_bfloat16LNS0_11ScoringFuncE0EEEvPKT5_PKbPfiPT4_PiiiibPKf,@function
_ZN4vllm3moe10topkGatingILi8ELi16ELi4ELi16ELi32Ei14__hip_bfloat16LNS0_11ScoringFuncE0EEEvPKT5_PKbPfiPT4_PiiiibPKf: ; @_ZN4vllm3moe10topkGatingILi8ELi16ELi4ELi16ELi32Ei14__hip_bfloat16LNS0_11ScoringFuncE0EEEvPKT5_PKbPfiPT4_PiiiibPKf
; %bb.0:
	s_load_b32 s14, s[0:1], 0x18
	v_bfe_u32 v1, v0, 10, 10
	v_and_b32_e32 v0, 0x3ff, v0
	s_lshl_b32 s2, s15, 6
	s_delay_alu instid0(VALU_DEP_2) | instskip(NEXT) | instid1(VALU_DEP_2)
	v_lshlrev_b32_e32 v1, 4, v1
	v_lshrrev_b32_e32 v2, 1, v0
	s_delay_alu instid0(VALU_DEP_1) | instskip(SKIP_2) | instid1(VALU_DEP_1)
	v_add3_u32 v16, s2, v1, v2
	s_mov_b32 s2, exec_lo
	s_waitcnt lgkmcnt(0)
	v_cmpx_gt_i32_e64 s14, v16
	s_cbranch_execz .LBB136_25
; %bb.1:
	s_clause 0x1
	s_load_b128 s[4:7], s[0:1], 0x0
	s_load_b64 s[12:13], s[0:1], 0x10
	s_mov_b32 s8, -1
	s_mov_b32 s15, -1
	s_waitcnt lgkmcnt(0)
	s_cmp_eq_u64 s[6:7], 0
	s_cbranch_scc1 .LBB136_3
; %bb.2:
	v_ashrrev_i32_e32 v2, 31, v16
	v_add_co_u32 v1, vcc_lo, s6, v16
	s_delay_alu instid0(VALU_DEP_2) | instskip(SKIP_3) | instid1(VALU_DEP_1)
	v_add_co_ci_u32_e32 v2, vcc_lo, s7, v2, vcc_lo
	global_load_u8 v1, v[1:2], off
	s_waitcnt vmcnt(0)
	v_and_b32_e32 v1, 1, v1
	v_cmp_eq_u32_e32 vcc_lo, 1, v1
	s_xor_b32 s2, vcc_lo, -1
	s_delay_alu instid0(SALU_CYCLE_1)
	s_or_not1_b32 s15, s2, exec_lo
.LBB136_3:
	v_lshlrev_b32_e32 v1, 4, v16
	v_and_b32_e32 v17, 1, v0
	v_mbcnt_lo_u32_b32 v5, -1, 0
	s_load_b64 s[2:3], s[0:1], 0x40
	s_delay_alu instid0(VALU_DEP_3) | instskip(NEXT) | instid1(VALU_DEP_2)
	v_ashrrev_i32_e32 v2, 31, v1
	v_xor_b32_e32 v9, 1, v5
	v_and_b32_e32 v8, 30, v5
	s_delay_alu instid0(VALU_DEP_3) | instskip(SKIP_1) | instid1(VALU_DEP_2)
	v_lshlrev_b64 v[0:1], 1, v[1:2]
	v_lshlrev_b32_e32 v2, 4, v17
	v_add_co_u32 v0, vcc_lo, s4, v0
	s_delay_alu instid0(VALU_DEP_3) | instskip(NEXT) | instid1(VALU_DEP_2)
	v_add_co_ci_u32_e32 v1, vcc_lo, s5, v1, vcc_lo
	v_add_co_u32 v0, vcc_lo, v0, v2
	s_delay_alu instid0(VALU_DEP_2)
	v_add_co_ci_u32_e32 v1, vcc_lo, 0, v1, vcc_lo
	s_waitcnt lgkmcnt(0)
	s_cmp_eq_u64 s[2:3], 0
	global_load_b128 v[0:3], v[0:1], off
	s_waitcnt vmcnt(0)
	v_and_b32_e32 v4, 0xffff0000, v0
	v_lshlrev_b32_e32 v0, 16, v0
	v_lshlrev_b32_e32 v10, 16, v1
	s_delay_alu instid0(VALU_DEP_3) | instskip(NEXT) | instid1(VALU_DEP_3)
	v_dual_max_f32 v6, v4, v4 :: v_dual_and_b32 v1, 0xffff0000, v1
	v_max_f32_e32 v7, v0, v0
	s_delay_alu instid0(VALU_DEP_1) | instskip(SKIP_1) | instid1(VALU_DEP_2)
	v_dual_max_f32 v6, v7, v6 :: v_dual_add_nc_u32 v7, 2, v8
	v_lshlrev_b32_e32 v8, 16, v2
	v_max3_f32 v6, v6, v10, v1
	s_delay_alu instid0(VALU_DEP_3) | instskip(SKIP_4) | instid1(VALU_DEP_4)
	v_cmp_lt_i32_e32 vcc_lo, v9, v7
	v_cndmask_b32_e32 v5, v5, v9, vcc_lo
	v_lshlrev_b32_e32 v7, 16, v3
	v_and_b32_e32 v2, 0xffff0000, v2
	v_and_b32_e32 v3, 0xffff0000, v3
	v_lshlrev_b32_e32 v18, 2, v5
	s_delay_alu instid0(VALU_DEP_3) | instskip(NEXT) | instid1(VALU_DEP_1)
	v_max3_f32 v6, v6, v8, v2
	v_max3_f32 v5, v6, v7, v3
	ds_bpermute_b32 v6, v18, v5
	s_waitcnt lgkmcnt(0)
	v_max_f32_e32 v6, v6, v6
	s_delay_alu instid0(VALU_DEP_1) | instskip(NEXT) | instid1(VALU_DEP_1)
	v_max_f32_e32 v5, v5, v6
	v_sub_f32_e32 v4, v4, v5
	v_sub_f32_e32 v0, v0, v5
	;; [unrolled: 1-line block ×4, first 2 shown]
	s_delay_alu instid0(VALU_DEP_4) | instskip(SKIP_3) | instid1(VALU_DEP_4)
	v_dual_sub_f32 v2, v2, v5 :: v_dual_mul_f32 v9, 0x3fb8aa3b, v4
	v_sub_f32_e32 v6, v10, v5
	v_sub_f32_e32 v3, v3, v5
	v_cmp_ngt_f32_e32 vcc_lo, 0xc2ce8ed0, v0
	v_fma_f32 v21, 0x3fb8aa3b, v4, -v9
	s_delay_alu instid0(VALU_DEP_4) | instskip(NEXT) | instid1(VALU_DEP_4)
	v_mul_f32_e32 v10, 0x3fb8aa3b, v6
	v_dual_sub_f32 v8, v8, v5 :: v_dual_mul_f32 v15, 0x3fb8aa3b, v3
	v_mul_f32_e32 v5, 0x3fb8aa3b, v0
	v_mul_f32_e32 v11, 0x3fb8aa3b, v1
	v_rndne_f32_e32 v22, v9
	s_delay_alu instid0(VALU_DEP_4)
	v_mul_f32_e32 v12, 0x3fb8aa3b, v8
	v_fma_f32 v23, 0x3fb8aa3b, v6, -v10
	v_fma_f32 v19, 0x3fb8aa3b, v0, -v5
	v_rndne_f32_e32 v20, v5
	v_mul_f32_e32 v14, 0x3fb8aa3b, v7
	v_rndne_f32_e32 v24, v10
	v_rndne_f32_e32 v28, v12
	v_fmac_f32_e32 v19, 0x32a5705f, v0
	v_sub_f32_e32 v5, v5, v20
	v_fma_f32 v27, 0x3fb8aa3b, v8, -v12
	v_dual_sub_f32 v9, v9, v22 :: v_dual_sub_f32 v10, v10, v24
	v_dual_fmac_f32 v23, 0x32a5705f, v6 :: v_dual_sub_f32 v12, v12, v28
	v_fmac_f32_e32 v21, 0x32a5705f, v4
	v_add_f32_e32 v5, v5, v19
	v_cvt_i32_f32_e32 v20, v20
	s_delay_alu instid0(VALU_DEP_4)
	v_add_f32_e32 v10, v10, v23
	v_cvt_i32_f32_e32 v22, v22
	v_add_f32_e32 v9, v9, v21
	v_exp_f32_e32 v5, v5
	v_fma_f32 v25, 0x3fb8aa3b, v1, -v11
	v_exp_f32_e32 v10, v10
	v_fma_f32 v31, 0x3fb8aa3b, v7, -v14
	v_exp_f32_e32 v9, v9
	v_rndne_f32_e32 v32, v14
	v_cvt_i32_f32_e32 v24, v24
	v_mul_f32_e32 v13, 0x3fb8aa3b, v2
	v_rndne_f32_e32 v26, v11
	s_delay_alu instid0(VALU_DEP_4) | instskip(SKIP_1) | instid1(TRANS32_DEP_2)
	v_dual_fmac_f32 v25, 0x32a5705f, v1 :: v_dual_sub_f32 v14, v14, v32
	v_ldexp_f32 v5, v5, v20
	v_ldexp_f32 v10, v10, v24
	v_rndne_f32_e32 v30, v13
	s_delay_alu instid0(TRANS32_DEP_1)
	v_ldexp_f32 v9, v9, v22
	v_fma_f32 v29, 0x3fb8aa3b, v2, -v13
	v_cndmask_b32_e32 v5, 0, v5, vcc_lo
	v_cmp_ngt_f32_e32 vcc_lo, 0xc2ce8ed0, v4
	v_rndne_f32_e32 v34, v15
	v_fma_f32 v33, 0x3fb8aa3b, v3, -v15
	v_cvt_i32_f32_e32 v28, v28
	v_cvt_i32_f32_e32 v19, v32
	v_cndmask_b32_e32 v9, 0, v9, vcc_lo
	v_cmp_ngt_f32_e32 vcc_lo, 0xc2ce8ed0, v6
	v_fmac_f32_e32 v31, 0x32a5705f, v7
	v_cvt_i32_f32_e32 v21, v34
	v_dual_cndmask_b32 v10, 0, v10 :: v_dual_fmac_f32 v27, 0x32a5705f, v8
	s_delay_alu instid0(VALU_DEP_3) | instskip(SKIP_1) | instid1(VALU_DEP_3)
	v_dual_add_f32 v14, v14, v31 :: v_dual_sub_f32 v11, v11, v26
	v_cmp_nlt_f32_e32 vcc_lo, 0x42b17218, v0
	v_dual_sub_f32 v13, v13, v30 :: v_dual_add_f32 v12, v12, v27
	v_cvt_i32_f32_e32 v26, v26
	v_cvt_i32_f32_e32 v30, v30
	v_cndmask_b32_e32 v0, 0x7f800000, v5, vcc_lo
	v_add_f32_e32 v11, v11, v25
	v_cmp_nlt_f32_e32 vcc_lo, 0x42b17218, v4
	v_sub_f32_e32 v15, v15, v34
	v_exp_f32_e32 v12, v12
	v_exp_f32_e32 v14, v14
	;; [unrolled: 1-line block ×3, first 2 shown]
	v_cndmask_b32_e32 v4, 0x7f800000, v9, vcc_lo
	v_cmp_ngt_f32_e32 vcc_lo, 0xc2ce8ed0, v1
	s_delay_alu instid0(VALU_DEP_2) | instskip(NEXT) | instid1(TRANS32_DEP_3)
	v_add_f32_e32 v9, v0, v4
	v_ldexp_f32 v12, v12, v28
	s_waitcnt_depctr 0xfff
	v_ldexp_f32 v14, v14, v19
	v_ldexp_f32 v11, v11, v26
	v_lshlrev_b32_e32 v19, 3, v17
	s_delay_alu instid0(VALU_DEP_2) | instskip(SKIP_4) | instid1(VALU_DEP_1)
	v_cndmask_b32_e32 v5, 0, v11, vcc_lo
	v_cmp_nlt_f32_e32 vcc_lo, 0x42b17218, v6
	v_cndmask_b32_e32 v6, 0x7f800000, v10, vcc_lo
	v_cmp_ngt_f32_e32 vcc_lo, 0xc2ce8ed0, v8
	v_dual_fmac_f32 v29, 0x32a5705f, v2 :: v_dual_cndmask_b32 v10, 0, v12
	v_add_f32_e32 v13, v13, v29
	v_cmp_nlt_f32_e32 vcc_lo, 0x42b17218, v1
	s_delay_alu instid0(VALU_DEP_2)
	v_exp_f32_e32 v13, v13
	v_cndmask_b32_e32 v1, 0x7f800000, v5, vcc_lo
	v_cmp_ngt_f32_e32 vcc_lo, 0xc2ce8ed0, v2
	v_add_f32_e32 v5, v9, v6
	s_waitcnt_depctr 0xfff
	v_ldexp_f32 v13, v13, v30
	s_delay_alu instid0(VALU_DEP_1) | instskip(SKIP_4) | instid1(VALU_DEP_1)
	v_cndmask_b32_e32 v9, 0, v13, vcc_lo
	v_cmp_nlt_f32_e32 vcc_lo, 0x42b17218, v8
	v_cndmask_b32_e32 v8, 0x7f800000, v10, vcc_lo
	v_cmp_ngt_f32_e32 vcc_lo, 0xc2ce8ed0, v7
	v_dual_fmac_f32 v33, 0x32a5705f, v3 :: v_dual_cndmask_b32 v10, 0, v14
	v_add_f32_e32 v15, v15, v33
	v_cmp_nlt_f32_e32 vcc_lo, 0x42b17218, v2
	s_delay_alu instid0(VALU_DEP_2) | instskip(SKIP_3) | instid1(VALU_DEP_2)
	v_exp_f32_e32 v15, v15
	v_cndmask_b32_e32 v2, 0x7f800000, v9, vcc_lo
	v_add_f32_e32 v5, v5, v1
	v_cmp_ngt_f32_e32 vcc_lo, 0xc2ce8ed0, v3
	v_add_f32_e32 v5, v5, v8
	s_waitcnt_depctr 0xfff
	v_ldexp_f32 v15, v15, v21
	v_add_f32_e32 v5, v5, v2
	s_delay_alu instid0(VALU_DEP_2) | instskip(SKIP_3) | instid1(VALU_DEP_2)
	v_cndmask_b32_e32 v9, 0, v15, vcc_lo
	v_cmp_nlt_f32_e32 vcc_lo, 0x42b17218, v7
	v_cndmask_b32_e32 v7, 0x7f800000, v10, vcc_lo
	v_cmp_nlt_f32_e32 vcc_lo, 0x42b17218, v3
	v_add_f32_e32 v5, v5, v7
	v_cndmask_b32_e32 v3, 0x7f800000, v9, vcc_lo
	s_delay_alu instid0(VALU_DEP_1) | instskip(SKIP_3) | instid1(VALU_DEP_1)
	v_add_f32_e32 v5, v5, v3
	ds_bpermute_b32 v9, v18, v5
	s_waitcnt lgkmcnt(0)
	v_add_f32_e32 v5, v5, v9
	v_div_scale_f32 v9, null, v5, v5, 1.0
	v_div_scale_f32 v12, vcc_lo, 1.0, v5, 1.0
	s_delay_alu instid0(VALU_DEP_2) | instskip(SKIP_2) | instid1(VALU_DEP_1)
	v_rcp_f32_e32 v10, v9
	s_waitcnt_depctr 0xfff
	v_fma_f32 v11, -v9, v10, 1.0
	v_fmac_f32_e32 v10, v11, v10
	s_delay_alu instid0(VALU_DEP_1) | instskip(NEXT) | instid1(VALU_DEP_1)
	v_mul_f32_e32 v11, v12, v10
	v_fma_f32 v13, -v9, v11, v12
	s_delay_alu instid0(VALU_DEP_1) | instskip(NEXT) | instid1(VALU_DEP_1)
	v_fmac_f32_e32 v11, v13, v10
	v_fma_f32 v9, -v9, v11, v12
	s_delay_alu instid0(VALU_DEP_1) | instskip(NEXT) | instid1(VALU_DEP_1)
	v_div_fmas_f32 v9, v9, v10, v11
	v_div_fixup_f32 v5, v9, v5, 1.0
	s_delay_alu instid0(VALU_DEP_1)
	v_mul_f32_e32 v0, v5, v0
	v_mul_f32_e32 v4, v5, v4
	;; [unrolled: 1-line block ×5, first 2 shown]
	v_cmp_class_f32_e64 vcc_lo, v0, 0x1f8
	v_mul_f32_e32 v10, v5, v2
	v_mul_f32_e32 v11, v5, v3
	v_dual_mul_f32 v7, v5, v7 :: v_dual_cndmask_b32 v0, 0, v0
	v_cmp_class_f32_e64 vcc_lo, v4, 0x1f8
	v_cndmask_b32_e32 v1, 0, v4, vcc_lo
	v_cmp_class_f32_e64 vcc_lo, v6, 0x1f8
	v_cndmask_b32_e32 v2, 0, v6, vcc_lo
	;; [unrolled: 2-line block ×7, first 2 shown]
	s_cbranch_scc1 .LBB136_19
; %bb.4:
	v_lshlrev_b32_e32 v12, 2, v19
	s_clause 0x1
	global_load_b128 v[8:11], v12, s[2:3]
	global_load_b128 v[12:15], v12, s[2:3] offset:16
	s_waitcnt vmcnt(1)
	v_dual_add_f32 v9, v9, v1 :: v_dual_add_f32 v8, v8, v0
	v_dual_add_f32 v11, v11, v3 :: v_dual_add_f32 v10, v10, v2
	s_waitcnt vmcnt(0)
	v_dual_add_f32 v13, v13, v5 :: v_dual_add_f32 v12, v12, v4
	v_dual_add_f32 v15, v15, v7 :: v_dual_add_f32 v14, v14, v6
	s_cbranch_execnz .LBB136_6
.LBB136_5:
	v_dual_mov_b32 v15, v7 :: v_dual_mov_b32 v14, v6
	v_dual_mov_b32 v13, v5 :: v_dual_mov_b32 v12, v4
	;; [unrolled: 1-line block ×4, first 2 shown]
.LBB136_6:
	s_load_b128 s[4:7], s[0:1], 0x30
	v_cmp_eq_u32_e64 s2, 0, v17
	s_waitcnt lgkmcnt(0)
	s_bitcmp1_b32 s7, 0
	s_mov_b32 s7, 0
	s_cselect_b32 vcc_lo, -1, 0
	s_cmp_gt_i32 s4, 0
	s_cselect_b32 s3, -1, 0
	s_cmp_lt_i32 s4, 1
	s_cbranch_scc1 .LBB136_20
; %bb.7:
	s_load_b128 s[8:11], s[0:1], 0x20
	v_mul_lo_u32 v21, v16, s4
	v_mov_b32_e32 v20, 0
	v_mov_b32_e32 v22, v16
	s_branch .LBB136_10
.LBB136_8:                              ;   in Loop: Header=BB136_10 Depth=1
	s_or_b32 exec_lo, exec_lo, s1
.LBB136_9:                              ;   in Loop: Header=BB136_10 Depth=1
	v_add_nc_u32_e32 v22, s14, v22
	s_cmp_eq_u32 s4, s7
	s_cbranch_scc1 .LBB136_21
.LBB136_10:                             ; =>This Inner Loop Header: Depth=1
	v_cmp_gt_f32_e64 s0, v9, v8
	s_mov_b32 s17, exec_lo
	s_delay_alu instid0(VALU_DEP_1) | instskip(SKIP_2) | instid1(VALU_DEP_3)
	v_cndmask_b32_e64 v23, v8, v9, s0
	v_cndmask_b32_e64 v24, 0, 1, s0
	v_cndmask_b32_e64 v25, v0, v1, s0
	v_cmp_gt_f32_e64 s1, v10, v23
	s_delay_alu instid0(VALU_DEP_1) | instskip(NEXT) | instid1(VALU_DEP_4)
	v_cndmask_b32_e64 v23, v23, v10, s1
	v_cndmask_b32_e64 v24, v24, 2, s1
	s_delay_alu instid0(VALU_DEP_4) | instskip(NEXT) | instid1(VALU_DEP_3)
	v_cndmask_b32_e64 v25, v25, v2, s1
	v_cmp_gt_f32_e64 s0, v11, v23
	s_delay_alu instid0(VALU_DEP_1) | instskip(NEXT) | instid1(VALU_DEP_4)
	v_cndmask_b32_e64 v23, v23, v11, s0
	v_cndmask_b32_e64 v24, v24, 3, s0
	s_delay_alu instid0(VALU_DEP_4) | instskip(NEXT) | instid1(VALU_DEP_3)
	v_cndmask_b32_e64 v25, v25, v3, s0
	;; [unrolled: 6-line block ×5, first 2 shown]
	v_cmp_gt_f32_e64 s0, v15, v23
	s_delay_alu instid0(VALU_DEP_1) | instskip(NEXT) | instid1(VALU_DEP_4)
	v_cndmask_b32_e64 v27, v23, v15, s0
	v_cndmask_b32_e64 v23, v24, 7, s0
	s_delay_alu instid0(VALU_DEP_4)
	v_cndmask_b32_e64 v24, v25, v7, s0
	ds_bpermute_b32 v28, v18, v27
	v_or_b32_e32 v23, v19, v23
	ds_bpermute_b32 v26, v18, v24
	ds_bpermute_b32 v25, v18, v23
	s_waitcnt lgkmcnt(0)
	v_cmp_lt_f32_e64 s16, v27, v28
	v_cmpx_nlt_f32_e32 v27, v28
	s_cbranch_execnz .LBB136_14
; %bb.11:                               ;   in Loop: Header=BB136_10 Depth=1
	s_or_b32 exec_lo, exec_lo, s17
	s_delay_alu instid0(VALU_DEP_2)
	s_and_saveexec_b32 s0, s16
	s_cbranch_execnz .LBB136_15
.LBB136_12:                             ;   in Loop: Header=BB136_10 Depth=1
	s_or_b32 exec_lo, exec_lo, s0
	s_and_saveexec_b32 s16, s2
	s_cbranch_execnz .LBB136_16
.LBB136_13:                             ;   in Loop: Header=BB136_10 Depth=1
	s_or_b32 exec_lo, exec_lo, s16
	s_add_i32 s7, s7, 1
	s_delay_alu instid0(SALU_CYCLE_1)
	s_cmp_ge_i32 s7, s4
	s_cbranch_scc1 .LBB136_9
	s_branch .LBB136_17
.LBB136_14:                             ;   in Loop: Header=BB136_10 Depth=1
	v_cmp_eq_f32_e64 s0, v27, v28
	v_cmp_lt_i32_e64 s1, v25, v23
	s_delay_alu instid0(VALU_DEP_1) | instskip(SKIP_2) | instid1(SALU_CYCLE_1)
	s_and_b32 s0, s0, s1
	s_and_not1_b32 s1, s16, exec_lo
	s_and_b32 s0, s0, exec_lo
	s_or_b32 s16, s1, s0
	s_or_b32 exec_lo, exec_lo, s17
	s_and_saveexec_b32 s0, s16
	s_cbranch_execz .LBB136_12
.LBB136_15:                             ;   in Loop: Header=BB136_10 Depth=1
	v_dual_mov_b32 v24, v26 :: v_dual_mov_b32 v23, v25
	s_or_b32 exec_lo, exec_lo, s0
	s_and_saveexec_b32 s16, s2
	s_cbranch_execz .LBB136_13
.LBB136_16:                             ;   in Loop: Header=BB136_10 Depth=1
	s_delay_alu instid0(VALU_DEP_1) | instskip(SKIP_3) | instid1(VALU_DEP_4)
	v_dual_add_f32 v32, v20, v24 :: v_dual_add_nc_u32 v25, s7, v21
	v_cmp_le_i32_e64 s0, s5, v23
	v_cmp_gt_i32_e64 s1, s6, v23
	v_subrev_nc_u32_e32 v27, s5, v23
	v_ashrrev_i32_e32 v26, 31, v25
	v_cndmask_b32_e32 v20, v20, v32, vcc_lo
	s_delay_alu instid0(VALU_DEP_4) | instskip(NEXT) | instid1(SALU_CYCLE_1)
	s_and_b32 s0, s0, s1
	s_and_b32 s0, s15, s0
	s_delay_alu instid0(VALU_DEP_2) | instskip(SKIP_1) | instid1(VALU_DEP_2)
	v_lshlrev_b64 v[25:26], 2, v[25:26]
	v_cndmask_b32_e64 v31, 16, v27, s0
	v_add_co_u32 v27, s0, s12, v25
	s_delay_alu instid0(VALU_DEP_1) | instskip(SKIP_1) | instid1(VALU_DEP_1)
	v_add_co_ci_u32_e64 v28, s0, s13, v26, s0
	v_add_co_u32 v29, s0, s8, v25
	v_add_co_ci_u32_e64 v30, s0, s9, v26, s0
	v_add_co_u32 v25, s0, s10, v25
	s_delay_alu instid0(VALU_DEP_1)
	v_add_co_ci_u32_e64 v26, s0, s11, v26, s0
	global_store_b32 v[27:28], v24, off
	global_store_b32 v[29:30], v31, off
	;; [unrolled: 1-line block ×3, first 2 shown]
	s_or_b32 exec_lo, exec_lo, s16
	s_add_i32 s7, s7, 1
	s_delay_alu instid0(SALU_CYCLE_1)
	s_cmp_ge_i32 s7, s4
	s_cbranch_scc1 .LBB136_9
.LBB136_17:                             ;   in Loop: Header=BB136_10 Depth=1
	v_ashrrev_i32_e32 v25, 31, v23
	s_mov_b32 s1, exec_lo
	s_delay_alu instid0(VALU_DEP_1) | instskip(NEXT) | instid1(VALU_DEP_1)
	v_lshrrev_b32_e32 v24, 29, v25
	v_add_nc_u32_e32 v26, v23, v24
	s_delay_alu instid0(VALU_DEP_1) | instskip(SKIP_1) | instid1(VALU_DEP_1)
	v_ashrrev_i32_e32 v24, 3, v26
	v_lshrrev_b32_e32 v26, 31, v26
	v_add_nc_u32_e32 v26, v24, v26
	s_delay_alu instid0(VALU_DEP_1) | instskip(NEXT) | instid1(VALU_DEP_1)
	v_and_b32_e32 v26, -2, v26
	v_sub_nc_u32_e32 v26, v24, v26
	s_delay_alu instid0(VALU_DEP_1)
	v_cmpx_eq_u32_e64 v17, v26
	s_cbranch_execz .LBB136_8
; %bb.18:                               ;   in Loop: Header=BB136_10 Depth=1
	v_lshrrev_b32_e32 v25, 28, v25
	v_lshlrev_b32_e32 v24, 3, v24
	s_delay_alu instid0(VALU_DEP_2) | instskip(NEXT) | instid1(VALU_DEP_2)
	v_add_nc_u32_e32 v25, v23, v25
	v_sub_nc_u32_e32 v23, v23, v24
	s_delay_alu instid0(VALU_DEP_2) | instskip(NEXT) | instid1(VALU_DEP_1)
	v_ashrrev_i32_e32 v24, 4, v25
	v_lshl_add_u32 v23, v24, 3, v23
	s_delay_alu instid0(VALU_DEP_1) | instskip(NEXT) | instid1(VALU_DEP_1)
	v_cmp_ne_u32_e64 s0, 7, v23
	v_cndmask_b32_e64 v15, 0xc61c4000, v15, s0
	v_cmp_ne_u32_e64 s0, 6, v23
	s_delay_alu instid0(VALU_DEP_1) | instskip(SKIP_1) | instid1(VALU_DEP_1)
	v_cndmask_b32_e64 v14, 0xc61c4000, v14, s0
	v_cmp_ne_u32_e64 s0, 5, v23
	v_cndmask_b32_e64 v13, 0xc61c4000, v13, s0
	v_cmp_ne_u32_e64 s0, 4, v23
	s_delay_alu instid0(VALU_DEP_1) | instskip(SKIP_1) | instid1(VALU_DEP_1)
	v_cndmask_b32_e64 v12, 0xc61c4000, v12, s0
	;; [unrolled: 5-line block ×3, first 2 shown]
	v_cmp_ne_u32_e64 s0, 1, v23
	v_cndmask_b32_e64 v9, 0xc61c4000, v9, s0
	v_cmp_ne_u32_e64 s0, 0, v23
	s_delay_alu instid0(VALU_DEP_1)
	v_cndmask_b32_e64 v8, 0xc61c4000, v8, s0
	s_branch .LBB136_8
.LBB136_19:
                                        ; implicit-def: $vgpr8_vgpr9_vgpr10_vgpr11_vgpr12_vgpr13_vgpr14_vgpr15
	s_and_not1_b32 vcc_lo, exec_lo, s8
	s_cbranch_vccz .LBB136_5
	s_branch .LBB136_6
.LBB136_20:
	v_mov_b32_e32 v20, 0
.LBB136_21:
	v_cmp_eq_u32_e64 s0, 0, v17
	s_delay_alu instid0(VALU_DEP_1) | instskip(NEXT) | instid1(SALU_CYCLE_1)
	s_and_b32 s0, s0, vcc_lo
	s_and_b32 exec_lo, exec_lo, s0
	s_cbranch_execz .LBB136_25
; %bb.22:
	s_and_not1_b32 vcc_lo, exec_lo, s3
	s_cbranch_vccnz .LBB136_25
; %bb.23:
	v_mul_lo_u32 v0, v16, s4
	v_cmp_lt_f32_e32 vcc_lo, 0, v20
	v_cndmask_b32_e32 v2, 1.0, v20, vcc_lo
	s_delay_alu instid0(VALU_DEP_3) | instskip(NEXT) | instid1(VALU_DEP_1)
	v_ashrrev_i32_e32 v1, 31, v0
	v_lshlrev_b64 v[0:1], 2, v[0:1]
	s_delay_alu instid0(VALU_DEP_1) | instskip(NEXT) | instid1(VALU_DEP_2)
	v_add_co_u32 v0, vcc_lo, s12, v0
	v_add_co_ci_u32_e32 v1, vcc_lo, s13, v1, vcc_lo
	.p2align	6
.LBB136_24:                             ; =>This Inner Loop Header: Depth=1
	global_load_b32 v3, v[0:1], off
	s_add_i32 s4, s4, -1
	s_delay_alu instid0(SALU_CYCLE_1) | instskip(SKIP_3) | instid1(VALU_DEP_2)
	s_cmp_lg_u32 s4, 0
	s_waitcnt vmcnt(0)
	v_div_scale_f32 v4, null, v2, v2, v3
	v_div_scale_f32 v7, vcc_lo, v3, v2, v3
	v_rcp_f32_e32 v5, v4
	s_waitcnt_depctr 0xfff
	v_fma_f32 v6, -v4, v5, 1.0
	s_delay_alu instid0(VALU_DEP_1) | instskip(NEXT) | instid1(VALU_DEP_1)
	v_fmac_f32_e32 v5, v6, v5
	v_mul_f32_e32 v6, v7, v5
	s_delay_alu instid0(VALU_DEP_1) | instskip(NEXT) | instid1(VALU_DEP_1)
	v_fma_f32 v8, -v4, v6, v7
	v_fmac_f32_e32 v6, v8, v5
	s_delay_alu instid0(VALU_DEP_1) | instskip(NEXT) | instid1(VALU_DEP_1)
	v_fma_f32 v4, -v4, v6, v7
	v_div_fmas_f32 v4, v4, v5, v6
	s_delay_alu instid0(VALU_DEP_1)
	v_div_fixup_f32 v3, v4, v2, v3
	global_store_b32 v[0:1], v3, off
	v_add_co_u32 v0, vcc_lo, v0, 4
	v_add_co_ci_u32_e32 v1, vcc_lo, 0, v1, vcc_lo
	s_cbranch_scc1 .LBB136_24
.LBB136_25:
	s_nop 0
	s_sendmsg sendmsg(MSG_DEALLOC_VGPRS)
	s_endpgm
	.section	.rodata,"a",@progbits
	.p2align	6, 0x0
	.amdhsa_kernel _ZN4vllm3moe10topkGatingILi8ELi16ELi4ELi16ELi32Ei14__hip_bfloat16LNS0_11ScoringFuncE0EEEvPKT5_PKbPfiPT4_PiiiibPKf
		.amdhsa_group_segment_fixed_size 0
		.amdhsa_private_segment_fixed_size 0
		.amdhsa_kernarg_size 72
		.amdhsa_user_sgpr_count 15
		.amdhsa_user_sgpr_dispatch_ptr 0
		.amdhsa_user_sgpr_queue_ptr 0
		.amdhsa_user_sgpr_kernarg_segment_ptr 1
		.amdhsa_user_sgpr_dispatch_id 0
		.amdhsa_user_sgpr_private_segment_size 0
		.amdhsa_wavefront_size32 1
		.amdhsa_uses_dynamic_stack 0
		.amdhsa_enable_private_segment 0
		.amdhsa_system_sgpr_workgroup_id_x 1
		.amdhsa_system_sgpr_workgroup_id_y 0
		.amdhsa_system_sgpr_workgroup_id_z 0
		.amdhsa_system_sgpr_workgroup_info 0
		.amdhsa_system_vgpr_workitem_id 1
		.amdhsa_next_free_vgpr 35
		.amdhsa_next_free_sgpr 18
		.amdhsa_reserve_vcc 1
		.amdhsa_float_round_mode_32 0
		.amdhsa_float_round_mode_16_64 0
		.amdhsa_float_denorm_mode_32 3
		.amdhsa_float_denorm_mode_16_64 3
		.amdhsa_dx10_clamp 1
		.amdhsa_ieee_mode 1
		.amdhsa_fp16_overflow 0
		.amdhsa_workgroup_processor_mode 1
		.amdhsa_memory_ordered 1
		.amdhsa_forward_progress 0
		.amdhsa_shared_vgpr_count 0
		.amdhsa_exception_fp_ieee_invalid_op 0
		.amdhsa_exception_fp_denorm_src 0
		.amdhsa_exception_fp_ieee_div_zero 0
		.amdhsa_exception_fp_ieee_overflow 0
		.amdhsa_exception_fp_ieee_underflow 0
		.amdhsa_exception_fp_ieee_inexact 0
		.amdhsa_exception_int_div_zero 0
	.end_amdhsa_kernel
	.section	.text._ZN4vllm3moe10topkGatingILi8ELi16ELi4ELi16ELi32Ei14__hip_bfloat16LNS0_11ScoringFuncE0EEEvPKT5_PKbPfiPT4_PiiiibPKf,"axG",@progbits,_ZN4vllm3moe10topkGatingILi8ELi16ELi4ELi16ELi32Ei14__hip_bfloat16LNS0_11ScoringFuncE0EEEvPKT5_PKbPfiPT4_PiiiibPKf,comdat
.Lfunc_end136:
	.size	_ZN4vllm3moe10topkGatingILi8ELi16ELi4ELi16ELi32Ei14__hip_bfloat16LNS0_11ScoringFuncE0EEEvPKT5_PKbPfiPT4_PiiiibPKf, .Lfunc_end136-_ZN4vllm3moe10topkGatingILi8ELi16ELi4ELi16ELi32Ei14__hip_bfloat16LNS0_11ScoringFuncE0EEEvPKT5_PKbPfiPT4_PiiiibPKf
                                        ; -- End function
	.section	.AMDGPU.csdata,"",@progbits
; Kernel info:
; codeLenInByte = 2836
; NumSgprs: 20
; NumVgprs: 35
; ScratchSize: 0
; MemoryBound: 0
; FloatMode: 240
; IeeeMode: 1
; LDSByteSize: 0 bytes/workgroup (compile time only)
; SGPRBlocks: 2
; VGPRBlocks: 4
; NumSGPRsForWavesPerEU: 20
; NumVGPRsForWavesPerEU: 35
; Occupancy: 16
; WaveLimiterHint : 0
; COMPUTE_PGM_RSRC2:SCRATCH_EN: 0
; COMPUTE_PGM_RSRC2:USER_SGPR: 15
; COMPUTE_PGM_RSRC2:TRAP_HANDLER: 0
; COMPUTE_PGM_RSRC2:TGID_X_EN: 1
; COMPUTE_PGM_RSRC2:TGID_Y_EN: 0
; COMPUTE_PGM_RSRC2:TGID_Z_EN: 0
; COMPUTE_PGM_RSRC2:TIDIG_COMP_CNT: 1
	.section	.text._ZN4vllm3moe10topkGatingILi8ELi32ELi4ELi16ELi64Ei14__hip_bfloat16LNS0_11ScoringFuncE0EEEvPKT5_PKbPfiPT4_PiiiibPKf,"axG",@progbits,_ZN4vllm3moe10topkGatingILi8ELi32ELi4ELi16ELi64Ei14__hip_bfloat16LNS0_11ScoringFuncE0EEEvPKT5_PKbPfiPT4_PiiiibPKf,comdat
	.protected	_ZN4vllm3moe10topkGatingILi8ELi32ELi4ELi16ELi64Ei14__hip_bfloat16LNS0_11ScoringFuncE0EEEvPKT5_PKbPfiPT4_PiiiibPKf ; -- Begin function _ZN4vllm3moe10topkGatingILi8ELi32ELi4ELi16ELi64Ei14__hip_bfloat16LNS0_11ScoringFuncE0EEEvPKT5_PKbPfiPT4_PiiiibPKf
	.globl	_ZN4vllm3moe10topkGatingILi8ELi32ELi4ELi16ELi64Ei14__hip_bfloat16LNS0_11ScoringFuncE0EEEvPKT5_PKbPfiPT4_PiiiibPKf
	.p2align	8
	.type	_ZN4vllm3moe10topkGatingILi8ELi32ELi4ELi16ELi64Ei14__hip_bfloat16LNS0_11ScoringFuncE0EEEvPKT5_PKbPfiPT4_PiiiibPKf,@function
_ZN4vllm3moe10topkGatingILi8ELi32ELi4ELi16ELi64Ei14__hip_bfloat16LNS0_11ScoringFuncE0EEEvPKT5_PKbPfiPT4_PiiiibPKf: ; @_ZN4vllm3moe10topkGatingILi8ELi32ELi4ELi16ELi64Ei14__hip_bfloat16LNS0_11ScoringFuncE0EEEvPKT5_PKbPfiPT4_PiiiibPKf
; %bb.0:
	s_load_b32 s14, s[0:1], 0x18
	v_bfe_u32 v1, v0, 10, 10
	v_and_b32_e32 v0, 0x3ff, v0
	s_lshl_b32 s2, s15, 6
	s_delay_alu instid0(VALU_DEP_2) | instskip(NEXT) | instid1(VALU_DEP_2)
	v_lshlrev_b32_e32 v1, 4, v1
	v_lshrrev_b32_e32 v2, 2, v0
	s_delay_alu instid0(VALU_DEP_1) | instskip(SKIP_2) | instid1(VALU_DEP_1)
	v_add3_u32 v16, s2, v1, v2
	s_mov_b32 s2, exec_lo
	s_waitcnt lgkmcnt(0)
	v_cmpx_gt_i32_e64 s14, v16
	s_cbranch_execz .LBB137_29
; %bb.1:
	s_clause 0x1
	s_load_b128 s[4:7], s[0:1], 0x0
	s_load_b64 s[12:13], s[0:1], 0x10
	s_mov_b32 s8, -1
	s_mov_b32 s15, -1
	s_waitcnt lgkmcnt(0)
	s_cmp_eq_u64 s[6:7], 0
	s_cbranch_scc1 .LBB137_3
; %bb.2:
	v_ashrrev_i32_e32 v2, 31, v16
	v_add_co_u32 v1, vcc_lo, s6, v16
	s_delay_alu instid0(VALU_DEP_2) | instskip(SKIP_3) | instid1(VALU_DEP_1)
	v_add_co_ci_u32_e32 v2, vcc_lo, s7, v2, vcc_lo
	global_load_u8 v1, v[1:2], off
	s_waitcnt vmcnt(0)
	v_and_b32_e32 v1, 1, v1
	v_cmp_eq_u32_e32 vcc_lo, 1, v1
	s_xor_b32 s2, vcc_lo, -1
	s_delay_alu instid0(SALU_CYCLE_1)
	s_or_not1_b32 s15, s2, exec_lo
.LBB137_3:
	v_lshlrev_b32_e32 v1, 5, v16
	v_and_b32_e32 v17, 3, v0
	v_mbcnt_lo_u32_b32 v5, -1, 0
	s_load_b64 s[2:3], s[0:1], 0x40
	s_delay_alu instid0(VALU_DEP_3) | instskip(NEXT) | instid1(VALU_DEP_2)
	v_ashrrev_i32_e32 v2, 31, v1
	v_xor_b32_e32 v9, 2, v5
	v_xor_b32_e32 v12, 1, v5
	v_and_b32_e32 v8, 28, v5
	s_delay_alu instid0(VALU_DEP_4) | instskip(SKIP_1) | instid1(VALU_DEP_2)
	v_lshlrev_b64 v[0:1], 1, v[1:2]
	v_lshlrev_b32_e32 v2, 4, v17
	v_add_co_u32 v0, vcc_lo, s4, v0
	s_delay_alu instid0(VALU_DEP_3) | instskip(NEXT) | instid1(VALU_DEP_2)
	v_add_co_ci_u32_e32 v1, vcc_lo, s5, v1, vcc_lo
	v_add_co_u32 v0, vcc_lo, v0, v2
	s_delay_alu instid0(VALU_DEP_2)
	v_add_co_ci_u32_e32 v1, vcc_lo, 0, v1, vcc_lo
	s_waitcnt lgkmcnt(0)
	s_cmp_eq_u64 s[2:3], 0
	global_load_b128 v[0:3], v[0:1], off
	s_waitcnt vmcnt(0)
	v_and_b32_e32 v4, 0xffff0000, v0
	v_lshlrev_b32_e32 v0, 16, v0
	v_lshlrev_b32_e32 v10, 16, v1
	s_delay_alu instid0(VALU_DEP_3) | instskip(NEXT) | instid1(VALU_DEP_3)
	v_dual_max_f32 v6, v4, v4 :: v_dual_and_b32 v1, 0xffff0000, v1
	v_max_f32_e32 v7, v0, v0
	s_delay_alu instid0(VALU_DEP_1) | instskip(SKIP_2) | instid1(VALU_DEP_3)
	v_dual_max_f32 v6, v7, v6 :: v_dual_add_nc_u32 v7, 4, v8
	v_lshlrev_b32_e32 v8, 16, v2
	v_and_b32_e32 v2, 0xffff0000, v2
	v_max3_f32 v6, v6, v10, v1
	s_delay_alu instid0(VALU_DEP_4) | instskip(NEXT) | instid1(VALU_DEP_2)
	v_cmp_lt_i32_e32 vcc_lo, v9, v7
	v_max3_f32 v6, v6, v8, v2
	v_cndmask_b32_e32 v9, v5, v9, vcc_lo
	v_lshlrev_b32_e32 v11, 16, v3
	v_and_b32_e32 v3, 0xffff0000, v3
	v_cmp_lt_i32_e32 vcc_lo, v12, v7
	s_delay_alu instid0(VALU_DEP_4) | instskip(NEXT) | instid1(VALU_DEP_3)
	v_lshlrev_b32_e32 v18, 2, v9
	v_max3_f32 v6, v6, v11, v3
	v_cndmask_b32_e32 v5, v5, v12, vcc_lo
	ds_bpermute_b32 v9, v18, v6
	v_lshlrev_b32_e32 v19, 2, v5
	s_waitcnt lgkmcnt(0)
	v_max_f32_e32 v7, v9, v9
	s_delay_alu instid0(VALU_DEP_1) | instskip(SKIP_3) | instid1(VALU_DEP_1)
	v_max_f32_e32 v5, v6, v7
	ds_bpermute_b32 v6, v19, v5
	s_waitcnt lgkmcnt(0)
	v_max_f32_e32 v6, v6, v6
	v_max_f32_e32 v5, v5, v6
	s_delay_alu instid0(VALU_DEP_1)
	v_sub_f32_e32 v0, v0, v5
	v_sub_f32_e32 v4, v4, v5
	;; [unrolled: 1-line block ×6, first 2 shown]
	v_dual_sub_f32 v8, v11, v5 :: v_dual_mul_f32 v9, 0x3fb8aa3b, v4
	s_delay_alu instid0(VALU_DEP_3) | instskip(SKIP_1) | instid1(VALU_DEP_3)
	v_dual_sub_f32 v3, v3, v5 :: v_dual_mul_f32 v12, 0x3fb8aa3b, v7
	v_dual_mul_f32 v5, 0x3fb8aa3b, v0 :: v_dual_mul_f32 v10, 0x3fb8aa3b, v6
	v_dual_mul_f32 v11, 0x3fb8aa3b, v1 :: v_dual_mul_f32 v14, 0x3fb8aa3b, v8
	s_delay_alu instid0(VALU_DEP_4) | instskip(NEXT) | instid1(VALU_DEP_3)
	v_fma_f32 v22, 0x3fb8aa3b, v4, -v9
	v_fma_f32 v20, 0x3fb8aa3b, v0, -v5
	v_rndne_f32_e32 v21, v5
	v_rndne_f32_e32 v23, v9
	;; [unrolled: 1-line block ×3, first 2 shown]
	v_mul_f32_e32 v13, 0x3fb8aa3b, v2
	v_fma_f32 v28, 0x3fb8aa3b, v7, -v12
	v_dual_fmac_f32 v20, 0x32a5705f, v0 :: v_dual_sub_f32 v5, v5, v21
	v_fma_f32 v24, 0x3fb8aa3b, v6, -v10
	v_fma_f32 v26, 0x3fb8aa3b, v1, -v11
	v_rndne_f32_e32 v29, v12
	v_mul_f32_e32 v15, 0x3fb8aa3b, v3
	v_fma_f32 v32, 0x3fb8aa3b, v8, -v14
	v_dual_fmac_f32 v22, 0x32a5705f, v4 :: v_dual_sub_f32 v9, v9, v23
	v_sub_f32_e32 v10, v10, v25
	v_fma_f32 v30, 0x3fb8aa3b, v2, -v13
	v_rndne_f32_e32 v31, v13
	v_dual_fmac_f32 v28, 0x32a5705f, v7 :: v_dual_add_f32 v5, v5, v20
	v_rndne_f32_e32 v27, v11
	v_fmac_f32_e32 v24, 0x32a5705f, v6
	s_delay_alu instid0(VALU_DEP_4)
	v_dual_fmac_f32 v26, 0x32a5705f, v1 :: v_dual_sub_f32 v13, v13, v31
	v_sub_f32_e32 v12, v12, v29
	v_fma_f32 v34, 0x3fb8aa3b, v3, -v15
	v_rndne_f32_e32 v35, v15
	v_fmac_f32_e32 v30, 0x32a5705f, v2
	v_dual_fmac_f32 v32, 0x32a5705f, v8 :: v_dual_add_f32 v9, v9, v22
	v_exp_f32_e32 v5, v5
	v_rndne_f32_e32 v33, v14
	v_cvt_i32_f32_e32 v21, v21
	v_sub_f32_e32 v11, v11, v27
	v_sub_f32_e32 v15, v15, v35
	v_dual_fmac_f32 v34, 0x32a5705f, v3 :: v_dual_add_f32 v13, v13, v30
	v_add_f32_e32 v10, v10, v24
	v_exp_f32_e32 v9, v9
	v_cvt_i32_f32_e32 v23, v23
	s_delay_alu instid0(VALU_DEP_3)
	v_dual_add_f32 v15, v15, v34 :: v_dual_sub_f32 v14, v14, v33
	v_add_f32_e32 v11, v11, v26
	v_exp_f32_e32 v10, v10
	v_ldexp_f32 v5, v5, v21
	v_cmp_ngt_f32_e32 vcc_lo, 0xc2ce8ed0, v0
	v_cvt_i32_f32_e32 v25, v25
	v_add_f32_e32 v12, v12, v28
	v_exp_f32_e32 v11, v11
	v_ldexp_f32 v9, v9, v23
	v_cndmask_b32_e32 v5, 0, v5, vcc_lo
	v_cmp_ngt_f32_e32 vcc_lo, 0xc2ce8ed0, v4
	v_cvt_i32_f32_e32 v27, v27
	v_add_f32_e32 v14, v14, v32
	v_ldexp_f32 v10, v10, v25
	v_exp_f32_e32 v12, v12
	v_cndmask_b32_e32 v9, 0, v9, vcc_lo
	v_cmp_ngt_f32_e32 vcc_lo, 0xc2ce8ed0, v6
	v_ldexp_f32 v11, v11, v27
	v_cvt_i32_f32_e32 v29, v29
	v_exp_f32_e32 v13, v13
	v_cvt_i32_f32_e32 v31, v31
	v_cndmask_b32_e32 v10, 0, v10, vcc_lo
	v_cmp_nlt_f32_e32 vcc_lo, 0x42b17218, v0
	v_exp_f32_e32 v14, v14
	v_ldexp_f32 v12, v12, v29
	v_cvt_i32_f32_e32 v20, v33
	v_exp_f32_e32 v15, v15
	v_cndmask_b32_e32 v0, 0x7f800000, v5, vcc_lo
	v_cmp_nlt_f32_e32 vcc_lo, 0x42b17218, v4
	v_ldexp_f32 v13, v13, v31
	v_cvt_i32_f32_e32 v22, v35
	v_cndmask_b32_e32 v4, 0x7f800000, v9, vcc_lo
	v_cmp_ngt_f32_e32 vcc_lo, 0xc2ce8ed0, v1
	v_ldexp_f32 v14, v14, v20
	s_delay_alu instid0(TRANS32_DEP_1) | instid1(VALU_DEP_4)
	v_ldexp_f32 v15, v15, v22
	s_delay_alu instid0(VALU_DEP_4)
	v_dual_add_f32 v9, v0, v4 :: v_dual_lshlrev_b32 v20, 3, v17
	v_cndmask_b32_e32 v5, 0, v11, vcc_lo
	v_cmp_nlt_f32_e32 vcc_lo, 0x42b17218, v6
	v_cndmask_b32_e32 v6, 0x7f800000, v10, vcc_lo
	v_cmp_ngt_f32_e32 vcc_lo, 0xc2ce8ed0, v7
	v_cndmask_b32_e32 v10, 0, v12, vcc_lo
	v_cmp_nlt_f32_e32 vcc_lo, 0x42b17218, v1
	v_cndmask_b32_e32 v1, 0x7f800000, v5, vcc_lo
	v_cmp_ngt_f32_e32 vcc_lo, 0xc2ce8ed0, v2
	v_add_f32_e32 v5, v9, v6
	v_cndmask_b32_e32 v9, 0, v13, vcc_lo
	v_cmp_nlt_f32_e32 vcc_lo, 0x42b17218, v7
	v_cndmask_b32_e32 v7, 0x7f800000, v10, vcc_lo
	v_cmp_ngt_f32_e32 vcc_lo, 0xc2ce8ed0, v8
	v_dual_add_f32 v5, v5, v1 :: v_dual_cndmask_b32 v10, 0, v14
	v_cmp_nlt_f32_e32 vcc_lo, 0x42b17218, v2
	s_delay_alu instid0(VALU_DEP_2) | instskip(SKIP_1) | instid1(VALU_DEP_2)
	v_dual_add_f32 v5, v5, v7 :: v_dual_cndmask_b32 v2, 0x7f800000, v9
	v_cmp_ngt_f32_e32 vcc_lo, 0xc2ce8ed0, v3
	v_add_f32_e32 v5, v5, v2
	v_cndmask_b32_e32 v9, 0, v15, vcc_lo
	v_cmp_nlt_f32_e32 vcc_lo, 0x42b17218, v8
	v_cndmask_b32_e32 v8, 0x7f800000, v10, vcc_lo
	v_cmp_nlt_f32_e32 vcc_lo, 0x42b17218, v3
	s_delay_alu instid0(VALU_DEP_2) | instskip(SKIP_1) | instid1(VALU_DEP_1)
	v_add_f32_e32 v5, v5, v8
	v_cndmask_b32_e32 v3, 0x7f800000, v9, vcc_lo
	v_add_f32_e32 v5, v5, v3
	ds_bpermute_b32 v9, v18, v5
	s_waitcnt lgkmcnt(0)
	v_add_f32_e32 v5, v5, v9
	ds_bpermute_b32 v9, v19, v5
	s_waitcnt lgkmcnt(0)
	v_add_f32_e32 v5, v5, v9
	s_delay_alu instid0(VALU_DEP_1) | instskip(SKIP_1) | instid1(VALU_DEP_2)
	v_div_scale_f32 v9, null, v5, v5, 1.0
	v_div_scale_f32 v12, vcc_lo, 1.0, v5, 1.0
	v_rcp_f32_e32 v10, v9
	s_waitcnt_depctr 0xfff
	v_fma_f32 v11, -v9, v10, 1.0
	s_delay_alu instid0(VALU_DEP_1) | instskip(NEXT) | instid1(VALU_DEP_1)
	v_fmac_f32_e32 v10, v11, v10
	v_mul_f32_e32 v11, v12, v10
	s_delay_alu instid0(VALU_DEP_1) | instskip(NEXT) | instid1(VALU_DEP_1)
	v_fma_f32 v13, -v9, v11, v12
	v_fmac_f32_e32 v11, v13, v10
	s_delay_alu instid0(VALU_DEP_1) | instskip(NEXT) | instid1(VALU_DEP_1)
	v_fma_f32 v9, -v9, v11, v12
	v_div_fmas_f32 v9, v9, v10, v11
	s_delay_alu instid0(VALU_DEP_1) | instskip(NEXT) | instid1(VALU_DEP_1)
	v_div_fixup_f32 v5, v9, v5, 1.0
	v_mul_f32_e32 v0, v5, v0
	v_mul_f32_e32 v4, v5, v4
	;; [unrolled: 1-line block ×5, first 2 shown]
	v_cmp_class_f32_e64 vcc_lo, v0, 0x1f8
	v_mul_f32_e32 v11, v5, v3
	v_mul_f32_e32 v8, v5, v8
	v_cndmask_b32_e32 v0, 0, v0, vcc_lo
	v_cmp_class_f32_e64 vcc_lo, v4, 0x1f8
	v_dual_mul_f32 v6, v5, v6 :: v_dual_cndmask_b32 v1, 0, v4
	s_delay_alu instid0(VALU_DEP_1)
	v_cmp_class_f32_e64 vcc_lo, v6, 0x1f8
	v_cndmask_b32_e32 v2, 0, v6, vcc_lo
	v_cmp_class_f32_e64 vcc_lo, v9, 0x1f8
	v_cndmask_b32_e32 v3, 0, v9, vcc_lo
	;; [unrolled: 2-line block ×6, first 2 shown]
	s_cbranch_scc1 .LBB137_23
; %bb.4:
	v_lshlrev_b32_e32 v12, 2, v20
	s_clause 0x1
	global_load_b128 v[8:11], v12, s[2:3]
	global_load_b128 v[12:15], v12, s[2:3] offset:16
	s_waitcnt vmcnt(1)
	v_dual_add_f32 v9, v9, v1 :: v_dual_add_f32 v8, v8, v0
	v_dual_add_f32 v11, v11, v3 :: v_dual_add_f32 v10, v10, v2
	s_waitcnt vmcnt(0)
	v_dual_add_f32 v13, v13, v5 :: v_dual_add_f32 v12, v12, v4
	v_dual_add_f32 v15, v15, v7 :: v_dual_add_f32 v14, v14, v6
	s_cbranch_execnz .LBB137_6
.LBB137_5:
	v_dual_mov_b32 v15, v7 :: v_dual_mov_b32 v14, v6
	v_dual_mov_b32 v13, v5 :: v_dual_mov_b32 v12, v4
	;; [unrolled: 1-line block ×4, first 2 shown]
.LBB137_6:
	s_load_b128 s[4:7], s[0:1], 0x30
	v_cmp_eq_u32_e64 s2, 0, v17
	s_waitcnt lgkmcnt(0)
	s_bitcmp1_b32 s7, 0
	s_mov_b32 s7, 0
	s_cselect_b32 vcc_lo, -1, 0
	s_cmp_gt_i32 s4, 0
	s_cselect_b32 s3, -1, 0
	s_cmp_lt_i32 s4, 1
	s_cbranch_scc1 .LBB137_24
; %bb.7:
	s_load_b128 s[8:11], s[0:1], 0x20
	v_mul_lo_u32 v22, v16, s4
	v_mov_b32_e32 v21, 0
	v_mov_b32_e32 v23, v16
	s_branch .LBB137_10
.LBB137_8:                              ;   in Loop: Header=BB137_10 Depth=1
	s_or_b32 exec_lo, exec_lo, s1
.LBB137_9:                              ;   in Loop: Header=BB137_10 Depth=1
	v_add_nc_u32_e32 v23, s14, v23
	s_cmp_eq_u32 s4, s7
	s_cbranch_scc1 .LBB137_25
.LBB137_10:                             ; =>This Inner Loop Header: Depth=1
	v_cmp_gt_f32_e64 s0, v9, v8
	s_mov_b32 s17, exec_lo
	s_delay_alu instid0(VALU_DEP_1) | instskip(SKIP_2) | instid1(VALU_DEP_3)
	v_cndmask_b32_e64 v24, v8, v9, s0
	v_cndmask_b32_e64 v25, 0, 1, s0
	;; [unrolled: 1-line block ×3, first 2 shown]
	v_cmp_gt_f32_e64 s1, v10, v24
	s_delay_alu instid0(VALU_DEP_1) | instskip(NEXT) | instid1(VALU_DEP_4)
	v_cndmask_b32_e64 v24, v24, v10, s1
	v_cndmask_b32_e64 v25, v25, 2, s1
	s_delay_alu instid0(VALU_DEP_4) | instskip(NEXT) | instid1(VALU_DEP_3)
	v_cndmask_b32_e64 v26, v26, v2, s1
	v_cmp_gt_f32_e64 s0, v11, v24
	s_delay_alu instid0(VALU_DEP_1) | instskip(NEXT) | instid1(VALU_DEP_4)
	v_cndmask_b32_e64 v24, v24, v11, s0
	v_cndmask_b32_e64 v25, v25, 3, s0
	s_delay_alu instid0(VALU_DEP_4) | instskip(NEXT) | instid1(VALU_DEP_3)
	v_cndmask_b32_e64 v26, v26, v3, s0
	v_cmp_gt_f32_e64 s1, v12, v24
	s_delay_alu instid0(VALU_DEP_1) | instskip(NEXT) | instid1(VALU_DEP_4)
	v_cndmask_b32_e64 v24, v24, v12, s1
	v_cndmask_b32_e64 v25, v25, 4, s1
	s_delay_alu instid0(VALU_DEP_4) | instskip(NEXT) | instid1(VALU_DEP_3)
	v_cndmask_b32_e64 v26, v26, v4, s1
	v_cmp_gt_f32_e64 s0, v13, v24
	s_delay_alu instid0(VALU_DEP_1) | instskip(NEXT) | instid1(VALU_DEP_4)
	v_cndmask_b32_e64 v24, v24, v13, s0
	v_cndmask_b32_e64 v25, v25, 5, s0
	s_delay_alu instid0(VALU_DEP_4) | instskip(NEXT) | instid1(VALU_DEP_3)
	v_cndmask_b32_e64 v26, v26, v5, s0
	v_cmp_gt_f32_e64 s1, v14, v24
	s_delay_alu instid0(VALU_DEP_1) | instskip(NEXT) | instid1(VALU_DEP_4)
	v_cndmask_b32_e64 v24, v24, v14, s1
	v_cndmask_b32_e64 v25, v25, 6, s1
	s_waitcnt lgkmcnt(0)
	v_cndmask_b32_e64 v27, v26, v6, s1
	s_delay_alu instid0(VALU_DEP_3) | instskip(NEXT) | instid1(VALU_DEP_1)
	v_cmp_gt_f32_e64 s0, v15, v24
	v_cndmask_b32_e64 v26, v24, v15, s0
	v_cndmask_b32_e64 v24, v25, 7, s0
	s_delay_alu instid0(VALU_DEP_4)
	v_cndmask_b32_e64 v25, v27, v7, s0
	ds_bpermute_b32 v27, v18, v26
	v_or_b32_e32 v24, v20, v24
	ds_bpermute_b32 v29, v18, v25
	ds_bpermute_b32 v28, v18, v24
	s_waitcnt lgkmcnt(0)
	v_cmp_lt_f32_e64 s16, v26, v27
	v_cmpx_nlt_f32_e32 v26, v27
; %bb.11:                               ;   in Loop: Header=BB137_10 Depth=1
	v_cmp_eq_f32_e64 s0, v26, v27
	v_cmp_lt_i32_e64 s1, v28, v24
	s_delay_alu instid0(VALU_DEP_1) | instskip(SKIP_2) | instid1(SALU_CYCLE_1)
	s_and_b32 s0, s0, s1
	s_and_not1_b32 s1, s16, exec_lo
	s_and_b32 s0, s0, exec_lo
	s_or_b32 s16, s1, s0
; %bb.12:                               ;   in Loop: Header=BB137_10 Depth=1
	s_or_b32 exec_lo, exec_lo, s17
	s_and_saveexec_b32 s0, s16
; %bb.13:                               ;   in Loop: Header=BB137_10 Depth=1
	v_dual_mov_b32 v25, v29 :: v_dual_mov_b32 v26, v27
	v_mov_b32_e32 v24, v28
; %bb.14:                               ;   in Loop: Header=BB137_10 Depth=1
	s_or_b32 exec_lo, exec_lo, s0
	ds_bpermute_b32 v29, v19, v26
	ds_bpermute_b32 v28, v19, v25
	ds_bpermute_b32 v27, v19, v24
	s_mov_b32 s17, exec_lo
	s_waitcnt lgkmcnt(2)
	v_cmp_lt_f32_e64 s16, v26, v29
	v_cmpx_nlt_f32_e32 v26, v29
	s_cbranch_execnz .LBB137_18
; %bb.15:                               ;   in Loop: Header=BB137_10 Depth=1
	s_or_b32 exec_lo, exec_lo, s17
	s_delay_alu instid0(VALU_DEP_2)
	s_and_saveexec_b32 s0, s16
	s_cbranch_execnz .LBB137_19
.LBB137_16:                             ;   in Loop: Header=BB137_10 Depth=1
	s_or_b32 exec_lo, exec_lo, s0
	s_and_saveexec_b32 s16, s2
	s_cbranch_execnz .LBB137_20
.LBB137_17:                             ;   in Loop: Header=BB137_10 Depth=1
	s_or_b32 exec_lo, exec_lo, s16
	s_add_i32 s7, s7, 1
	s_delay_alu instid0(SALU_CYCLE_1)
	s_cmp_ge_i32 s7, s4
	s_cbranch_scc1 .LBB137_9
	s_branch .LBB137_21
.LBB137_18:                             ;   in Loop: Header=BB137_10 Depth=1
	v_cmp_eq_f32_e64 s0, v26, v29
	s_waitcnt lgkmcnt(0)
	v_cmp_lt_i32_e64 s1, v27, v24
	s_delay_alu instid0(VALU_DEP_1) | instskip(SKIP_2) | instid1(SALU_CYCLE_1)
	s_and_b32 s0, s0, s1
	s_and_not1_b32 s1, s16, exec_lo
	s_and_b32 s0, s0, exec_lo
	s_or_b32 s16, s1, s0
	s_or_b32 exec_lo, exec_lo, s17
	s_and_saveexec_b32 s0, s16
	s_cbranch_execz .LBB137_16
.LBB137_19:                             ;   in Loop: Header=BB137_10 Depth=1
	s_waitcnt lgkmcnt(0)
	v_dual_mov_b32 v25, v28 :: v_dual_mov_b32 v24, v27
	s_or_b32 exec_lo, exec_lo, s0
	s_and_saveexec_b32 s16, s2
	s_cbranch_execz .LBB137_17
.LBB137_20:                             ;   in Loop: Header=BB137_10 Depth=1
	s_delay_alu instid0(VALU_DEP_1)
	v_dual_add_f32 v33, v21, v25 :: v_dual_add_nc_u32 v26, s7, v22
	v_cmp_le_i32_e64 s0, s5, v24
	v_cmp_gt_i32_e64 s1, s6, v24
	s_waitcnt lgkmcnt(1)
	v_subrev_nc_u32_e32 v28, s5, v24
	s_waitcnt lgkmcnt(0)
	v_ashrrev_i32_e32 v27, 31, v26
	v_cndmask_b32_e32 v21, v21, v33, vcc_lo
	s_and_b32 s0, s0, s1
	s_delay_alu instid0(SALU_CYCLE_1) | instskip(NEXT) | instid1(VALU_DEP_2)
	s_and_b32 s0, s15, s0
	v_lshlrev_b64 v[26:27], 2, v[26:27]
	v_cndmask_b32_e64 v32, 32, v28, s0
	s_delay_alu instid0(VALU_DEP_2) | instskip(NEXT) | instid1(VALU_DEP_1)
	v_add_co_u32 v28, s0, s12, v26
	v_add_co_ci_u32_e64 v29, s0, s13, v27, s0
	v_add_co_u32 v30, s0, s8, v26
	s_delay_alu instid0(VALU_DEP_1) | instskip(SKIP_1) | instid1(VALU_DEP_1)
	v_add_co_ci_u32_e64 v31, s0, s9, v27, s0
	v_add_co_u32 v26, s0, s10, v26
	v_add_co_ci_u32_e64 v27, s0, s11, v27, s0
	global_store_b32 v[28:29], v25, off
	global_store_b32 v[30:31], v32, off
	;; [unrolled: 1-line block ×3, first 2 shown]
	s_or_b32 exec_lo, exec_lo, s16
	s_add_i32 s7, s7, 1
	s_delay_alu instid0(SALU_CYCLE_1)
	s_cmp_ge_i32 s7, s4
	s_cbranch_scc1 .LBB137_9
.LBB137_21:                             ;   in Loop: Header=BB137_10 Depth=1
	v_ashrrev_i32_e32 v26, 31, v24
	s_mov_b32 s1, exec_lo
	s_delay_alu instid0(VALU_DEP_1) | instskip(NEXT) | instid1(VALU_DEP_1)
	v_lshrrev_b32_e32 v25, 29, v26
	v_add_nc_u32_e32 v25, v24, v25
	s_delay_alu instid0(VALU_DEP_1) | instskip(SKIP_1) | instid1(VALU_DEP_1)
	v_ashrrev_i32_e32 v25, 3, v25
	s_waitcnt lgkmcnt(0)
	v_lshrrev_b32_e32 v27, 30, v25
	s_delay_alu instid0(VALU_DEP_1) | instskip(NEXT) | instid1(VALU_DEP_1)
	v_add_nc_u32_e32 v27, v25, v27
	v_and_b32_e32 v27, -4, v27
	s_delay_alu instid0(VALU_DEP_1) | instskip(NEXT) | instid1(VALU_DEP_1)
	v_sub_nc_u32_e32 v27, v25, v27
	v_cmpx_eq_u32_e64 v17, v27
	s_cbranch_execz .LBB137_8
; %bb.22:                               ;   in Loop: Header=BB137_10 Depth=1
	v_lshrrev_b32_e32 v26, 27, v26
	v_lshlrev_b32_e32 v25, 3, v25
	s_delay_alu instid0(VALU_DEP_2) | instskip(NEXT) | instid1(VALU_DEP_2)
	v_add_nc_u32_e32 v26, v24, v26
	v_sub_nc_u32_e32 v24, v24, v25
	s_delay_alu instid0(VALU_DEP_2) | instskip(NEXT) | instid1(VALU_DEP_1)
	v_ashrrev_i32_e32 v25, 5, v26
	v_lshl_add_u32 v24, v25, 3, v24
	s_delay_alu instid0(VALU_DEP_1) | instskip(NEXT) | instid1(VALU_DEP_1)
	v_cmp_ne_u32_e64 s0, 7, v24
	v_cndmask_b32_e64 v15, 0xc61c4000, v15, s0
	v_cmp_ne_u32_e64 s0, 6, v24
	s_delay_alu instid0(VALU_DEP_1) | instskip(SKIP_1) | instid1(VALU_DEP_1)
	v_cndmask_b32_e64 v14, 0xc61c4000, v14, s0
	v_cmp_ne_u32_e64 s0, 5, v24
	v_cndmask_b32_e64 v13, 0xc61c4000, v13, s0
	v_cmp_ne_u32_e64 s0, 4, v24
	s_delay_alu instid0(VALU_DEP_1) | instskip(SKIP_1) | instid1(VALU_DEP_1)
	v_cndmask_b32_e64 v12, 0xc61c4000, v12, s0
	;; [unrolled: 5-line block ×3, first 2 shown]
	v_cmp_ne_u32_e64 s0, 1, v24
	v_cndmask_b32_e64 v9, 0xc61c4000, v9, s0
	v_cmp_ne_u32_e64 s0, 0, v24
	s_delay_alu instid0(VALU_DEP_1)
	v_cndmask_b32_e64 v8, 0xc61c4000, v8, s0
	s_branch .LBB137_8
.LBB137_23:
                                        ; implicit-def: $vgpr8_vgpr9_vgpr10_vgpr11_vgpr12_vgpr13_vgpr14_vgpr15
	s_and_not1_b32 vcc_lo, exec_lo, s8
	s_cbranch_vccz .LBB137_5
	s_branch .LBB137_6
.LBB137_24:
	v_mov_b32_e32 v21, 0
.LBB137_25:
	v_cmp_eq_u32_e64 s0, 0, v17
	s_delay_alu instid0(VALU_DEP_1) | instskip(NEXT) | instid1(SALU_CYCLE_1)
	s_and_b32 s0, s0, vcc_lo
	s_and_b32 exec_lo, exec_lo, s0
	s_cbranch_execz .LBB137_29
; %bb.26:
	s_and_not1_b32 vcc_lo, exec_lo, s3
	s_cbranch_vccnz .LBB137_29
; %bb.27:
	v_mul_lo_u32 v0, v16, s4
	v_cmp_lt_f32_e32 vcc_lo, 0, v21
	v_cndmask_b32_e32 v2, 1.0, v21, vcc_lo
	s_delay_alu instid0(VALU_DEP_3) | instskip(NEXT) | instid1(VALU_DEP_1)
	v_ashrrev_i32_e32 v1, 31, v0
	v_lshlrev_b64 v[0:1], 2, v[0:1]
	s_delay_alu instid0(VALU_DEP_1) | instskip(NEXT) | instid1(VALU_DEP_2)
	v_add_co_u32 v0, vcc_lo, s12, v0
	v_add_co_ci_u32_e32 v1, vcc_lo, s13, v1, vcc_lo
	.p2align	6
.LBB137_28:                             ; =>This Inner Loop Header: Depth=1
	global_load_b32 v3, v[0:1], off
	s_add_i32 s4, s4, -1
	s_delay_alu instid0(SALU_CYCLE_1) | instskip(SKIP_3) | instid1(VALU_DEP_2)
	s_cmp_lg_u32 s4, 0
	s_waitcnt vmcnt(0)
	v_div_scale_f32 v4, null, v2, v2, v3
	v_div_scale_f32 v7, vcc_lo, v3, v2, v3
	v_rcp_f32_e32 v5, v4
	s_waitcnt_depctr 0xfff
	v_fma_f32 v6, -v4, v5, 1.0
	s_delay_alu instid0(VALU_DEP_1) | instskip(NEXT) | instid1(VALU_DEP_1)
	v_fmac_f32_e32 v5, v6, v5
	v_mul_f32_e32 v6, v7, v5
	s_delay_alu instid0(VALU_DEP_1) | instskip(NEXT) | instid1(VALU_DEP_1)
	v_fma_f32 v8, -v4, v6, v7
	v_fmac_f32_e32 v6, v8, v5
	s_delay_alu instid0(VALU_DEP_1) | instskip(NEXT) | instid1(VALU_DEP_1)
	v_fma_f32 v4, -v4, v6, v7
	v_div_fmas_f32 v4, v4, v5, v6
	s_delay_alu instid0(VALU_DEP_1)
	v_div_fixup_f32 v3, v4, v2, v3
	global_store_b32 v[0:1], v3, off
	v_add_co_u32 v0, vcc_lo, v0, 4
	v_add_co_ci_u32_e32 v1, vcc_lo, 0, v1, vcc_lo
	s_cbranch_scc1 .LBB137_28
.LBB137_29:
	s_nop 0
	s_sendmsg sendmsg(MSG_DEALLOC_VGPRS)
	s_endpgm
	.section	.rodata,"a",@progbits
	.p2align	6, 0x0
	.amdhsa_kernel _ZN4vllm3moe10topkGatingILi8ELi32ELi4ELi16ELi64Ei14__hip_bfloat16LNS0_11ScoringFuncE0EEEvPKT5_PKbPfiPT4_PiiiibPKf
		.amdhsa_group_segment_fixed_size 0
		.amdhsa_private_segment_fixed_size 0
		.amdhsa_kernarg_size 72
		.amdhsa_user_sgpr_count 15
		.amdhsa_user_sgpr_dispatch_ptr 0
		.amdhsa_user_sgpr_queue_ptr 0
		.amdhsa_user_sgpr_kernarg_segment_ptr 1
		.amdhsa_user_sgpr_dispatch_id 0
		.amdhsa_user_sgpr_private_segment_size 0
		.amdhsa_wavefront_size32 1
		.amdhsa_uses_dynamic_stack 0
		.amdhsa_enable_private_segment 0
		.amdhsa_system_sgpr_workgroup_id_x 1
		.amdhsa_system_sgpr_workgroup_id_y 0
		.amdhsa_system_sgpr_workgroup_id_z 0
		.amdhsa_system_sgpr_workgroup_info 0
		.amdhsa_system_vgpr_workitem_id 1
		.amdhsa_next_free_vgpr 36
		.amdhsa_next_free_sgpr 18
		.amdhsa_reserve_vcc 1
		.amdhsa_float_round_mode_32 0
		.amdhsa_float_round_mode_16_64 0
		.amdhsa_float_denorm_mode_32 3
		.amdhsa_float_denorm_mode_16_64 3
		.amdhsa_dx10_clamp 1
		.amdhsa_ieee_mode 1
		.amdhsa_fp16_overflow 0
		.amdhsa_workgroup_processor_mode 1
		.amdhsa_memory_ordered 1
		.amdhsa_forward_progress 0
		.amdhsa_shared_vgpr_count 0
		.amdhsa_exception_fp_ieee_invalid_op 0
		.amdhsa_exception_fp_denorm_src 0
		.amdhsa_exception_fp_ieee_div_zero 0
		.amdhsa_exception_fp_ieee_overflow 0
		.amdhsa_exception_fp_ieee_underflow 0
		.amdhsa_exception_fp_ieee_inexact 0
		.amdhsa_exception_int_div_zero 0
	.end_amdhsa_kernel
	.section	.text._ZN4vllm3moe10topkGatingILi8ELi32ELi4ELi16ELi64Ei14__hip_bfloat16LNS0_11ScoringFuncE0EEEvPKT5_PKbPfiPT4_PiiiibPKf,"axG",@progbits,_ZN4vllm3moe10topkGatingILi8ELi32ELi4ELi16ELi64Ei14__hip_bfloat16LNS0_11ScoringFuncE0EEEvPKT5_PKbPfiPT4_PiiiibPKf,comdat
.Lfunc_end137:
	.size	_ZN4vllm3moe10topkGatingILi8ELi32ELi4ELi16ELi64Ei14__hip_bfloat16LNS0_11ScoringFuncE0EEEvPKT5_PKbPfiPT4_PiiiibPKf, .Lfunc_end137-_ZN4vllm3moe10topkGatingILi8ELi32ELi4ELi16ELi64Ei14__hip_bfloat16LNS0_11ScoringFuncE0EEEvPKT5_PKbPfiPT4_PiiiibPKf
                                        ; -- End function
	.section	.AMDGPU.csdata,"",@progbits
; Kernel info:
; codeLenInByte = 2972
; NumSgprs: 20
; NumVgprs: 36
; ScratchSize: 0
; MemoryBound: 0
; FloatMode: 240
; IeeeMode: 1
; LDSByteSize: 0 bytes/workgroup (compile time only)
; SGPRBlocks: 2
; VGPRBlocks: 4
; NumSGPRsForWavesPerEU: 20
; NumVGPRsForWavesPerEU: 36
; Occupancy: 16
; WaveLimiterHint : 0
; COMPUTE_PGM_RSRC2:SCRATCH_EN: 0
; COMPUTE_PGM_RSRC2:USER_SGPR: 15
; COMPUTE_PGM_RSRC2:TRAP_HANDLER: 0
; COMPUTE_PGM_RSRC2:TGID_X_EN: 1
; COMPUTE_PGM_RSRC2:TGID_Y_EN: 0
; COMPUTE_PGM_RSRC2:TGID_Z_EN: 0
; COMPUTE_PGM_RSRC2:TIDIG_COMP_CNT: 1
	.section	.text._ZN4vllm3moe10topkGatingILi8ELi32ELi4ELi16ELi32Ei14__hip_bfloat16LNS0_11ScoringFuncE0EEEvPKT5_PKbPfiPT4_PiiiibPKf,"axG",@progbits,_ZN4vllm3moe10topkGatingILi8ELi32ELi4ELi16ELi32Ei14__hip_bfloat16LNS0_11ScoringFuncE0EEEvPKT5_PKbPfiPT4_PiiiibPKf,comdat
	.protected	_ZN4vllm3moe10topkGatingILi8ELi32ELi4ELi16ELi32Ei14__hip_bfloat16LNS0_11ScoringFuncE0EEEvPKT5_PKbPfiPT4_PiiiibPKf ; -- Begin function _ZN4vllm3moe10topkGatingILi8ELi32ELi4ELi16ELi32Ei14__hip_bfloat16LNS0_11ScoringFuncE0EEEvPKT5_PKbPfiPT4_PiiiibPKf
	.globl	_ZN4vllm3moe10topkGatingILi8ELi32ELi4ELi16ELi32Ei14__hip_bfloat16LNS0_11ScoringFuncE0EEEvPKT5_PKbPfiPT4_PiiiibPKf
	.p2align	8
	.type	_ZN4vllm3moe10topkGatingILi8ELi32ELi4ELi16ELi32Ei14__hip_bfloat16LNS0_11ScoringFuncE0EEEvPKT5_PKbPfiPT4_PiiiibPKf,@function
_ZN4vllm3moe10topkGatingILi8ELi32ELi4ELi16ELi32Ei14__hip_bfloat16LNS0_11ScoringFuncE0EEEvPKT5_PKbPfiPT4_PiiiibPKf: ; @_ZN4vllm3moe10topkGatingILi8ELi32ELi4ELi16ELi32Ei14__hip_bfloat16LNS0_11ScoringFuncE0EEEvPKT5_PKbPfiPT4_PiiiibPKf
; %bb.0:
	s_load_b32 s14, s[0:1], 0x18
	v_bfe_u32 v1, v0, 10, 10
	v_and_b32_e32 v0, 0x3ff, v0
	s_lshl_b32 s2, s15, 5
	s_delay_alu instid0(VALU_DEP_2) | instskip(NEXT) | instid1(VALU_DEP_2)
	v_lshlrev_b32_e32 v1, 3, v1
	v_lshrrev_b32_e32 v2, 2, v0
	s_delay_alu instid0(VALU_DEP_1) | instskip(SKIP_2) | instid1(VALU_DEP_1)
	v_add3_u32 v16, s2, v1, v2
	s_mov_b32 s2, exec_lo
	s_waitcnt lgkmcnt(0)
	v_cmpx_gt_i32_e64 s14, v16
	s_cbranch_execz .LBB138_29
; %bb.1:
	s_clause 0x1
	s_load_b128 s[4:7], s[0:1], 0x0
	s_load_b64 s[12:13], s[0:1], 0x10
	s_mov_b32 s8, -1
	s_mov_b32 s15, -1
	s_waitcnt lgkmcnt(0)
	s_cmp_eq_u64 s[6:7], 0
	s_cbranch_scc1 .LBB138_3
; %bb.2:
	v_ashrrev_i32_e32 v2, 31, v16
	v_add_co_u32 v1, vcc_lo, s6, v16
	s_delay_alu instid0(VALU_DEP_2) | instskip(SKIP_3) | instid1(VALU_DEP_1)
	v_add_co_ci_u32_e32 v2, vcc_lo, s7, v2, vcc_lo
	global_load_u8 v1, v[1:2], off
	s_waitcnt vmcnt(0)
	v_and_b32_e32 v1, 1, v1
	v_cmp_eq_u32_e32 vcc_lo, 1, v1
	s_xor_b32 s2, vcc_lo, -1
	s_delay_alu instid0(SALU_CYCLE_1)
	s_or_not1_b32 s15, s2, exec_lo
.LBB138_3:
	v_lshlrev_b32_e32 v1, 5, v16
	v_and_b32_e32 v17, 3, v0
	v_mbcnt_lo_u32_b32 v5, -1, 0
	s_load_b64 s[2:3], s[0:1], 0x40
	s_delay_alu instid0(VALU_DEP_3) | instskip(NEXT) | instid1(VALU_DEP_2)
	v_ashrrev_i32_e32 v2, 31, v1
	v_xor_b32_e32 v9, 2, v5
	v_xor_b32_e32 v12, 1, v5
	v_and_b32_e32 v8, 28, v5
	s_delay_alu instid0(VALU_DEP_4) | instskip(SKIP_1) | instid1(VALU_DEP_2)
	v_lshlrev_b64 v[0:1], 1, v[1:2]
	v_lshlrev_b32_e32 v2, 4, v17
	v_add_co_u32 v0, vcc_lo, s4, v0
	s_delay_alu instid0(VALU_DEP_3) | instskip(NEXT) | instid1(VALU_DEP_2)
	v_add_co_ci_u32_e32 v1, vcc_lo, s5, v1, vcc_lo
	v_add_co_u32 v0, vcc_lo, v0, v2
	s_delay_alu instid0(VALU_DEP_2)
	v_add_co_ci_u32_e32 v1, vcc_lo, 0, v1, vcc_lo
	s_waitcnt lgkmcnt(0)
	s_cmp_eq_u64 s[2:3], 0
	global_load_b128 v[0:3], v[0:1], off
	s_waitcnt vmcnt(0)
	v_and_b32_e32 v4, 0xffff0000, v0
	v_lshlrev_b32_e32 v0, 16, v0
	v_lshlrev_b32_e32 v10, 16, v1
	s_delay_alu instid0(VALU_DEP_3) | instskip(NEXT) | instid1(VALU_DEP_3)
	v_dual_max_f32 v6, v4, v4 :: v_dual_and_b32 v1, 0xffff0000, v1
	v_max_f32_e32 v7, v0, v0
	s_delay_alu instid0(VALU_DEP_1) | instskip(SKIP_2) | instid1(VALU_DEP_3)
	v_dual_max_f32 v6, v7, v6 :: v_dual_add_nc_u32 v7, 4, v8
	v_lshlrev_b32_e32 v8, 16, v2
	v_and_b32_e32 v2, 0xffff0000, v2
	v_max3_f32 v6, v6, v10, v1
	s_delay_alu instid0(VALU_DEP_4) | instskip(NEXT) | instid1(VALU_DEP_2)
	v_cmp_lt_i32_e32 vcc_lo, v9, v7
	v_max3_f32 v6, v6, v8, v2
	v_cndmask_b32_e32 v9, v5, v9, vcc_lo
	v_lshlrev_b32_e32 v11, 16, v3
	v_and_b32_e32 v3, 0xffff0000, v3
	v_cmp_lt_i32_e32 vcc_lo, v12, v7
	s_delay_alu instid0(VALU_DEP_4) | instskip(NEXT) | instid1(VALU_DEP_3)
	v_lshlrev_b32_e32 v18, 2, v9
	v_max3_f32 v6, v6, v11, v3
	v_cndmask_b32_e32 v5, v5, v12, vcc_lo
	ds_bpermute_b32 v9, v18, v6
	v_lshlrev_b32_e32 v19, 2, v5
	s_waitcnt lgkmcnt(0)
	v_max_f32_e32 v7, v9, v9
	s_delay_alu instid0(VALU_DEP_1) | instskip(SKIP_3) | instid1(VALU_DEP_1)
	v_max_f32_e32 v5, v6, v7
	ds_bpermute_b32 v6, v19, v5
	s_waitcnt lgkmcnt(0)
	v_max_f32_e32 v6, v6, v6
	v_max_f32_e32 v5, v5, v6
	s_delay_alu instid0(VALU_DEP_1)
	v_sub_f32_e32 v0, v0, v5
	v_sub_f32_e32 v4, v4, v5
	;; [unrolled: 1-line block ×6, first 2 shown]
	v_dual_sub_f32 v8, v11, v5 :: v_dual_mul_f32 v9, 0x3fb8aa3b, v4
	s_delay_alu instid0(VALU_DEP_3) | instskip(SKIP_1) | instid1(VALU_DEP_3)
	v_dual_sub_f32 v3, v3, v5 :: v_dual_mul_f32 v12, 0x3fb8aa3b, v7
	v_dual_mul_f32 v5, 0x3fb8aa3b, v0 :: v_dual_mul_f32 v10, 0x3fb8aa3b, v6
	v_dual_mul_f32 v11, 0x3fb8aa3b, v1 :: v_dual_mul_f32 v14, 0x3fb8aa3b, v8
	s_delay_alu instid0(VALU_DEP_4) | instskip(NEXT) | instid1(VALU_DEP_3)
	v_fma_f32 v22, 0x3fb8aa3b, v4, -v9
	v_fma_f32 v20, 0x3fb8aa3b, v0, -v5
	v_rndne_f32_e32 v21, v5
	v_rndne_f32_e32 v23, v9
	;; [unrolled: 1-line block ×3, first 2 shown]
	v_mul_f32_e32 v13, 0x3fb8aa3b, v2
	v_fma_f32 v28, 0x3fb8aa3b, v7, -v12
	v_dual_fmac_f32 v20, 0x32a5705f, v0 :: v_dual_sub_f32 v5, v5, v21
	v_fma_f32 v24, 0x3fb8aa3b, v6, -v10
	v_fma_f32 v26, 0x3fb8aa3b, v1, -v11
	v_rndne_f32_e32 v29, v12
	v_mul_f32_e32 v15, 0x3fb8aa3b, v3
	v_fma_f32 v32, 0x3fb8aa3b, v8, -v14
	v_dual_fmac_f32 v22, 0x32a5705f, v4 :: v_dual_sub_f32 v9, v9, v23
	v_sub_f32_e32 v10, v10, v25
	v_fma_f32 v30, 0x3fb8aa3b, v2, -v13
	v_rndne_f32_e32 v31, v13
	v_dual_fmac_f32 v28, 0x32a5705f, v7 :: v_dual_add_f32 v5, v5, v20
	v_rndne_f32_e32 v27, v11
	v_fmac_f32_e32 v24, 0x32a5705f, v6
	s_delay_alu instid0(VALU_DEP_4)
	v_dual_fmac_f32 v26, 0x32a5705f, v1 :: v_dual_sub_f32 v13, v13, v31
	v_sub_f32_e32 v12, v12, v29
	v_fma_f32 v34, 0x3fb8aa3b, v3, -v15
	v_rndne_f32_e32 v35, v15
	v_fmac_f32_e32 v30, 0x32a5705f, v2
	v_dual_fmac_f32 v32, 0x32a5705f, v8 :: v_dual_add_f32 v9, v9, v22
	v_exp_f32_e32 v5, v5
	v_rndne_f32_e32 v33, v14
	v_cvt_i32_f32_e32 v21, v21
	v_sub_f32_e32 v11, v11, v27
	v_sub_f32_e32 v15, v15, v35
	v_dual_fmac_f32 v34, 0x32a5705f, v3 :: v_dual_add_f32 v13, v13, v30
	v_add_f32_e32 v10, v10, v24
	v_exp_f32_e32 v9, v9
	v_cvt_i32_f32_e32 v23, v23
	s_delay_alu instid0(VALU_DEP_3)
	v_dual_add_f32 v15, v15, v34 :: v_dual_sub_f32 v14, v14, v33
	v_add_f32_e32 v11, v11, v26
	v_exp_f32_e32 v10, v10
	v_ldexp_f32 v5, v5, v21
	v_cmp_ngt_f32_e32 vcc_lo, 0xc2ce8ed0, v0
	v_cvt_i32_f32_e32 v25, v25
	v_add_f32_e32 v12, v12, v28
	v_exp_f32_e32 v11, v11
	v_ldexp_f32 v9, v9, v23
	v_cndmask_b32_e32 v5, 0, v5, vcc_lo
	v_cmp_ngt_f32_e32 vcc_lo, 0xc2ce8ed0, v4
	v_cvt_i32_f32_e32 v27, v27
	v_add_f32_e32 v14, v14, v32
	v_ldexp_f32 v10, v10, v25
	v_exp_f32_e32 v12, v12
	v_cndmask_b32_e32 v9, 0, v9, vcc_lo
	v_cmp_ngt_f32_e32 vcc_lo, 0xc2ce8ed0, v6
	v_ldexp_f32 v11, v11, v27
	v_cvt_i32_f32_e32 v29, v29
	v_exp_f32_e32 v13, v13
	v_cvt_i32_f32_e32 v31, v31
	v_cndmask_b32_e32 v10, 0, v10, vcc_lo
	v_cmp_nlt_f32_e32 vcc_lo, 0x42b17218, v0
	v_exp_f32_e32 v14, v14
	v_ldexp_f32 v12, v12, v29
	v_cvt_i32_f32_e32 v20, v33
	v_exp_f32_e32 v15, v15
	v_cndmask_b32_e32 v0, 0x7f800000, v5, vcc_lo
	v_cmp_nlt_f32_e32 vcc_lo, 0x42b17218, v4
	v_ldexp_f32 v13, v13, v31
	v_cvt_i32_f32_e32 v22, v35
	v_cndmask_b32_e32 v4, 0x7f800000, v9, vcc_lo
	v_cmp_ngt_f32_e32 vcc_lo, 0xc2ce8ed0, v1
	v_ldexp_f32 v14, v14, v20
	s_delay_alu instid0(TRANS32_DEP_1) | instid1(VALU_DEP_4)
	v_ldexp_f32 v15, v15, v22
	s_delay_alu instid0(VALU_DEP_4)
	v_dual_add_f32 v9, v0, v4 :: v_dual_lshlrev_b32 v20, 3, v17
	v_cndmask_b32_e32 v5, 0, v11, vcc_lo
	v_cmp_nlt_f32_e32 vcc_lo, 0x42b17218, v6
	v_cndmask_b32_e32 v6, 0x7f800000, v10, vcc_lo
	v_cmp_ngt_f32_e32 vcc_lo, 0xc2ce8ed0, v7
	v_cndmask_b32_e32 v10, 0, v12, vcc_lo
	v_cmp_nlt_f32_e32 vcc_lo, 0x42b17218, v1
	v_cndmask_b32_e32 v1, 0x7f800000, v5, vcc_lo
	v_cmp_ngt_f32_e32 vcc_lo, 0xc2ce8ed0, v2
	v_add_f32_e32 v5, v9, v6
	v_cndmask_b32_e32 v9, 0, v13, vcc_lo
	v_cmp_nlt_f32_e32 vcc_lo, 0x42b17218, v7
	v_cndmask_b32_e32 v7, 0x7f800000, v10, vcc_lo
	v_cmp_ngt_f32_e32 vcc_lo, 0xc2ce8ed0, v8
	v_dual_add_f32 v5, v5, v1 :: v_dual_cndmask_b32 v10, 0, v14
	v_cmp_nlt_f32_e32 vcc_lo, 0x42b17218, v2
	s_delay_alu instid0(VALU_DEP_2) | instskip(SKIP_1) | instid1(VALU_DEP_2)
	v_dual_add_f32 v5, v5, v7 :: v_dual_cndmask_b32 v2, 0x7f800000, v9
	v_cmp_ngt_f32_e32 vcc_lo, 0xc2ce8ed0, v3
	v_add_f32_e32 v5, v5, v2
	v_cndmask_b32_e32 v9, 0, v15, vcc_lo
	v_cmp_nlt_f32_e32 vcc_lo, 0x42b17218, v8
	v_cndmask_b32_e32 v8, 0x7f800000, v10, vcc_lo
	v_cmp_nlt_f32_e32 vcc_lo, 0x42b17218, v3
	s_delay_alu instid0(VALU_DEP_2) | instskip(SKIP_1) | instid1(VALU_DEP_1)
	v_add_f32_e32 v5, v5, v8
	v_cndmask_b32_e32 v3, 0x7f800000, v9, vcc_lo
	v_add_f32_e32 v5, v5, v3
	ds_bpermute_b32 v9, v18, v5
	s_waitcnt lgkmcnt(0)
	v_add_f32_e32 v5, v5, v9
	ds_bpermute_b32 v9, v19, v5
	s_waitcnt lgkmcnt(0)
	v_add_f32_e32 v5, v5, v9
	s_delay_alu instid0(VALU_DEP_1) | instskip(SKIP_1) | instid1(VALU_DEP_2)
	v_div_scale_f32 v9, null, v5, v5, 1.0
	v_div_scale_f32 v12, vcc_lo, 1.0, v5, 1.0
	v_rcp_f32_e32 v10, v9
	s_waitcnt_depctr 0xfff
	v_fma_f32 v11, -v9, v10, 1.0
	s_delay_alu instid0(VALU_DEP_1) | instskip(NEXT) | instid1(VALU_DEP_1)
	v_fmac_f32_e32 v10, v11, v10
	v_mul_f32_e32 v11, v12, v10
	s_delay_alu instid0(VALU_DEP_1) | instskip(NEXT) | instid1(VALU_DEP_1)
	v_fma_f32 v13, -v9, v11, v12
	v_fmac_f32_e32 v11, v13, v10
	s_delay_alu instid0(VALU_DEP_1) | instskip(NEXT) | instid1(VALU_DEP_1)
	v_fma_f32 v9, -v9, v11, v12
	v_div_fmas_f32 v9, v9, v10, v11
	s_delay_alu instid0(VALU_DEP_1) | instskip(NEXT) | instid1(VALU_DEP_1)
	v_div_fixup_f32 v5, v9, v5, 1.0
	v_mul_f32_e32 v0, v5, v0
	v_mul_f32_e32 v4, v5, v4
	;; [unrolled: 1-line block ×5, first 2 shown]
	v_cmp_class_f32_e64 vcc_lo, v0, 0x1f8
	v_mul_f32_e32 v11, v5, v3
	v_mul_f32_e32 v8, v5, v8
	v_cndmask_b32_e32 v0, 0, v0, vcc_lo
	v_cmp_class_f32_e64 vcc_lo, v4, 0x1f8
	v_dual_mul_f32 v6, v5, v6 :: v_dual_cndmask_b32 v1, 0, v4
	s_delay_alu instid0(VALU_DEP_1)
	v_cmp_class_f32_e64 vcc_lo, v6, 0x1f8
	v_cndmask_b32_e32 v2, 0, v6, vcc_lo
	v_cmp_class_f32_e64 vcc_lo, v9, 0x1f8
	v_cndmask_b32_e32 v3, 0, v9, vcc_lo
	;; [unrolled: 2-line block ×6, first 2 shown]
	s_cbranch_scc1 .LBB138_23
; %bb.4:
	v_lshlrev_b32_e32 v12, 2, v20
	s_clause 0x1
	global_load_b128 v[8:11], v12, s[2:3]
	global_load_b128 v[12:15], v12, s[2:3] offset:16
	s_waitcnt vmcnt(1)
	v_dual_add_f32 v9, v9, v1 :: v_dual_add_f32 v8, v8, v0
	v_dual_add_f32 v11, v11, v3 :: v_dual_add_f32 v10, v10, v2
	s_waitcnt vmcnt(0)
	v_dual_add_f32 v13, v13, v5 :: v_dual_add_f32 v12, v12, v4
	v_dual_add_f32 v15, v15, v7 :: v_dual_add_f32 v14, v14, v6
	s_cbranch_execnz .LBB138_6
.LBB138_5:
	v_dual_mov_b32 v15, v7 :: v_dual_mov_b32 v14, v6
	v_dual_mov_b32 v13, v5 :: v_dual_mov_b32 v12, v4
	v_dual_mov_b32 v11, v3 :: v_dual_mov_b32 v10, v2
	v_dual_mov_b32 v9, v1 :: v_dual_mov_b32 v8, v0
.LBB138_6:
	s_load_b128 s[4:7], s[0:1], 0x30
	v_cmp_eq_u32_e64 s2, 0, v17
	s_waitcnt lgkmcnt(0)
	s_bitcmp1_b32 s7, 0
	s_mov_b32 s7, 0
	s_cselect_b32 vcc_lo, -1, 0
	s_cmp_gt_i32 s4, 0
	s_cselect_b32 s3, -1, 0
	s_cmp_lt_i32 s4, 1
	s_cbranch_scc1 .LBB138_24
; %bb.7:
	s_load_b128 s[8:11], s[0:1], 0x20
	v_mul_lo_u32 v22, v16, s4
	v_mov_b32_e32 v21, 0
	v_mov_b32_e32 v23, v16
	s_branch .LBB138_10
.LBB138_8:                              ;   in Loop: Header=BB138_10 Depth=1
	s_or_b32 exec_lo, exec_lo, s1
.LBB138_9:                              ;   in Loop: Header=BB138_10 Depth=1
	v_add_nc_u32_e32 v23, s14, v23
	s_cmp_eq_u32 s4, s7
	s_cbranch_scc1 .LBB138_25
.LBB138_10:                             ; =>This Inner Loop Header: Depth=1
	v_cmp_gt_f32_e64 s0, v9, v8
	s_mov_b32 s17, exec_lo
	s_delay_alu instid0(VALU_DEP_1) | instskip(SKIP_2) | instid1(VALU_DEP_3)
	v_cndmask_b32_e64 v24, v8, v9, s0
	v_cndmask_b32_e64 v25, 0, 1, s0
	;; [unrolled: 1-line block ×3, first 2 shown]
	v_cmp_gt_f32_e64 s1, v10, v24
	s_delay_alu instid0(VALU_DEP_1) | instskip(NEXT) | instid1(VALU_DEP_4)
	v_cndmask_b32_e64 v24, v24, v10, s1
	v_cndmask_b32_e64 v25, v25, 2, s1
	s_delay_alu instid0(VALU_DEP_4) | instskip(NEXT) | instid1(VALU_DEP_3)
	v_cndmask_b32_e64 v26, v26, v2, s1
	v_cmp_gt_f32_e64 s0, v11, v24
	s_delay_alu instid0(VALU_DEP_1) | instskip(NEXT) | instid1(VALU_DEP_4)
	v_cndmask_b32_e64 v24, v24, v11, s0
	v_cndmask_b32_e64 v25, v25, 3, s0
	s_delay_alu instid0(VALU_DEP_4) | instskip(NEXT) | instid1(VALU_DEP_3)
	v_cndmask_b32_e64 v26, v26, v3, s0
	;; [unrolled: 6-line block ×4, first 2 shown]
	v_cmp_gt_f32_e64 s1, v14, v24
	s_delay_alu instid0(VALU_DEP_1) | instskip(NEXT) | instid1(VALU_DEP_4)
	v_cndmask_b32_e64 v24, v24, v14, s1
	v_cndmask_b32_e64 v25, v25, 6, s1
	s_waitcnt lgkmcnt(0)
	v_cndmask_b32_e64 v27, v26, v6, s1
	s_delay_alu instid0(VALU_DEP_3) | instskip(NEXT) | instid1(VALU_DEP_1)
	v_cmp_gt_f32_e64 s0, v15, v24
	v_cndmask_b32_e64 v26, v24, v15, s0
	v_cndmask_b32_e64 v24, v25, 7, s0
	s_delay_alu instid0(VALU_DEP_4)
	v_cndmask_b32_e64 v25, v27, v7, s0
	ds_bpermute_b32 v27, v18, v26
	v_or_b32_e32 v24, v20, v24
	ds_bpermute_b32 v29, v18, v25
	ds_bpermute_b32 v28, v18, v24
	s_waitcnt lgkmcnt(0)
	v_cmp_lt_f32_e64 s16, v26, v27
	v_cmpx_nlt_f32_e32 v26, v27
; %bb.11:                               ;   in Loop: Header=BB138_10 Depth=1
	v_cmp_eq_f32_e64 s0, v26, v27
	v_cmp_lt_i32_e64 s1, v28, v24
	s_delay_alu instid0(VALU_DEP_1) | instskip(SKIP_2) | instid1(SALU_CYCLE_1)
	s_and_b32 s0, s0, s1
	s_and_not1_b32 s1, s16, exec_lo
	s_and_b32 s0, s0, exec_lo
	s_or_b32 s16, s1, s0
; %bb.12:                               ;   in Loop: Header=BB138_10 Depth=1
	s_or_b32 exec_lo, exec_lo, s17
	s_and_saveexec_b32 s0, s16
; %bb.13:                               ;   in Loop: Header=BB138_10 Depth=1
	v_dual_mov_b32 v25, v29 :: v_dual_mov_b32 v26, v27
	v_mov_b32_e32 v24, v28
; %bb.14:                               ;   in Loop: Header=BB138_10 Depth=1
	s_or_b32 exec_lo, exec_lo, s0
	ds_bpermute_b32 v29, v19, v26
	ds_bpermute_b32 v28, v19, v25
	;; [unrolled: 1-line block ×3, first 2 shown]
	s_mov_b32 s17, exec_lo
	s_waitcnt lgkmcnt(2)
	v_cmp_lt_f32_e64 s16, v26, v29
	v_cmpx_nlt_f32_e32 v26, v29
	s_cbranch_execnz .LBB138_18
; %bb.15:                               ;   in Loop: Header=BB138_10 Depth=1
	s_or_b32 exec_lo, exec_lo, s17
	s_delay_alu instid0(VALU_DEP_2)
	s_and_saveexec_b32 s0, s16
	s_cbranch_execnz .LBB138_19
.LBB138_16:                             ;   in Loop: Header=BB138_10 Depth=1
	s_or_b32 exec_lo, exec_lo, s0
	s_and_saveexec_b32 s16, s2
	s_cbranch_execnz .LBB138_20
.LBB138_17:                             ;   in Loop: Header=BB138_10 Depth=1
	s_or_b32 exec_lo, exec_lo, s16
	s_add_i32 s7, s7, 1
	s_delay_alu instid0(SALU_CYCLE_1)
	s_cmp_ge_i32 s7, s4
	s_cbranch_scc1 .LBB138_9
	s_branch .LBB138_21
.LBB138_18:                             ;   in Loop: Header=BB138_10 Depth=1
	v_cmp_eq_f32_e64 s0, v26, v29
	s_waitcnt lgkmcnt(0)
	v_cmp_lt_i32_e64 s1, v27, v24
	s_delay_alu instid0(VALU_DEP_1) | instskip(SKIP_2) | instid1(SALU_CYCLE_1)
	s_and_b32 s0, s0, s1
	s_and_not1_b32 s1, s16, exec_lo
	s_and_b32 s0, s0, exec_lo
	s_or_b32 s16, s1, s0
	s_or_b32 exec_lo, exec_lo, s17
	s_and_saveexec_b32 s0, s16
	s_cbranch_execz .LBB138_16
.LBB138_19:                             ;   in Loop: Header=BB138_10 Depth=1
	s_waitcnt lgkmcnt(0)
	v_dual_mov_b32 v25, v28 :: v_dual_mov_b32 v24, v27
	s_or_b32 exec_lo, exec_lo, s0
	s_and_saveexec_b32 s16, s2
	s_cbranch_execz .LBB138_17
.LBB138_20:                             ;   in Loop: Header=BB138_10 Depth=1
	s_delay_alu instid0(VALU_DEP_1)
	v_dual_add_f32 v33, v21, v25 :: v_dual_add_nc_u32 v26, s7, v22
	v_cmp_le_i32_e64 s0, s5, v24
	v_cmp_gt_i32_e64 s1, s6, v24
	s_waitcnt lgkmcnt(1)
	v_subrev_nc_u32_e32 v28, s5, v24
	s_waitcnt lgkmcnt(0)
	v_ashrrev_i32_e32 v27, 31, v26
	v_cndmask_b32_e32 v21, v21, v33, vcc_lo
	s_and_b32 s0, s0, s1
	s_delay_alu instid0(SALU_CYCLE_1) | instskip(NEXT) | instid1(VALU_DEP_2)
	s_and_b32 s0, s15, s0
	v_lshlrev_b64 v[26:27], 2, v[26:27]
	v_cndmask_b32_e64 v32, 32, v28, s0
	s_delay_alu instid0(VALU_DEP_2) | instskip(NEXT) | instid1(VALU_DEP_1)
	v_add_co_u32 v28, s0, s12, v26
	v_add_co_ci_u32_e64 v29, s0, s13, v27, s0
	v_add_co_u32 v30, s0, s8, v26
	s_delay_alu instid0(VALU_DEP_1) | instskip(SKIP_1) | instid1(VALU_DEP_1)
	v_add_co_ci_u32_e64 v31, s0, s9, v27, s0
	v_add_co_u32 v26, s0, s10, v26
	v_add_co_ci_u32_e64 v27, s0, s11, v27, s0
	global_store_b32 v[28:29], v25, off
	global_store_b32 v[30:31], v32, off
	;; [unrolled: 1-line block ×3, first 2 shown]
	s_or_b32 exec_lo, exec_lo, s16
	s_add_i32 s7, s7, 1
	s_delay_alu instid0(SALU_CYCLE_1)
	s_cmp_ge_i32 s7, s4
	s_cbranch_scc1 .LBB138_9
.LBB138_21:                             ;   in Loop: Header=BB138_10 Depth=1
	v_ashrrev_i32_e32 v26, 31, v24
	s_mov_b32 s1, exec_lo
	s_delay_alu instid0(VALU_DEP_1) | instskip(NEXT) | instid1(VALU_DEP_1)
	v_lshrrev_b32_e32 v25, 29, v26
	v_add_nc_u32_e32 v25, v24, v25
	s_delay_alu instid0(VALU_DEP_1) | instskip(SKIP_1) | instid1(VALU_DEP_1)
	v_ashrrev_i32_e32 v25, 3, v25
	s_waitcnt lgkmcnt(0)
	v_lshrrev_b32_e32 v27, 30, v25
	s_delay_alu instid0(VALU_DEP_1) | instskip(NEXT) | instid1(VALU_DEP_1)
	v_add_nc_u32_e32 v27, v25, v27
	v_and_b32_e32 v27, -4, v27
	s_delay_alu instid0(VALU_DEP_1) | instskip(NEXT) | instid1(VALU_DEP_1)
	v_sub_nc_u32_e32 v27, v25, v27
	v_cmpx_eq_u32_e64 v17, v27
	s_cbranch_execz .LBB138_8
; %bb.22:                               ;   in Loop: Header=BB138_10 Depth=1
	v_lshrrev_b32_e32 v26, 27, v26
	v_lshlrev_b32_e32 v25, 3, v25
	s_delay_alu instid0(VALU_DEP_2) | instskip(NEXT) | instid1(VALU_DEP_2)
	v_add_nc_u32_e32 v26, v24, v26
	v_sub_nc_u32_e32 v24, v24, v25
	s_delay_alu instid0(VALU_DEP_2) | instskip(NEXT) | instid1(VALU_DEP_1)
	v_ashrrev_i32_e32 v25, 5, v26
	v_lshl_add_u32 v24, v25, 3, v24
	s_delay_alu instid0(VALU_DEP_1) | instskip(NEXT) | instid1(VALU_DEP_1)
	v_cmp_ne_u32_e64 s0, 7, v24
	v_cndmask_b32_e64 v15, 0xc61c4000, v15, s0
	v_cmp_ne_u32_e64 s0, 6, v24
	s_delay_alu instid0(VALU_DEP_1) | instskip(SKIP_1) | instid1(VALU_DEP_1)
	v_cndmask_b32_e64 v14, 0xc61c4000, v14, s0
	v_cmp_ne_u32_e64 s0, 5, v24
	v_cndmask_b32_e64 v13, 0xc61c4000, v13, s0
	v_cmp_ne_u32_e64 s0, 4, v24
	s_delay_alu instid0(VALU_DEP_1) | instskip(SKIP_1) | instid1(VALU_DEP_1)
	v_cndmask_b32_e64 v12, 0xc61c4000, v12, s0
	;; [unrolled: 5-line block ×3, first 2 shown]
	v_cmp_ne_u32_e64 s0, 1, v24
	v_cndmask_b32_e64 v9, 0xc61c4000, v9, s0
	v_cmp_ne_u32_e64 s0, 0, v24
	s_delay_alu instid0(VALU_DEP_1)
	v_cndmask_b32_e64 v8, 0xc61c4000, v8, s0
	s_branch .LBB138_8
.LBB138_23:
                                        ; implicit-def: $vgpr8_vgpr9_vgpr10_vgpr11_vgpr12_vgpr13_vgpr14_vgpr15
	s_and_not1_b32 vcc_lo, exec_lo, s8
	s_cbranch_vccz .LBB138_5
	s_branch .LBB138_6
.LBB138_24:
	v_mov_b32_e32 v21, 0
.LBB138_25:
	v_cmp_eq_u32_e64 s0, 0, v17
	s_delay_alu instid0(VALU_DEP_1) | instskip(NEXT) | instid1(SALU_CYCLE_1)
	s_and_b32 s0, s0, vcc_lo
	s_and_b32 exec_lo, exec_lo, s0
	s_cbranch_execz .LBB138_29
; %bb.26:
	s_and_not1_b32 vcc_lo, exec_lo, s3
	s_cbranch_vccnz .LBB138_29
; %bb.27:
	v_mul_lo_u32 v0, v16, s4
	v_cmp_lt_f32_e32 vcc_lo, 0, v21
	v_cndmask_b32_e32 v2, 1.0, v21, vcc_lo
	s_delay_alu instid0(VALU_DEP_3) | instskip(NEXT) | instid1(VALU_DEP_1)
	v_ashrrev_i32_e32 v1, 31, v0
	v_lshlrev_b64 v[0:1], 2, v[0:1]
	s_delay_alu instid0(VALU_DEP_1) | instskip(NEXT) | instid1(VALU_DEP_2)
	v_add_co_u32 v0, vcc_lo, s12, v0
	v_add_co_ci_u32_e32 v1, vcc_lo, s13, v1, vcc_lo
	.p2align	6
.LBB138_28:                             ; =>This Inner Loop Header: Depth=1
	global_load_b32 v3, v[0:1], off
	s_add_i32 s4, s4, -1
	s_delay_alu instid0(SALU_CYCLE_1) | instskip(SKIP_3) | instid1(VALU_DEP_2)
	s_cmp_lg_u32 s4, 0
	s_waitcnt vmcnt(0)
	v_div_scale_f32 v4, null, v2, v2, v3
	v_div_scale_f32 v7, vcc_lo, v3, v2, v3
	v_rcp_f32_e32 v5, v4
	s_waitcnt_depctr 0xfff
	v_fma_f32 v6, -v4, v5, 1.0
	s_delay_alu instid0(VALU_DEP_1) | instskip(NEXT) | instid1(VALU_DEP_1)
	v_fmac_f32_e32 v5, v6, v5
	v_mul_f32_e32 v6, v7, v5
	s_delay_alu instid0(VALU_DEP_1) | instskip(NEXT) | instid1(VALU_DEP_1)
	v_fma_f32 v8, -v4, v6, v7
	v_fmac_f32_e32 v6, v8, v5
	s_delay_alu instid0(VALU_DEP_1) | instskip(NEXT) | instid1(VALU_DEP_1)
	v_fma_f32 v4, -v4, v6, v7
	v_div_fmas_f32 v4, v4, v5, v6
	s_delay_alu instid0(VALU_DEP_1)
	v_div_fixup_f32 v3, v4, v2, v3
	global_store_b32 v[0:1], v3, off
	v_add_co_u32 v0, vcc_lo, v0, 4
	v_add_co_ci_u32_e32 v1, vcc_lo, 0, v1, vcc_lo
	s_cbranch_scc1 .LBB138_28
.LBB138_29:
	s_nop 0
	s_sendmsg sendmsg(MSG_DEALLOC_VGPRS)
	s_endpgm
	.section	.rodata,"a",@progbits
	.p2align	6, 0x0
	.amdhsa_kernel _ZN4vllm3moe10topkGatingILi8ELi32ELi4ELi16ELi32Ei14__hip_bfloat16LNS0_11ScoringFuncE0EEEvPKT5_PKbPfiPT4_PiiiibPKf
		.amdhsa_group_segment_fixed_size 0
		.amdhsa_private_segment_fixed_size 0
		.amdhsa_kernarg_size 72
		.amdhsa_user_sgpr_count 15
		.amdhsa_user_sgpr_dispatch_ptr 0
		.amdhsa_user_sgpr_queue_ptr 0
		.amdhsa_user_sgpr_kernarg_segment_ptr 1
		.amdhsa_user_sgpr_dispatch_id 0
		.amdhsa_user_sgpr_private_segment_size 0
		.amdhsa_wavefront_size32 1
		.amdhsa_uses_dynamic_stack 0
		.amdhsa_enable_private_segment 0
		.amdhsa_system_sgpr_workgroup_id_x 1
		.amdhsa_system_sgpr_workgroup_id_y 0
		.amdhsa_system_sgpr_workgroup_id_z 0
		.amdhsa_system_sgpr_workgroup_info 0
		.amdhsa_system_vgpr_workitem_id 1
		.amdhsa_next_free_vgpr 36
		.amdhsa_next_free_sgpr 18
		.amdhsa_reserve_vcc 1
		.amdhsa_float_round_mode_32 0
		.amdhsa_float_round_mode_16_64 0
		.amdhsa_float_denorm_mode_32 3
		.amdhsa_float_denorm_mode_16_64 3
		.amdhsa_dx10_clamp 1
		.amdhsa_ieee_mode 1
		.amdhsa_fp16_overflow 0
		.amdhsa_workgroup_processor_mode 1
		.amdhsa_memory_ordered 1
		.amdhsa_forward_progress 0
		.amdhsa_shared_vgpr_count 0
		.amdhsa_exception_fp_ieee_invalid_op 0
		.amdhsa_exception_fp_denorm_src 0
		.amdhsa_exception_fp_ieee_div_zero 0
		.amdhsa_exception_fp_ieee_overflow 0
		.amdhsa_exception_fp_ieee_underflow 0
		.amdhsa_exception_fp_ieee_inexact 0
		.amdhsa_exception_int_div_zero 0
	.end_amdhsa_kernel
	.section	.text._ZN4vllm3moe10topkGatingILi8ELi32ELi4ELi16ELi32Ei14__hip_bfloat16LNS0_11ScoringFuncE0EEEvPKT5_PKbPfiPT4_PiiiibPKf,"axG",@progbits,_ZN4vllm3moe10topkGatingILi8ELi32ELi4ELi16ELi32Ei14__hip_bfloat16LNS0_11ScoringFuncE0EEEvPKT5_PKbPfiPT4_PiiiibPKf,comdat
.Lfunc_end138:
	.size	_ZN4vllm3moe10topkGatingILi8ELi32ELi4ELi16ELi32Ei14__hip_bfloat16LNS0_11ScoringFuncE0EEEvPKT5_PKbPfiPT4_PiiiibPKf, .Lfunc_end138-_ZN4vllm3moe10topkGatingILi8ELi32ELi4ELi16ELi32Ei14__hip_bfloat16LNS0_11ScoringFuncE0EEEvPKT5_PKbPfiPT4_PiiiibPKf
                                        ; -- End function
	.section	.AMDGPU.csdata,"",@progbits
; Kernel info:
; codeLenInByte = 2972
; NumSgprs: 20
; NumVgprs: 36
; ScratchSize: 0
; MemoryBound: 0
; FloatMode: 240
; IeeeMode: 1
; LDSByteSize: 0 bytes/workgroup (compile time only)
; SGPRBlocks: 2
; VGPRBlocks: 4
; NumSGPRsForWavesPerEU: 20
; NumVGPRsForWavesPerEU: 36
; Occupancy: 16
; WaveLimiterHint : 0
; COMPUTE_PGM_RSRC2:SCRATCH_EN: 0
; COMPUTE_PGM_RSRC2:USER_SGPR: 15
; COMPUTE_PGM_RSRC2:TRAP_HANDLER: 0
; COMPUTE_PGM_RSRC2:TGID_X_EN: 1
; COMPUTE_PGM_RSRC2:TGID_Y_EN: 0
; COMPUTE_PGM_RSRC2:TGID_Z_EN: 0
; COMPUTE_PGM_RSRC2:TIDIG_COMP_CNT: 1
	.section	.text._ZN4vllm3moe10topkGatingILi8ELi64ELi4ELi16ELi64Ei14__hip_bfloat16LNS0_11ScoringFuncE0EEEvPKT5_PKbPfiPT4_PiiiibPKf,"axG",@progbits,_ZN4vllm3moe10topkGatingILi8ELi64ELi4ELi16ELi64Ei14__hip_bfloat16LNS0_11ScoringFuncE0EEEvPKT5_PKbPfiPT4_PiiiibPKf,comdat
	.protected	_ZN4vllm3moe10topkGatingILi8ELi64ELi4ELi16ELi64Ei14__hip_bfloat16LNS0_11ScoringFuncE0EEEvPKT5_PKbPfiPT4_PiiiibPKf ; -- Begin function _ZN4vllm3moe10topkGatingILi8ELi64ELi4ELi16ELi64Ei14__hip_bfloat16LNS0_11ScoringFuncE0EEEvPKT5_PKbPfiPT4_PiiiibPKf
	.globl	_ZN4vllm3moe10topkGatingILi8ELi64ELi4ELi16ELi64Ei14__hip_bfloat16LNS0_11ScoringFuncE0EEEvPKT5_PKbPfiPT4_PiiiibPKf
	.p2align	8
	.type	_ZN4vllm3moe10topkGatingILi8ELi64ELi4ELi16ELi64Ei14__hip_bfloat16LNS0_11ScoringFuncE0EEEvPKT5_PKbPfiPT4_PiiiibPKf,@function
_ZN4vllm3moe10topkGatingILi8ELi64ELi4ELi16ELi64Ei14__hip_bfloat16LNS0_11ScoringFuncE0EEEvPKT5_PKbPfiPT4_PiiiibPKf: ; @_ZN4vllm3moe10topkGatingILi8ELi64ELi4ELi16ELi64Ei14__hip_bfloat16LNS0_11ScoringFuncE0EEEvPKT5_PKbPfiPT4_PiiiibPKf
; %bb.0:
	s_load_b32 s14, s[0:1], 0x18
	v_bfe_u32 v1, v0, 10, 10
	v_and_b32_e32 v0, 0x3ff, v0
	s_lshl_b32 s2, s15, 5
	s_delay_alu instid0(VALU_DEP_2) | instskip(NEXT) | instid1(VALU_DEP_2)
	v_lshlrev_b32_e32 v1, 3, v1
	v_lshrrev_b32_e32 v2, 3, v0
	s_delay_alu instid0(VALU_DEP_1) | instskip(SKIP_2) | instid1(VALU_DEP_1)
	v_add3_u32 v16, s2, v1, v2
	s_mov_b32 s2, exec_lo
	s_waitcnt lgkmcnt(0)
	v_cmpx_gt_i32_e64 s14, v16
	s_cbranch_execz .LBB139_33
; %bb.1:
	s_clause 0x1
	s_load_b128 s[4:7], s[0:1], 0x0
	s_load_b64 s[12:13], s[0:1], 0x10
	s_mov_b32 s8, -1
	s_mov_b32 s15, -1
	s_waitcnt lgkmcnt(0)
	s_cmp_eq_u64 s[6:7], 0
	s_cbranch_scc1 .LBB139_3
; %bb.2:
	v_ashrrev_i32_e32 v2, 31, v16
	v_add_co_u32 v1, vcc_lo, s6, v16
	s_delay_alu instid0(VALU_DEP_2) | instskip(SKIP_3) | instid1(VALU_DEP_1)
	v_add_co_ci_u32_e32 v2, vcc_lo, s7, v2, vcc_lo
	global_load_u8 v1, v[1:2], off
	s_waitcnt vmcnt(0)
	v_and_b32_e32 v1, 1, v1
	v_cmp_eq_u32_e32 vcc_lo, 1, v1
	s_xor_b32 s2, vcc_lo, -1
	s_delay_alu instid0(SALU_CYCLE_1)
	s_or_not1_b32 s15, s2, exec_lo
.LBB139_3:
	v_lshlrev_b32_e32 v1, 6, v16
	v_and_b32_e32 v17, 7, v0
	v_mbcnt_lo_u32_b32 v5, -1, 0
	s_load_b64 s[2:3], s[0:1], 0x40
	s_delay_alu instid0(VALU_DEP_3) | instskip(NEXT) | instid1(VALU_DEP_2)
	v_ashrrev_i32_e32 v2, 31, v1
	v_xor_b32_e32 v9, 4, v5
	v_and_b32_e32 v8, 24, v5
	v_xor_b32_e32 v12, 2, v5
	s_delay_alu instid0(VALU_DEP_4) | instskip(SKIP_1) | instid1(VALU_DEP_2)
	v_lshlrev_b64 v[0:1], 1, v[1:2]
	v_lshlrev_b32_e32 v2, 4, v17
	v_add_co_u32 v0, vcc_lo, s4, v0
	s_delay_alu instid0(VALU_DEP_3) | instskip(NEXT) | instid1(VALU_DEP_2)
	v_add_co_ci_u32_e32 v1, vcc_lo, s5, v1, vcc_lo
	v_add_co_u32 v0, vcc_lo, v0, v2
	s_delay_alu instid0(VALU_DEP_2)
	v_add_co_ci_u32_e32 v1, vcc_lo, 0, v1, vcc_lo
	s_waitcnt lgkmcnt(0)
	s_cmp_eq_u64 s[2:3], 0
	global_load_b128 v[0:3], v[0:1], off
	s_waitcnt vmcnt(0)
	v_and_b32_e32 v4, 0xffff0000, v0
	v_lshlrev_b32_e32 v0, 16, v0
	v_lshlrev_b32_e32 v10, 16, v1
	s_delay_alu instid0(VALU_DEP_3) | instskip(NEXT) | instid1(VALU_DEP_3)
	v_dual_max_f32 v6, v4, v4 :: v_dual_and_b32 v1, 0xffff0000, v1
	v_max_f32_e32 v7, v0, v0
	s_delay_alu instid0(VALU_DEP_1) | instskip(SKIP_2) | instid1(VALU_DEP_3)
	v_dual_max_f32 v6, v7, v6 :: v_dual_add_nc_u32 v7, 8, v8
	v_lshlrev_b32_e32 v8, 16, v2
	v_and_b32_e32 v2, 0xffff0000, v2
	v_max3_f32 v6, v6, v10, v1
	s_delay_alu instid0(VALU_DEP_4) | instskip(NEXT) | instid1(VALU_DEP_2)
	v_cmp_lt_i32_e32 vcc_lo, v9, v7
	v_max3_f32 v6, v6, v8, v2
	v_cndmask_b32_e32 v9, v5, v9, vcc_lo
	v_cmp_lt_i32_e32 vcc_lo, v12, v7
	v_lshlrev_b32_e32 v11, 16, v3
	v_and_b32_e32 v3, 0xffff0000, v3
	s_delay_alu instid0(VALU_DEP_4) | instskip(SKIP_1) | instid1(VALU_DEP_3)
	v_lshlrev_b32_e32 v18, 2, v9
	v_cndmask_b32_e32 v12, v5, v12, vcc_lo
	v_max3_f32 v6, v6, v11, v3
	s_delay_alu instid0(VALU_DEP_2) | instskip(SKIP_4) | instid1(VALU_DEP_1)
	v_lshlrev_b32_e32 v19, 2, v12
	v_xor_b32_e32 v12, 1, v5
	ds_bpermute_b32 v9, v18, v6
	v_cmp_lt_i32_e32 vcc_lo, v12, v7
	v_cndmask_b32_e32 v5, v5, v12, vcc_lo
	v_lshlrev_b32_e32 v20, 2, v5
	s_waitcnt lgkmcnt(0)
	v_max_f32_e32 v9, v9, v9
	s_delay_alu instid0(VALU_DEP_1) | instskip(SKIP_3) | instid1(VALU_DEP_1)
	v_max_f32_e32 v6, v6, v9
	ds_bpermute_b32 v9, v19, v6
	s_waitcnt lgkmcnt(0)
	v_max_f32_e32 v7, v9, v9
	v_max_f32_e32 v5, v6, v7
	ds_bpermute_b32 v6, v20, v5
	s_waitcnt lgkmcnt(0)
	v_max_f32_e32 v6, v6, v6
	s_delay_alu instid0(VALU_DEP_1) | instskip(NEXT) | instid1(VALU_DEP_1)
	v_max_f32_e32 v5, v5, v6
	v_sub_f32_e32 v4, v4, v5
	v_sub_f32_e32 v6, v10, v5
	;; [unrolled: 1-line block ×4, first 2 shown]
	s_delay_alu instid0(VALU_DEP_4) | instskip(NEXT) | instid1(VALU_DEP_4)
	v_mul_f32_e32 v9, 0x3fb8aa3b, v4
	v_dual_sub_f32 v7, v8, v5 :: v_dual_mul_f32 v10, 0x3fb8aa3b, v6
	v_sub_f32_e32 v3, v3, v5
	v_cmp_ngt_f32_e32 vcc_lo, 0xc2ce8ed0, v0
	s_delay_alu instid0(VALU_DEP_4) | instskip(NEXT) | instid1(VALU_DEP_4)
	v_fma_f32 v23, 0x3fb8aa3b, v4, -v9
	v_mul_f32_e32 v12, 0x3fb8aa3b, v7
	s_delay_alu instid0(VALU_DEP_4) | instskip(SKIP_1) | instid1(VALU_DEP_3)
	v_dual_sub_f32 v2, v2, v5 :: v_dual_mul_f32 v15, 0x3fb8aa3b, v3
	v_dual_sub_f32 v8, v11, v5 :: v_dual_mul_f32 v5, 0x3fb8aa3b, v0
	v_fma_f32 v29, 0x3fb8aa3b, v7, -v12
	s_delay_alu instid0(VALU_DEP_3)
	v_mul_f32_e32 v13, 0x3fb8aa3b, v2
	v_rndne_f32_e32 v30, v12
	v_fma_f32 v25, 0x3fb8aa3b, v6, -v10
	v_fma_f32 v21, 0x3fb8aa3b, v0, -v5
	v_rndne_f32_e32 v22, v5
	v_rndne_f32_e32 v26, v10
	v_dual_fmac_f32 v23, 0x32a5705f, v4 :: v_dual_sub_f32 v12, v12, v30
	v_fmac_f32_e32 v29, 0x32a5705f, v7
	v_dual_mul_f32 v11, 0x3fb8aa3b, v1 :: v_dual_mul_f32 v14, 0x3fb8aa3b, v8
	v_rndne_f32_e32 v24, v9
	v_dual_fmac_f32 v21, 0x32a5705f, v0 :: v_dual_sub_f32 v10, v10, v26
	s_delay_alu instid0(VALU_DEP_4) | instskip(SKIP_2) | instid1(VALU_DEP_3)
	v_dual_fmac_f32 v25, 0x32a5705f, v6 :: v_dual_add_f32 v12, v12, v29
	v_sub_f32_e32 v5, v5, v22
	v_rndne_f32_e32 v34, v14
	v_dual_sub_f32 v9, v9, v24 :: v_dual_add_f32 v10, v10, v25
	v_fma_f32 v33, 0x3fb8aa3b, v8, -v14
	s_delay_alu instid0(VALU_DEP_3) | instskip(NEXT) | instid1(VALU_DEP_3)
	v_dual_add_f32 v5, v5, v21 :: v_dual_sub_f32 v14, v14, v34
	v_add_f32_e32 v9, v9, v23
	v_cvt_i32_f32_e32 v22, v22
	v_cvt_i32_f32_e32 v24, v24
	s_delay_alu instid0(VALU_DEP_4)
	v_exp_f32_e32 v5, v5
	v_exp_f32_e32 v10, v10
	;; [unrolled: 1-line block ×3, first 2 shown]
	v_fma_f32 v27, 0x3fb8aa3b, v1, -v11
	v_rndne_f32_e32 v28, v11
	v_cvt_i32_f32_e32 v26, v26
	v_fmac_f32_e32 v33, 0x32a5705f, v8
	v_rndne_f32_e32 v32, v13
	v_fma_f32 v31, 0x3fb8aa3b, v2, -v13
	v_sub_f32_e32 v11, v11, v28
	v_ldexp_f32 v5, v5, v22
	v_add_f32_e32 v14, v14, v33
	v_ldexp_f32 v9, v9, v24
	v_ldexp_f32 v10, v10, v26
	v_rndne_f32_e32 v36, v15
	v_cndmask_b32_e32 v5, 0, v5, vcc_lo
	v_cmp_ngt_f32_e32 vcc_lo, 0xc2ce8ed0, v4
	v_cvt_i32_f32_e32 v28, v28
	v_fma_f32 v35, 0x3fb8aa3b, v3, -v15
	v_exp_f32_e32 v12, v12
	v_cvt_i32_f32_e32 v30, v30
	v_cndmask_b32_e32 v9, 0, v9, vcc_lo
	v_cmp_ngt_f32_e32 vcc_lo, 0xc2ce8ed0, v6
	v_fmac_f32_e32 v27, 0x32a5705f, v1
	v_fmac_f32_e32 v35, 0x32a5705f, v3
	v_exp_f32_e32 v14, v14
	v_cvt_i32_f32_e32 v21, v34
	s_delay_alu instid0(VALU_DEP_3)
	v_dual_cndmask_b32 v10, 0, v10 :: v_dual_add_f32 v11, v11, v27
	v_cmp_nlt_f32_e32 vcc_lo, 0x42b17218, v0
	v_sub_f32_e32 v13, v13, v32
	v_ldexp_f32 v12, v12, v30
	v_cvt_i32_f32_e32 v32, v32
	v_exp_f32_e32 v11, v11
	v_cndmask_b32_e32 v0, 0x7f800000, v5, vcc_lo
	v_cmp_nlt_f32_e32 vcc_lo, 0x42b17218, v4
	v_fmac_f32_e32 v31, 0x32a5705f, v2
	v_sub_f32_e32 v15, v15, v36
	v_ldexp_f32 v14, v14, v21
	v_cvt_i32_f32_e32 v23, v36
	v_cndmask_b32_e32 v4, 0x7f800000, v9, vcc_lo
	v_cmp_ngt_f32_e32 vcc_lo, 0xc2ce8ed0, v1
	v_add_f32_e32 v13, v13, v31
	v_ldexp_f32 v11, v11, v28
	v_add_f32_e32 v15, v15, v35
	v_add_f32_e32 v9, v0, v4
	v_lshlrev_b32_e32 v21, 3, v17
	v_exp_f32_e32 v13, v13
	v_cndmask_b32_e32 v5, 0, v11, vcc_lo
	v_cmp_nlt_f32_e32 vcc_lo, 0x42b17218, v6
	v_exp_f32_e32 v15, v15
	v_cndmask_b32_e32 v6, 0x7f800000, v10, vcc_lo
	v_cmp_ngt_f32_e32 vcc_lo, 0xc2ce8ed0, v7
	s_waitcnt_depctr 0xfff
	v_ldexp_f32 v13, v13, v32
	v_cndmask_b32_e32 v10, 0, v12, vcc_lo
	v_cmp_nlt_f32_e32 vcc_lo, 0x42b17218, v1
	v_ldexp_f32 v15, v15, v23
	v_cndmask_b32_e32 v1, 0x7f800000, v5, vcc_lo
	v_cmp_ngt_f32_e32 vcc_lo, 0xc2ce8ed0, v2
	v_add_f32_e32 v5, v9, v6
	v_cndmask_b32_e32 v9, 0, v13, vcc_lo
	v_cmp_nlt_f32_e32 vcc_lo, 0x42b17218, v7
	s_delay_alu instid0(VALU_DEP_3) | instskip(SKIP_2) | instid1(VALU_DEP_2)
	v_add_f32_e32 v5, v5, v1
	v_cndmask_b32_e32 v7, 0x7f800000, v10, vcc_lo
	v_cmp_ngt_f32_e32 vcc_lo, 0xc2ce8ed0, v8
	v_dual_add_f32 v5, v5, v7 :: v_dual_cndmask_b32 v10, 0, v14
	v_cmp_nlt_f32_e32 vcc_lo, 0x42b17218, v2
	v_cndmask_b32_e32 v2, 0x7f800000, v9, vcc_lo
	v_cmp_ngt_f32_e32 vcc_lo, 0xc2ce8ed0, v3
	s_delay_alu instid0(VALU_DEP_2) | instskip(SKIP_4) | instid1(VALU_DEP_2)
	v_add_f32_e32 v5, v5, v2
	v_cndmask_b32_e32 v9, 0, v15, vcc_lo
	v_cmp_nlt_f32_e32 vcc_lo, 0x42b17218, v8
	v_cndmask_b32_e32 v8, 0x7f800000, v10, vcc_lo
	v_cmp_nlt_f32_e32 vcc_lo, 0x42b17218, v3
	v_add_f32_e32 v5, v5, v8
	v_cndmask_b32_e32 v3, 0x7f800000, v9, vcc_lo
	s_delay_alu instid0(VALU_DEP_1)
	v_add_f32_e32 v5, v5, v3
	ds_bpermute_b32 v9, v18, v5
	s_waitcnt lgkmcnt(0)
	v_add_f32_e32 v5, v5, v9
	ds_bpermute_b32 v9, v19, v5
	s_waitcnt lgkmcnt(0)
	;; [unrolled: 3-line block ×3, first 2 shown]
	v_add_f32_e32 v5, v5, v9
	s_delay_alu instid0(VALU_DEP_1) | instskip(SKIP_1) | instid1(VALU_DEP_2)
	v_div_scale_f32 v9, null, v5, v5, 1.0
	v_div_scale_f32 v12, vcc_lo, 1.0, v5, 1.0
	v_rcp_f32_e32 v10, v9
	s_waitcnt_depctr 0xfff
	v_fma_f32 v11, -v9, v10, 1.0
	s_delay_alu instid0(VALU_DEP_1) | instskip(NEXT) | instid1(VALU_DEP_1)
	v_fmac_f32_e32 v10, v11, v10
	v_mul_f32_e32 v11, v12, v10
	s_delay_alu instid0(VALU_DEP_1) | instskip(NEXT) | instid1(VALU_DEP_1)
	v_fma_f32 v13, -v9, v11, v12
	v_fmac_f32_e32 v11, v13, v10
	s_delay_alu instid0(VALU_DEP_1) | instskip(NEXT) | instid1(VALU_DEP_1)
	v_fma_f32 v9, -v9, v11, v12
	v_div_fmas_f32 v9, v9, v10, v11
	s_delay_alu instid0(VALU_DEP_1) | instskip(NEXT) | instid1(VALU_DEP_1)
	v_div_fixup_f32 v5, v9, v5, 1.0
	v_mul_f32_e32 v0, v5, v0
	v_mul_f32_e32 v4, v5, v4
	;; [unrolled: 1-line block ×5, first 2 shown]
	v_cmp_class_f32_e64 vcc_lo, v0, 0x1f8
	v_mul_f32_e32 v7, v5, v7
	v_mul_f32_e32 v10, v5, v2
	v_dual_mul_f32 v11, v5, v3 :: v_dual_cndmask_b32 v0, 0, v0
	v_cmp_class_f32_e64 vcc_lo, v4, 0x1f8
	v_cndmask_b32_e32 v1, 0, v4, vcc_lo
	v_cmp_class_f32_e64 vcc_lo, v6, 0x1f8
	v_cndmask_b32_e32 v2, 0, v6, vcc_lo
	;; [unrolled: 2-line block ×7, first 2 shown]
	s_cbranch_scc1 .LBB139_27
; %bb.4:
	v_lshlrev_b32_e32 v12, 2, v21
	s_clause 0x1
	global_load_b128 v[8:11], v12, s[2:3]
	global_load_b128 v[12:15], v12, s[2:3] offset:16
	s_waitcnt vmcnt(1)
	v_dual_add_f32 v11, v11, v3 :: v_dual_add_f32 v8, v8, v0
	v_dual_add_f32 v9, v9, v1 :: v_dual_add_f32 v10, v10, v2
	s_waitcnt vmcnt(0)
	v_dual_add_f32 v13, v13, v5 :: v_dual_add_f32 v12, v12, v4
	v_dual_add_f32 v15, v15, v7 :: v_dual_add_f32 v14, v14, v6
	s_cbranch_execnz .LBB139_6
.LBB139_5:
	v_dual_mov_b32 v15, v7 :: v_dual_mov_b32 v14, v6
	v_dual_mov_b32 v13, v5 :: v_dual_mov_b32 v12, v4
	;; [unrolled: 1-line block ×4, first 2 shown]
.LBB139_6:
	s_load_b128 s[4:7], s[0:1], 0x30
	v_cmp_eq_u32_e64 s2, 0, v17
	s_waitcnt lgkmcnt(0)
	s_bitcmp1_b32 s7, 0
	s_mov_b32 s7, 0
	s_cselect_b32 vcc_lo, -1, 0
	s_cmp_gt_i32 s4, 0
	s_cselect_b32 s3, -1, 0
	s_cmp_lt_i32 s4, 1
	s_cbranch_scc1 .LBB139_28
; %bb.7:
	s_load_b128 s[8:11], s[0:1], 0x20
	v_mul_lo_u32 v23, v16, s4
	v_mov_b32_e32 v22, 0
	v_mov_b32_e32 v24, v16
	s_branch .LBB139_10
.LBB139_8:                              ;   in Loop: Header=BB139_10 Depth=1
	s_or_b32 exec_lo, exec_lo, s1
.LBB139_9:                              ;   in Loop: Header=BB139_10 Depth=1
	v_add_nc_u32_e32 v24, s14, v24
	s_cmp_eq_u32 s4, s7
	s_cbranch_scc1 .LBB139_29
.LBB139_10:                             ; =>This Inner Loop Header: Depth=1
	v_cmp_gt_f32_e64 s0, v9, v8
	s_mov_b32 s17, exec_lo
	s_delay_alu instid0(VALU_DEP_1) | instskip(SKIP_2) | instid1(VALU_DEP_3)
	v_cndmask_b32_e64 v25, v8, v9, s0
	v_cndmask_b32_e64 v26, 0, 1, s0
	;; [unrolled: 1-line block ×3, first 2 shown]
	v_cmp_gt_f32_e64 s1, v10, v25
	s_delay_alu instid0(VALU_DEP_1) | instskip(NEXT) | instid1(VALU_DEP_4)
	v_cndmask_b32_e64 v25, v25, v10, s1
	v_cndmask_b32_e64 v26, v26, 2, s1
	s_delay_alu instid0(VALU_DEP_4) | instskip(NEXT) | instid1(VALU_DEP_3)
	v_cndmask_b32_e64 v27, v27, v2, s1
	v_cmp_gt_f32_e64 s0, v11, v25
	s_delay_alu instid0(VALU_DEP_1) | instskip(NEXT) | instid1(VALU_DEP_4)
	v_cndmask_b32_e64 v25, v25, v11, s0
	v_cndmask_b32_e64 v26, v26, 3, s0
	s_delay_alu instid0(VALU_DEP_4) | instskip(NEXT) | instid1(VALU_DEP_3)
	v_cndmask_b32_e64 v27, v27, v3, s0
	;; [unrolled: 6-line block ×4, first 2 shown]
	v_cmp_gt_f32_e64 s1, v14, v25
	s_delay_alu instid0(VALU_DEP_1) | instskip(NEXT) | instid1(VALU_DEP_4)
	v_cndmask_b32_e64 v25, v25, v14, s1
	v_cndmask_b32_e64 v26, v26, 6, s1
	s_waitcnt lgkmcnt(0)
	v_cndmask_b32_e64 v28, v27, v6, s1
	s_delay_alu instid0(VALU_DEP_3) | instskip(NEXT) | instid1(VALU_DEP_1)
	v_cmp_gt_f32_e64 s0, v15, v25
	v_cndmask_b32_e64 v27, v25, v15, s0
	v_cndmask_b32_e64 v25, v26, 7, s0
	s_delay_alu instid0(VALU_DEP_4)
	v_cndmask_b32_e64 v26, v28, v7, s0
	ds_bpermute_b32 v28, v18, v27
	v_or_b32_e32 v25, v21, v25
	ds_bpermute_b32 v30, v18, v26
	ds_bpermute_b32 v29, v18, v25
	s_waitcnt lgkmcnt(0)
	v_cmp_lt_f32_e64 s16, v27, v28
	v_cmpx_nlt_f32_e32 v27, v28
; %bb.11:                               ;   in Loop: Header=BB139_10 Depth=1
	v_cmp_eq_f32_e64 s0, v27, v28
	v_cmp_lt_i32_e64 s1, v29, v25
	s_delay_alu instid0(VALU_DEP_1) | instskip(SKIP_2) | instid1(SALU_CYCLE_1)
	s_and_b32 s0, s0, s1
	s_and_not1_b32 s1, s16, exec_lo
	s_and_b32 s0, s0, exec_lo
	s_or_b32 s16, s1, s0
; %bb.12:                               ;   in Loop: Header=BB139_10 Depth=1
	s_or_b32 exec_lo, exec_lo, s17
	s_and_saveexec_b32 s0, s16
; %bb.13:                               ;   in Loop: Header=BB139_10 Depth=1
	v_dual_mov_b32 v26, v30 :: v_dual_mov_b32 v27, v28
	v_mov_b32_e32 v25, v29
; %bb.14:                               ;   in Loop: Header=BB139_10 Depth=1
	s_or_b32 exec_lo, exec_lo, s0
	ds_bpermute_b32 v29, v19, v27
	ds_bpermute_b32 v30, v19, v26
	ds_bpermute_b32 v28, v19, v25
	s_mov_b32 s17, exec_lo
	s_waitcnt lgkmcnt(2)
	v_cmp_lt_f32_e64 s16, v27, v29
	v_cmpx_nlt_f32_e32 v27, v29
	s_cbranch_execz .LBB139_16
; %bb.15:                               ;   in Loop: Header=BB139_10 Depth=1
	v_cmp_eq_f32_e64 s0, v27, v29
	s_waitcnt lgkmcnt(0)
	v_cmp_lt_i32_e64 s1, v28, v25
	s_delay_alu instid0(VALU_DEP_1) | instskip(SKIP_2) | instid1(SALU_CYCLE_1)
	s_and_b32 s0, s0, s1
	s_and_not1_b32 s1, s16, exec_lo
	s_and_b32 s0, s0, exec_lo
	s_or_b32 s16, s1, s0
.LBB139_16:                             ;   in Loop: Header=BB139_10 Depth=1
	s_or_b32 exec_lo, exec_lo, s17
	s_delay_alu instid0(VALU_DEP_2)
	s_and_saveexec_b32 s0, s16
	s_cbranch_execz .LBB139_18
; %bb.17:                               ;   in Loop: Header=BB139_10 Depth=1
	s_waitcnt lgkmcnt(1)
	v_dual_mov_b32 v26, v30 :: v_dual_mov_b32 v27, v29
	s_waitcnt lgkmcnt(0)
	v_mov_b32_e32 v25, v28
.LBB139_18:                             ;   in Loop: Header=BB139_10 Depth=1
	s_or_b32 exec_lo, exec_lo, s0
	s_waitcnt lgkmcnt(1)
	ds_bpermute_b32 v30, v20, v27
	ds_bpermute_b32 v29, v20, v26
	s_waitcnt lgkmcnt(2)
	ds_bpermute_b32 v28, v20, v25
	s_mov_b32 s17, exec_lo
	s_waitcnt lgkmcnt(2)
	v_cmp_lt_f32_e64 s16, v27, v30
	v_cmpx_nlt_f32_e32 v27, v30
	s_cbranch_execnz .LBB139_22
; %bb.19:                               ;   in Loop: Header=BB139_10 Depth=1
	s_or_b32 exec_lo, exec_lo, s17
	s_delay_alu instid0(VALU_DEP_2)
	s_and_saveexec_b32 s0, s16
	s_cbranch_execnz .LBB139_23
.LBB139_20:                             ;   in Loop: Header=BB139_10 Depth=1
	s_or_b32 exec_lo, exec_lo, s0
	s_and_saveexec_b32 s16, s2
	s_cbranch_execnz .LBB139_24
.LBB139_21:                             ;   in Loop: Header=BB139_10 Depth=1
	s_or_b32 exec_lo, exec_lo, s16
	s_add_i32 s7, s7, 1
	s_delay_alu instid0(SALU_CYCLE_1)
	s_cmp_ge_i32 s7, s4
	s_cbranch_scc1 .LBB139_9
	s_branch .LBB139_25
.LBB139_22:                             ;   in Loop: Header=BB139_10 Depth=1
	v_cmp_eq_f32_e64 s0, v27, v30
	s_waitcnt lgkmcnt(0)
	v_cmp_lt_i32_e64 s1, v28, v25
	s_delay_alu instid0(VALU_DEP_1) | instskip(SKIP_2) | instid1(SALU_CYCLE_1)
	s_and_b32 s0, s0, s1
	s_and_not1_b32 s1, s16, exec_lo
	s_and_b32 s0, s0, exec_lo
	s_or_b32 s16, s1, s0
	s_or_b32 exec_lo, exec_lo, s17
	s_and_saveexec_b32 s0, s16
	s_cbranch_execz .LBB139_20
.LBB139_23:                             ;   in Loop: Header=BB139_10 Depth=1
	s_waitcnt lgkmcnt(0)
	v_dual_mov_b32 v26, v29 :: v_dual_mov_b32 v25, v28
	s_or_b32 exec_lo, exec_lo, s0
	s_and_saveexec_b32 s16, s2
	s_cbranch_execz .LBB139_21
.LBB139_24:                             ;   in Loop: Header=BB139_10 Depth=1
	s_delay_alu instid0(VALU_DEP_1)
	v_dual_add_f32 v34, v22, v26 :: v_dual_add_nc_u32 v27, s7, v23
	v_cmp_le_i32_e64 s0, s5, v25
	v_cmp_gt_i32_e64 s1, s6, v25
	s_waitcnt lgkmcnt(1)
	v_subrev_nc_u32_e32 v29, s5, v25
	s_waitcnt lgkmcnt(0)
	v_ashrrev_i32_e32 v28, 31, v27
	v_cndmask_b32_e32 v22, v22, v34, vcc_lo
	s_and_b32 s0, s0, s1
	s_delay_alu instid0(SALU_CYCLE_1) | instskip(NEXT) | instid1(VALU_DEP_2)
	s_and_b32 s0, s15, s0
	v_lshlrev_b64 v[27:28], 2, v[27:28]
	v_cndmask_b32_e64 v33, 64, v29, s0
	s_delay_alu instid0(VALU_DEP_2) | instskip(NEXT) | instid1(VALU_DEP_1)
	v_add_co_u32 v29, s0, s12, v27
	v_add_co_ci_u32_e64 v30, s0, s13, v28, s0
	v_add_co_u32 v31, s0, s8, v27
	s_delay_alu instid0(VALU_DEP_1) | instskip(SKIP_1) | instid1(VALU_DEP_1)
	v_add_co_ci_u32_e64 v32, s0, s9, v28, s0
	v_add_co_u32 v27, s0, s10, v27
	v_add_co_ci_u32_e64 v28, s0, s11, v28, s0
	global_store_b32 v[29:30], v26, off
	global_store_b32 v[31:32], v33, off
	;; [unrolled: 1-line block ×3, first 2 shown]
	s_or_b32 exec_lo, exec_lo, s16
	s_add_i32 s7, s7, 1
	s_delay_alu instid0(SALU_CYCLE_1)
	s_cmp_ge_i32 s7, s4
	s_cbranch_scc1 .LBB139_9
.LBB139_25:                             ;   in Loop: Header=BB139_10 Depth=1
	v_ashrrev_i32_e32 v27, 31, v25
	s_mov_b32 s1, exec_lo
	s_delay_alu instid0(VALU_DEP_1) | instskip(NEXT) | instid1(VALU_DEP_1)
	v_lshrrev_b32_e32 v26, 29, v27
	v_add_nc_u32_e32 v26, v25, v26
	s_delay_alu instid0(VALU_DEP_1) | instskip(SKIP_1) | instid1(VALU_DEP_1)
	v_ashrrev_i32_e32 v26, 3, v26
	s_waitcnt lgkmcnt(0)
	v_lshrrev_b32_e32 v28, 29, v26
	s_delay_alu instid0(VALU_DEP_1) | instskip(NEXT) | instid1(VALU_DEP_1)
	v_add_nc_u32_e32 v28, v26, v28
	v_and_b32_e32 v28, -8, v28
	s_delay_alu instid0(VALU_DEP_1) | instskip(NEXT) | instid1(VALU_DEP_1)
	v_sub_nc_u32_e32 v28, v26, v28
	v_cmpx_eq_u32_e64 v17, v28
	s_cbranch_execz .LBB139_8
; %bb.26:                               ;   in Loop: Header=BB139_10 Depth=1
	v_lshrrev_b32_e32 v27, 26, v27
	v_lshlrev_b32_e32 v26, 3, v26
	s_delay_alu instid0(VALU_DEP_2) | instskip(NEXT) | instid1(VALU_DEP_2)
	v_add_nc_u32_e32 v27, v25, v27
	v_sub_nc_u32_e32 v25, v25, v26
	s_delay_alu instid0(VALU_DEP_2) | instskip(NEXT) | instid1(VALU_DEP_1)
	v_ashrrev_i32_e32 v26, 6, v27
	v_lshl_add_u32 v25, v26, 3, v25
	s_delay_alu instid0(VALU_DEP_1) | instskip(NEXT) | instid1(VALU_DEP_1)
	v_cmp_ne_u32_e64 s0, 7, v25
	v_cndmask_b32_e64 v15, 0xc61c4000, v15, s0
	v_cmp_ne_u32_e64 s0, 6, v25
	s_delay_alu instid0(VALU_DEP_1) | instskip(SKIP_1) | instid1(VALU_DEP_1)
	v_cndmask_b32_e64 v14, 0xc61c4000, v14, s0
	v_cmp_ne_u32_e64 s0, 5, v25
	v_cndmask_b32_e64 v13, 0xc61c4000, v13, s0
	v_cmp_ne_u32_e64 s0, 4, v25
	s_delay_alu instid0(VALU_DEP_1) | instskip(SKIP_1) | instid1(VALU_DEP_1)
	v_cndmask_b32_e64 v12, 0xc61c4000, v12, s0
	;; [unrolled: 5-line block ×3, first 2 shown]
	v_cmp_ne_u32_e64 s0, 1, v25
	v_cndmask_b32_e64 v9, 0xc61c4000, v9, s0
	v_cmp_ne_u32_e64 s0, 0, v25
	s_delay_alu instid0(VALU_DEP_1)
	v_cndmask_b32_e64 v8, 0xc61c4000, v8, s0
	s_branch .LBB139_8
.LBB139_27:
                                        ; implicit-def: $vgpr8_vgpr9_vgpr10_vgpr11_vgpr12_vgpr13_vgpr14_vgpr15
	s_and_not1_b32 vcc_lo, exec_lo, s8
	s_cbranch_vccz .LBB139_5
	s_branch .LBB139_6
.LBB139_28:
	v_mov_b32_e32 v22, 0
.LBB139_29:
	v_cmp_eq_u32_e64 s0, 0, v17
	s_delay_alu instid0(VALU_DEP_1) | instskip(NEXT) | instid1(SALU_CYCLE_1)
	s_and_b32 s0, s0, vcc_lo
	s_and_b32 exec_lo, exec_lo, s0
	s_cbranch_execz .LBB139_33
; %bb.30:
	s_and_not1_b32 vcc_lo, exec_lo, s3
	s_cbranch_vccnz .LBB139_33
; %bb.31:
	v_mul_lo_u32 v0, v16, s4
	v_cmp_lt_f32_e32 vcc_lo, 0, v22
	v_cndmask_b32_e32 v2, 1.0, v22, vcc_lo
	s_delay_alu instid0(VALU_DEP_3) | instskip(NEXT) | instid1(VALU_DEP_1)
	v_ashrrev_i32_e32 v1, 31, v0
	v_lshlrev_b64 v[0:1], 2, v[0:1]
	s_delay_alu instid0(VALU_DEP_1) | instskip(NEXT) | instid1(VALU_DEP_2)
	v_add_co_u32 v0, vcc_lo, s12, v0
	v_add_co_ci_u32_e32 v1, vcc_lo, s13, v1, vcc_lo
	.p2align	6
.LBB139_32:                             ; =>This Inner Loop Header: Depth=1
	global_load_b32 v3, v[0:1], off
	s_add_i32 s4, s4, -1
	s_delay_alu instid0(SALU_CYCLE_1) | instskip(SKIP_3) | instid1(VALU_DEP_2)
	s_cmp_lg_u32 s4, 0
	s_waitcnt vmcnt(0)
	v_div_scale_f32 v4, null, v2, v2, v3
	v_div_scale_f32 v7, vcc_lo, v3, v2, v3
	v_rcp_f32_e32 v5, v4
	s_waitcnt_depctr 0xfff
	v_fma_f32 v6, -v4, v5, 1.0
	s_delay_alu instid0(VALU_DEP_1) | instskip(NEXT) | instid1(VALU_DEP_1)
	v_fmac_f32_e32 v5, v6, v5
	v_mul_f32_e32 v6, v7, v5
	s_delay_alu instid0(VALU_DEP_1) | instskip(NEXT) | instid1(VALU_DEP_1)
	v_fma_f32 v8, -v4, v6, v7
	v_fmac_f32_e32 v6, v8, v5
	s_delay_alu instid0(VALU_DEP_1) | instskip(NEXT) | instid1(VALU_DEP_1)
	v_fma_f32 v4, -v4, v6, v7
	v_div_fmas_f32 v4, v4, v5, v6
	s_delay_alu instid0(VALU_DEP_1)
	v_div_fixup_f32 v3, v4, v2, v3
	global_store_b32 v[0:1], v3, off
	v_add_co_u32 v0, vcc_lo, v0, 4
	v_add_co_ci_u32_e32 v1, vcc_lo, 0, v1, vcc_lo
	s_cbranch_scc1 .LBB139_32
.LBB139_33:
	s_nop 0
	s_sendmsg sendmsg(MSG_DEALLOC_VGPRS)
	s_endpgm
	.section	.rodata,"a",@progbits
	.p2align	6, 0x0
	.amdhsa_kernel _ZN4vllm3moe10topkGatingILi8ELi64ELi4ELi16ELi64Ei14__hip_bfloat16LNS0_11ScoringFuncE0EEEvPKT5_PKbPfiPT4_PiiiibPKf
		.amdhsa_group_segment_fixed_size 0
		.amdhsa_private_segment_fixed_size 0
		.amdhsa_kernarg_size 72
		.amdhsa_user_sgpr_count 15
		.amdhsa_user_sgpr_dispatch_ptr 0
		.amdhsa_user_sgpr_queue_ptr 0
		.amdhsa_user_sgpr_kernarg_segment_ptr 1
		.amdhsa_user_sgpr_dispatch_id 0
		.amdhsa_user_sgpr_private_segment_size 0
		.amdhsa_wavefront_size32 1
		.amdhsa_uses_dynamic_stack 0
		.amdhsa_enable_private_segment 0
		.amdhsa_system_sgpr_workgroup_id_x 1
		.amdhsa_system_sgpr_workgroup_id_y 0
		.amdhsa_system_sgpr_workgroup_id_z 0
		.amdhsa_system_sgpr_workgroup_info 0
		.amdhsa_system_vgpr_workitem_id 1
		.amdhsa_next_free_vgpr 37
		.amdhsa_next_free_sgpr 18
		.amdhsa_reserve_vcc 1
		.amdhsa_float_round_mode_32 0
		.amdhsa_float_round_mode_16_64 0
		.amdhsa_float_denorm_mode_32 3
		.amdhsa_float_denorm_mode_16_64 3
		.amdhsa_dx10_clamp 1
		.amdhsa_ieee_mode 1
		.amdhsa_fp16_overflow 0
		.amdhsa_workgroup_processor_mode 1
		.amdhsa_memory_ordered 1
		.amdhsa_forward_progress 0
		.amdhsa_shared_vgpr_count 0
		.amdhsa_exception_fp_ieee_invalid_op 0
		.amdhsa_exception_fp_denorm_src 0
		.amdhsa_exception_fp_ieee_div_zero 0
		.amdhsa_exception_fp_ieee_overflow 0
		.amdhsa_exception_fp_ieee_underflow 0
		.amdhsa_exception_fp_ieee_inexact 0
		.amdhsa_exception_int_div_zero 0
	.end_amdhsa_kernel
	.section	.text._ZN4vllm3moe10topkGatingILi8ELi64ELi4ELi16ELi64Ei14__hip_bfloat16LNS0_11ScoringFuncE0EEEvPKT5_PKbPfiPT4_PiiiibPKf,"axG",@progbits,_ZN4vllm3moe10topkGatingILi8ELi64ELi4ELi16ELi64Ei14__hip_bfloat16LNS0_11ScoringFuncE0EEEvPKT5_PKbPfiPT4_PiiiibPKf,comdat
.Lfunc_end139:
	.size	_ZN4vllm3moe10topkGatingILi8ELi64ELi4ELi16ELi64Ei14__hip_bfloat16LNS0_11ScoringFuncE0EEEvPKT5_PKbPfiPT4_PiiiibPKf, .Lfunc_end139-_ZN4vllm3moe10topkGatingILi8ELi64ELi4ELi16ELi64Ei14__hip_bfloat16LNS0_11ScoringFuncE0EEEvPKT5_PKbPfiPT4_PiiiibPKf
                                        ; -- End function
	.section	.AMDGPU.csdata,"",@progbits
; Kernel info:
; codeLenInByte = 3180
; NumSgprs: 20
; NumVgprs: 37
; ScratchSize: 0
; MemoryBound: 0
; FloatMode: 240
; IeeeMode: 1
; LDSByteSize: 0 bytes/workgroup (compile time only)
; SGPRBlocks: 2
; VGPRBlocks: 4
; NumSGPRsForWavesPerEU: 20
; NumVGPRsForWavesPerEU: 37
; Occupancy: 16
; WaveLimiterHint : 0
; COMPUTE_PGM_RSRC2:SCRATCH_EN: 0
; COMPUTE_PGM_RSRC2:USER_SGPR: 15
; COMPUTE_PGM_RSRC2:TRAP_HANDLER: 0
; COMPUTE_PGM_RSRC2:TGID_X_EN: 1
; COMPUTE_PGM_RSRC2:TGID_Y_EN: 0
; COMPUTE_PGM_RSRC2:TGID_Z_EN: 0
; COMPUTE_PGM_RSRC2:TIDIG_COMP_CNT: 1
	.section	.text._ZN4vllm3moe10topkGatingILi8ELi64ELi4ELi16ELi32Ei14__hip_bfloat16LNS0_11ScoringFuncE0EEEvPKT5_PKbPfiPT4_PiiiibPKf,"axG",@progbits,_ZN4vllm3moe10topkGatingILi8ELi64ELi4ELi16ELi32Ei14__hip_bfloat16LNS0_11ScoringFuncE0EEEvPKT5_PKbPfiPT4_PiiiibPKf,comdat
	.protected	_ZN4vllm3moe10topkGatingILi8ELi64ELi4ELi16ELi32Ei14__hip_bfloat16LNS0_11ScoringFuncE0EEEvPKT5_PKbPfiPT4_PiiiibPKf ; -- Begin function _ZN4vllm3moe10topkGatingILi8ELi64ELi4ELi16ELi32Ei14__hip_bfloat16LNS0_11ScoringFuncE0EEEvPKT5_PKbPfiPT4_PiiiibPKf
	.globl	_ZN4vllm3moe10topkGatingILi8ELi64ELi4ELi16ELi32Ei14__hip_bfloat16LNS0_11ScoringFuncE0EEEvPKT5_PKbPfiPT4_PiiiibPKf
	.p2align	8
	.type	_ZN4vllm3moe10topkGatingILi8ELi64ELi4ELi16ELi32Ei14__hip_bfloat16LNS0_11ScoringFuncE0EEEvPKT5_PKbPfiPT4_PiiiibPKf,@function
_ZN4vllm3moe10topkGatingILi8ELi64ELi4ELi16ELi32Ei14__hip_bfloat16LNS0_11ScoringFuncE0EEEvPKT5_PKbPfiPT4_PiiiibPKf: ; @_ZN4vllm3moe10topkGatingILi8ELi64ELi4ELi16ELi32Ei14__hip_bfloat16LNS0_11ScoringFuncE0EEEvPKT5_PKbPfiPT4_PiiiibPKf
; %bb.0:
	s_load_b32 s14, s[0:1], 0x18
	v_bfe_u32 v1, v0, 10, 10
	v_and_b32_e32 v0, 0x3ff, v0
	s_lshl_b32 s2, s15, 4
	s_delay_alu instid0(VALU_DEP_2) | instskip(NEXT) | instid1(VALU_DEP_2)
	v_lshlrev_b32_e32 v1, 2, v1
	v_lshrrev_b32_e32 v2, 3, v0
	s_delay_alu instid0(VALU_DEP_1) | instskip(SKIP_2) | instid1(VALU_DEP_1)
	v_add3_u32 v16, s2, v1, v2
	s_mov_b32 s2, exec_lo
	s_waitcnt lgkmcnt(0)
	v_cmpx_gt_i32_e64 s14, v16
	s_cbranch_execz .LBB140_33
; %bb.1:
	s_clause 0x1
	s_load_b128 s[4:7], s[0:1], 0x0
	s_load_b64 s[12:13], s[0:1], 0x10
	s_mov_b32 s8, -1
	s_mov_b32 s15, -1
	s_waitcnt lgkmcnt(0)
	s_cmp_eq_u64 s[6:7], 0
	s_cbranch_scc1 .LBB140_3
; %bb.2:
	v_ashrrev_i32_e32 v2, 31, v16
	v_add_co_u32 v1, vcc_lo, s6, v16
	s_delay_alu instid0(VALU_DEP_2) | instskip(SKIP_3) | instid1(VALU_DEP_1)
	v_add_co_ci_u32_e32 v2, vcc_lo, s7, v2, vcc_lo
	global_load_u8 v1, v[1:2], off
	s_waitcnt vmcnt(0)
	v_and_b32_e32 v1, 1, v1
	v_cmp_eq_u32_e32 vcc_lo, 1, v1
	s_xor_b32 s2, vcc_lo, -1
	s_delay_alu instid0(SALU_CYCLE_1)
	s_or_not1_b32 s15, s2, exec_lo
.LBB140_3:
	v_lshlrev_b32_e32 v1, 6, v16
	v_and_b32_e32 v17, 7, v0
	v_mbcnt_lo_u32_b32 v5, -1, 0
	s_load_b64 s[2:3], s[0:1], 0x40
	s_delay_alu instid0(VALU_DEP_3) | instskip(NEXT) | instid1(VALU_DEP_2)
	v_ashrrev_i32_e32 v2, 31, v1
	v_xor_b32_e32 v9, 4, v5
	v_and_b32_e32 v8, 24, v5
	v_xor_b32_e32 v12, 2, v5
	s_delay_alu instid0(VALU_DEP_4) | instskip(SKIP_1) | instid1(VALU_DEP_2)
	v_lshlrev_b64 v[0:1], 1, v[1:2]
	v_lshlrev_b32_e32 v2, 4, v17
	v_add_co_u32 v0, vcc_lo, s4, v0
	s_delay_alu instid0(VALU_DEP_3) | instskip(NEXT) | instid1(VALU_DEP_2)
	v_add_co_ci_u32_e32 v1, vcc_lo, s5, v1, vcc_lo
	v_add_co_u32 v0, vcc_lo, v0, v2
	s_delay_alu instid0(VALU_DEP_2)
	v_add_co_ci_u32_e32 v1, vcc_lo, 0, v1, vcc_lo
	s_waitcnt lgkmcnt(0)
	s_cmp_eq_u64 s[2:3], 0
	global_load_b128 v[0:3], v[0:1], off
	s_waitcnt vmcnt(0)
	v_and_b32_e32 v4, 0xffff0000, v0
	v_lshlrev_b32_e32 v0, 16, v0
	v_lshlrev_b32_e32 v10, 16, v1
	s_delay_alu instid0(VALU_DEP_3) | instskip(NEXT) | instid1(VALU_DEP_3)
	v_dual_max_f32 v6, v4, v4 :: v_dual_and_b32 v1, 0xffff0000, v1
	v_max_f32_e32 v7, v0, v0
	s_delay_alu instid0(VALU_DEP_1) | instskip(SKIP_2) | instid1(VALU_DEP_3)
	v_dual_max_f32 v6, v7, v6 :: v_dual_add_nc_u32 v7, 8, v8
	v_lshlrev_b32_e32 v8, 16, v2
	v_and_b32_e32 v2, 0xffff0000, v2
	v_max3_f32 v6, v6, v10, v1
	s_delay_alu instid0(VALU_DEP_4) | instskip(NEXT) | instid1(VALU_DEP_2)
	v_cmp_lt_i32_e32 vcc_lo, v9, v7
	v_max3_f32 v6, v6, v8, v2
	v_cndmask_b32_e32 v9, v5, v9, vcc_lo
	v_cmp_lt_i32_e32 vcc_lo, v12, v7
	v_lshlrev_b32_e32 v11, 16, v3
	v_and_b32_e32 v3, 0xffff0000, v3
	s_delay_alu instid0(VALU_DEP_4) | instskip(SKIP_1) | instid1(VALU_DEP_3)
	v_lshlrev_b32_e32 v18, 2, v9
	v_cndmask_b32_e32 v12, v5, v12, vcc_lo
	v_max3_f32 v6, v6, v11, v3
	s_delay_alu instid0(VALU_DEP_2) | instskip(SKIP_4) | instid1(VALU_DEP_1)
	v_lshlrev_b32_e32 v19, 2, v12
	v_xor_b32_e32 v12, 1, v5
	ds_bpermute_b32 v9, v18, v6
	v_cmp_lt_i32_e32 vcc_lo, v12, v7
	v_cndmask_b32_e32 v5, v5, v12, vcc_lo
	v_lshlrev_b32_e32 v20, 2, v5
	s_waitcnt lgkmcnt(0)
	v_max_f32_e32 v9, v9, v9
	s_delay_alu instid0(VALU_DEP_1) | instskip(SKIP_3) | instid1(VALU_DEP_1)
	v_max_f32_e32 v6, v6, v9
	ds_bpermute_b32 v9, v19, v6
	s_waitcnt lgkmcnt(0)
	v_max_f32_e32 v7, v9, v9
	v_max_f32_e32 v5, v6, v7
	ds_bpermute_b32 v6, v20, v5
	s_waitcnt lgkmcnt(0)
	v_max_f32_e32 v6, v6, v6
	s_delay_alu instid0(VALU_DEP_1) | instskip(NEXT) | instid1(VALU_DEP_1)
	v_max_f32_e32 v5, v5, v6
	v_sub_f32_e32 v4, v4, v5
	v_sub_f32_e32 v6, v10, v5
	v_sub_f32_e32 v0, v0, v5
	v_sub_f32_e32 v1, v1, v5
	s_delay_alu instid0(VALU_DEP_4) | instskip(NEXT) | instid1(VALU_DEP_4)
	v_mul_f32_e32 v9, 0x3fb8aa3b, v4
	v_dual_sub_f32 v7, v8, v5 :: v_dual_mul_f32 v10, 0x3fb8aa3b, v6
	v_sub_f32_e32 v3, v3, v5
	v_cmp_ngt_f32_e32 vcc_lo, 0xc2ce8ed0, v0
	s_delay_alu instid0(VALU_DEP_4) | instskip(NEXT) | instid1(VALU_DEP_4)
	v_fma_f32 v23, 0x3fb8aa3b, v4, -v9
	v_mul_f32_e32 v12, 0x3fb8aa3b, v7
	s_delay_alu instid0(VALU_DEP_4) | instskip(SKIP_1) | instid1(VALU_DEP_3)
	v_dual_sub_f32 v2, v2, v5 :: v_dual_mul_f32 v15, 0x3fb8aa3b, v3
	v_dual_sub_f32 v8, v11, v5 :: v_dual_mul_f32 v5, 0x3fb8aa3b, v0
	v_fma_f32 v29, 0x3fb8aa3b, v7, -v12
	s_delay_alu instid0(VALU_DEP_3)
	v_mul_f32_e32 v13, 0x3fb8aa3b, v2
	v_rndne_f32_e32 v30, v12
	v_fma_f32 v25, 0x3fb8aa3b, v6, -v10
	v_fma_f32 v21, 0x3fb8aa3b, v0, -v5
	v_rndne_f32_e32 v22, v5
	v_rndne_f32_e32 v26, v10
	v_dual_fmac_f32 v23, 0x32a5705f, v4 :: v_dual_sub_f32 v12, v12, v30
	v_fmac_f32_e32 v29, 0x32a5705f, v7
	v_dual_mul_f32 v11, 0x3fb8aa3b, v1 :: v_dual_mul_f32 v14, 0x3fb8aa3b, v8
	v_rndne_f32_e32 v24, v9
	v_dual_fmac_f32 v21, 0x32a5705f, v0 :: v_dual_sub_f32 v10, v10, v26
	s_delay_alu instid0(VALU_DEP_4) | instskip(SKIP_2) | instid1(VALU_DEP_3)
	v_dual_fmac_f32 v25, 0x32a5705f, v6 :: v_dual_add_f32 v12, v12, v29
	v_sub_f32_e32 v5, v5, v22
	v_rndne_f32_e32 v34, v14
	v_dual_sub_f32 v9, v9, v24 :: v_dual_add_f32 v10, v10, v25
	v_fma_f32 v33, 0x3fb8aa3b, v8, -v14
	s_delay_alu instid0(VALU_DEP_3) | instskip(NEXT) | instid1(VALU_DEP_3)
	v_dual_add_f32 v5, v5, v21 :: v_dual_sub_f32 v14, v14, v34
	v_add_f32_e32 v9, v9, v23
	v_cvt_i32_f32_e32 v22, v22
	v_cvt_i32_f32_e32 v24, v24
	s_delay_alu instid0(VALU_DEP_4)
	v_exp_f32_e32 v5, v5
	v_exp_f32_e32 v10, v10
	v_exp_f32_e32 v9, v9
	v_fma_f32 v27, 0x3fb8aa3b, v1, -v11
	v_rndne_f32_e32 v28, v11
	v_cvt_i32_f32_e32 v26, v26
	v_fmac_f32_e32 v33, 0x32a5705f, v8
	v_rndne_f32_e32 v32, v13
	v_fma_f32 v31, 0x3fb8aa3b, v2, -v13
	v_sub_f32_e32 v11, v11, v28
	v_ldexp_f32 v5, v5, v22
	v_add_f32_e32 v14, v14, v33
	v_ldexp_f32 v9, v9, v24
	v_ldexp_f32 v10, v10, v26
	v_rndne_f32_e32 v36, v15
	v_cndmask_b32_e32 v5, 0, v5, vcc_lo
	v_cmp_ngt_f32_e32 vcc_lo, 0xc2ce8ed0, v4
	v_cvt_i32_f32_e32 v28, v28
	v_fma_f32 v35, 0x3fb8aa3b, v3, -v15
	v_exp_f32_e32 v12, v12
	v_cvt_i32_f32_e32 v30, v30
	v_cndmask_b32_e32 v9, 0, v9, vcc_lo
	v_cmp_ngt_f32_e32 vcc_lo, 0xc2ce8ed0, v6
	v_fmac_f32_e32 v27, 0x32a5705f, v1
	v_fmac_f32_e32 v35, 0x32a5705f, v3
	v_exp_f32_e32 v14, v14
	v_cvt_i32_f32_e32 v21, v34
	s_delay_alu instid0(VALU_DEP_3)
	v_dual_cndmask_b32 v10, 0, v10 :: v_dual_add_f32 v11, v11, v27
	v_cmp_nlt_f32_e32 vcc_lo, 0x42b17218, v0
	v_sub_f32_e32 v13, v13, v32
	v_ldexp_f32 v12, v12, v30
	v_cvt_i32_f32_e32 v32, v32
	v_exp_f32_e32 v11, v11
	v_cndmask_b32_e32 v0, 0x7f800000, v5, vcc_lo
	v_cmp_nlt_f32_e32 vcc_lo, 0x42b17218, v4
	v_fmac_f32_e32 v31, 0x32a5705f, v2
	v_sub_f32_e32 v15, v15, v36
	v_ldexp_f32 v14, v14, v21
	v_cvt_i32_f32_e32 v23, v36
	v_cndmask_b32_e32 v4, 0x7f800000, v9, vcc_lo
	v_cmp_ngt_f32_e32 vcc_lo, 0xc2ce8ed0, v1
	v_add_f32_e32 v13, v13, v31
	v_ldexp_f32 v11, v11, v28
	v_add_f32_e32 v15, v15, v35
	v_add_f32_e32 v9, v0, v4
	v_lshlrev_b32_e32 v21, 3, v17
	v_exp_f32_e32 v13, v13
	v_cndmask_b32_e32 v5, 0, v11, vcc_lo
	v_cmp_nlt_f32_e32 vcc_lo, 0x42b17218, v6
	v_exp_f32_e32 v15, v15
	v_cndmask_b32_e32 v6, 0x7f800000, v10, vcc_lo
	v_cmp_ngt_f32_e32 vcc_lo, 0xc2ce8ed0, v7
	s_waitcnt_depctr 0xfff
	v_ldexp_f32 v13, v13, v32
	v_cndmask_b32_e32 v10, 0, v12, vcc_lo
	v_cmp_nlt_f32_e32 vcc_lo, 0x42b17218, v1
	v_ldexp_f32 v15, v15, v23
	v_cndmask_b32_e32 v1, 0x7f800000, v5, vcc_lo
	v_cmp_ngt_f32_e32 vcc_lo, 0xc2ce8ed0, v2
	v_add_f32_e32 v5, v9, v6
	v_cndmask_b32_e32 v9, 0, v13, vcc_lo
	v_cmp_nlt_f32_e32 vcc_lo, 0x42b17218, v7
	s_delay_alu instid0(VALU_DEP_3) | instskip(SKIP_2) | instid1(VALU_DEP_2)
	v_add_f32_e32 v5, v5, v1
	v_cndmask_b32_e32 v7, 0x7f800000, v10, vcc_lo
	v_cmp_ngt_f32_e32 vcc_lo, 0xc2ce8ed0, v8
	v_dual_add_f32 v5, v5, v7 :: v_dual_cndmask_b32 v10, 0, v14
	v_cmp_nlt_f32_e32 vcc_lo, 0x42b17218, v2
	v_cndmask_b32_e32 v2, 0x7f800000, v9, vcc_lo
	v_cmp_ngt_f32_e32 vcc_lo, 0xc2ce8ed0, v3
	s_delay_alu instid0(VALU_DEP_2) | instskip(SKIP_4) | instid1(VALU_DEP_2)
	v_add_f32_e32 v5, v5, v2
	v_cndmask_b32_e32 v9, 0, v15, vcc_lo
	v_cmp_nlt_f32_e32 vcc_lo, 0x42b17218, v8
	v_cndmask_b32_e32 v8, 0x7f800000, v10, vcc_lo
	v_cmp_nlt_f32_e32 vcc_lo, 0x42b17218, v3
	v_add_f32_e32 v5, v5, v8
	v_cndmask_b32_e32 v3, 0x7f800000, v9, vcc_lo
	s_delay_alu instid0(VALU_DEP_1)
	v_add_f32_e32 v5, v5, v3
	ds_bpermute_b32 v9, v18, v5
	s_waitcnt lgkmcnt(0)
	v_add_f32_e32 v5, v5, v9
	ds_bpermute_b32 v9, v19, v5
	s_waitcnt lgkmcnt(0)
	;; [unrolled: 3-line block ×3, first 2 shown]
	v_add_f32_e32 v5, v5, v9
	s_delay_alu instid0(VALU_DEP_1) | instskip(SKIP_1) | instid1(VALU_DEP_2)
	v_div_scale_f32 v9, null, v5, v5, 1.0
	v_div_scale_f32 v12, vcc_lo, 1.0, v5, 1.0
	v_rcp_f32_e32 v10, v9
	s_waitcnt_depctr 0xfff
	v_fma_f32 v11, -v9, v10, 1.0
	s_delay_alu instid0(VALU_DEP_1) | instskip(NEXT) | instid1(VALU_DEP_1)
	v_fmac_f32_e32 v10, v11, v10
	v_mul_f32_e32 v11, v12, v10
	s_delay_alu instid0(VALU_DEP_1) | instskip(NEXT) | instid1(VALU_DEP_1)
	v_fma_f32 v13, -v9, v11, v12
	v_fmac_f32_e32 v11, v13, v10
	s_delay_alu instid0(VALU_DEP_1) | instskip(NEXT) | instid1(VALU_DEP_1)
	v_fma_f32 v9, -v9, v11, v12
	v_div_fmas_f32 v9, v9, v10, v11
	s_delay_alu instid0(VALU_DEP_1) | instskip(NEXT) | instid1(VALU_DEP_1)
	v_div_fixup_f32 v5, v9, v5, 1.0
	v_mul_f32_e32 v0, v5, v0
	v_mul_f32_e32 v4, v5, v4
	;; [unrolled: 1-line block ×5, first 2 shown]
	v_cmp_class_f32_e64 vcc_lo, v0, 0x1f8
	v_mul_f32_e32 v7, v5, v7
	v_mul_f32_e32 v10, v5, v2
	v_dual_mul_f32 v11, v5, v3 :: v_dual_cndmask_b32 v0, 0, v0
	v_cmp_class_f32_e64 vcc_lo, v4, 0x1f8
	v_cndmask_b32_e32 v1, 0, v4, vcc_lo
	v_cmp_class_f32_e64 vcc_lo, v6, 0x1f8
	v_cndmask_b32_e32 v2, 0, v6, vcc_lo
	;; [unrolled: 2-line block ×7, first 2 shown]
	s_cbranch_scc1 .LBB140_27
; %bb.4:
	v_lshlrev_b32_e32 v12, 2, v21
	s_clause 0x1
	global_load_b128 v[8:11], v12, s[2:3]
	global_load_b128 v[12:15], v12, s[2:3] offset:16
	s_waitcnt vmcnt(1)
	v_dual_add_f32 v11, v11, v3 :: v_dual_add_f32 v8, v8, v0
	v_dual_add_f32 v9, v9, v1 :: v_dual_add_f32 v10, v10, v2
	s_waitcnt vmcnt(0)
	v_dual_add_f32 v13, v13, v5 :: v_dual_add_f32 v12, v12, v4
	v_dual_add_f32 v15, v15, v7 :: v_dual_add_f32 v14, v14, v6
	s_cbranch_execnz .LBB140_6
.LBB140_5:
	v_dual_mov_b32 v15, v7 :: v_dual_mov_b32 v14, v6
	v_dual_mov_b32 v13, v5 :: v_dual_mov_b32 v12, v4
	;; [unrolled: 1-line block ×4, first 2 shown]
.LBB140_6:
	s_load_b128 s[4:7], s[0:1], 0x30
	v_cmp_eq_u32_e64 s2, 0, v17
	s_waitcnt lgkmcnt(0)
	s_bitcmp1_b32 s7, 0
	s_mov_b32 s7, 0
	s_cselect_b32 vcc_lo, -1, 0
	s_cmp_gt_i32 s4, 0
	s_cselect_b32 s3, -1, 0
	s_cmp_lt_i32 s4, 1
	s_cbranch_scc1 .LBB140_28
; %bb.7:
	s_load_b128 s[8:11], s[0:1], 0x20
	v_mul_lo_u32 v23, v16, s4
	v_mov_b32_e32 v22, 0
	v_mov_b32_e32 v24, v16
	s_branch .LBB140_10
.LBB140_8:                              ;   in Loop: Header=BB140_10 Depth=1
	s_or_b32 exec_lo, exec_lo, s1
.LBB140_9:                              ;   in Loop: Header=BB140_10 Depth=1
	v_add_nc_u32_e32 v24, s14, v24
	s_cmp_eq_u32 s4, s7
	s_cbranch_scc1 .LBB140_29
.LBB140_10:                             ; =>This Inner Loop Header: Depth=1
	v_cmp_gt_f32_e64 s0, v9, v8
	s_mov_b32 s17, exec_lo
	s_delay_alu instid0(VALU_DEP_1) | instskip(SKIP_2) | instid1(VALU_DEP_3)
	v_cndmask_b32_e64 v25, v8, v9, s0
	v_cndmask_b32_e64 v26, 0, 1, s0
	;; [unrolled: 1-line block ×3, first 2 shown]
	v_cmp_gt_f32_e64 s1, v10, v25
	s_delay_alu instid0(VALU_DEP_1) | instskip(NEXT) | instid1(VALU_DEP_4)
	v_cndmask_b32_e64 v25, v25, v10, s1
	v_cndmask_b32_e64 v26, v26, 2, s1
	s_delay_alu instid0(VALU_DEP_4) | instskip(NEXT) | instid1(VALU_DEP_3)
	v_cndmask_b32_e64 v27, v27, v2, s1
	v_cmp_gt_f32_e64 s0, v11, v25
	s_delay_alu instid0(VALU_DEP_1) | instskip(NEXT) | instid1(VALU_DEP_4)
	v_cndmask_b32_e64 v25, v25, v11, s0
	v_cndmask_b32_e64 v26, v26, 3, s0
	s_delay_alu instid0(VALU_DEP_4) | instskip(NEXT) | instid1(VALU_DEP_3)
	v_cndmask_b32_e64 v27, v27, v3, s0
	;; [unrolled: 6-line block ×4, first 2 shown]
	v_cmp_gt_f32_e64 s1, v14, v25
	s_delay_alu instid0(VALU_DEP_1) | instskip(NEXT) | instid1(VALU_DEP_4)
	v_cndmask_b32_e64 v25, v25, v14, s1
	v_cndmask_b32_e64 v26, v26, 6, s1
	s_waitcnt lgkmcnt(0)
	v_cndmask_b32_e64 v28, v27, v6, s1
	s_delay_alu instid0(VALU_DEP_3) | instskip(NEXT) | instid1(VALU_DEP_1)
	v_cmp_gt_f32_e64 s0, v15, v25
	v_cndmask_b32_e64 v27, v25, v15, s0
	v_cndmask_b32_e64 v25, v26, 7, s0
	s_delay_alu instid0(VALU_DEP_4)
	v_cndmask_b32_e64 v26, v28, v7, s0
	ds_bpermute_b32 v28, v18, v27
	v_or_b32_e32 v25, v21, v25
	ds_bpermute_b32 v30, v18, v26
	ds_bpermute_b32 v29, v18, v25
	s_waitcnt lgkmcnt(0)
	v_cmp_lt_f32_e64 s16, v27, v28
	v_cmpx_nlt_f32_e32 v27, v28
; %bb.11:                               ;   in Loop: Header=BB140_10 Depth=1
	v_cmp_eq_f32_e64 s0, v27, v28
	v_cmp_lt_i32_e64 s1, v29, v25
	s_delay_alu instid0(VALU_DEP_1) | instskip(SKIP_2) | instid1(SALU_CYCLE_1)
	s_and_b32 s0, s0, s1
	s_and_not1_b32 s1, s16, exec_lo
	s_and_b32 s0, s0, exec_lo
	s_or_b32 s16, s1, s0
; %bb.12:                               ;   in Loop: Header=BB140_10 Depth=1
	s_or_b32 exec_lo, exec_lo, s17
	s_and_saveexec_b32 s0, s16
; %bb.13:                               ;   in Loop: Header=BB140_10 Depth=1
	v_dual_mov_b32 v26, v30 :: v_dual_mov_b32 v27, v28
	v_mov_b32_e32 v25, v29
; %bb.14:                               ;   in Loop: Header=BB140_10 Depth=1
	s_or_b32 exec_lo, exec_lo, s0
	ds_bpermute_b32 v29, v19, v27
	ds_bpermute_b32 v30, v19, v26
	;; [unrolled: 1-line block ×3, first 2 shown]
	s_mov_b32 s17, exec_lo
	s_waitcnt lgkmcnt(2)
	v_cmp_lt_f32_e64 s16, v27, v29
	v_cmpx_nlt_f32_e32 v27, v29
	s_cbranch_execz .LBB140_16
; %bb.15:                               ;   in Loop: Header=BB140_10 Depth=1
	v_cmp_eq_f32_e64 s0, v27, v29
	s_waitcnt lgkmcnt(0)
	v_cmp_lt_i32_e64 s1, v28, v25
	s_delay_alu instid0(VALU_DEP_1) | instskip(SKIP_2) | instid1(SALU_CYCLE_1)
	s_and_b32 s0, s0, s1
	s_and_not1_b32 s1, s16, exec_lo
	s_and_b32 s0, s0, exec_lo
	s_or_b32 s16, s1, s0
.LBB140_16:                             ;   in Loop: Header=BB140_10 Depth=1
	s_or_b32 exec_lo, exec_lo, s17
	s_delay_alu instid0(VALU_DEP_2)
	s_and_saveexec_b32 s0, s16
	s_cbranch_execz .LBB140_18
; %bb.17:                               ;   in Loop: Header=BB140_10 Depth=1
	s_waitcnt lgkmcnt(1)
	v_dual_mov_b32 v26, v30 :: v_dual_mov_b32 v27, v29
	s_waitcnt lgkmcnt(0)
	v_mov_b32_e32 v25, v28
.LBB140_18:                             ;   in Loop: Header=BB140_10 Depth=1
	s_or_b32 exec_lo, exec_lo, s0
	s_waitcnt lgkmcnt(1)
	ds_bpermute_b32 v30, v20, v27
	ds_bpermute_b32 v29, v20, v26
	s_waitcnt lgkmcnt(2)
	ds_bpermute_b32 v28, v20, v25
	s_mov_b32 s17, exec_lo
	s_waitcnt lgkmcnt(2)
	v_cmp_lt_f32_e64 s16, v27, v30
	v_cmpx_nlt_f32_e32 v27, v30
	s_cbranch_execnz .LBB140_22
; %bb.19:                               ;   in Loop: Header=BB140_10 Depth=1
	s_or_b32 exec_lo, exec_lo, s17
	s_delay_alu instid0(VALU_DEP_2)
	s_and_saveexec_b32 s0, s16
	s_cbranch_execnz .LBB140_23
.LBB140_20:                             ;   in Loop: Header=BB140_10 Depth=1
	s_or_b32 exec_lo, exec_lo, s0
	s_and_saveexec_b32 s16, s2
	s_cbranch_execnz .LBB140_24
.LBB140_21:                             ;   in Loop: Header=BB140_10 Depth=1
	s_or_b32 exec_lo, exec_lo, s16
	s_add_i32 s7, s7, 1
	s_delay_alu instid0(SALU_CYCLE_1)
	s_cmp_ge_i32 s7, s4
	s_cbranch_scc1 .LBB140_9
	s_branch .LBB140_25
.LBB140_22:                             ;   in Loop: Header=BB140_10 Depth=1
	v_cmp_eq_f32_e64 s0, v27, v30
	s_waitcnt lgkmcnt(0)
	v_cmp_lt_i32_e64 s1, v28, v25
	s_delay_alu instid0(VALU_DEP_1) | instskip(SKIP_2) | instid1(SALU_CYCLE_1)
	s_and_b32 s0, s0, s1
	s_and_not1_b32 s1, s16, exec_lo
	s_and_b32 s0, s0, exec_lo
	s_or_b32 s16, s1, s0
	s_or_b32 exec_lo, exec_lo, s17
	s_and_saveexec_b32 s0, s16
	s_cbranch_execz .LBB140_20
.LBB140_23:                             ;   in Loop: Header=BB140_10 Depth=1
	s_waitcnt lgkmcnt(0)
	v_dual_mov_b32 v26, v29 :: v_dual_mov_b32 v25, v28
	s_or_b32 exec_lo, exec_lo, s0
	s_and_saveexec_b32 s16, s2
	s_cbranch_execz .LBB140_21
.LBB140_24:                             ;   in Loop: Header=BB140_10 Depth=1
	s_delay_alu instid0(VALU_DEP_1)
	v_dual_add_f32 v34, v22, v26 :: v_dual_add_nc_u32 v27, s7, v23
	v_cmp_le_i32_e64 s0, s5, v25
	v_cmp_gt_i32_e64 s1, s6, v25
	s_waitcnt lgkmcnt(1)
	v_subrev_nc_u32_e32 v29, s5, v25
	s_waitcnt lgkmcnt(0)
	v_ashrrev_i32_e32 v28, 31, v27
	v_cndmask_b32_e32 v22, v22, v34, vcc_lo
	s_and_b32 s0, s0, s1
	s_delay_alu instid0(SALU_CYCLE_1) | instskip(NEXT) | instid1(VALU_DEP_2)
	s_and_b32 s0, s15, s0
	v_lshlrev_b64 v[27:28], 2, v[27:28]
	v_cndmask_b32_e64 v33, 64, v29, s0
	s_delay_alu instid0(VALU_DEP_2) | instskip(NEXT) | instid1(VALU_DEP_1)
	v_add_co_u32 v29, s0, s12, v27
	v_add_co_ci_u32_e64 v30, s0, s13, v28, s0
	v_add_co_u32 v31, s0, s8, v27
	s_delay_alu instid0(VALU_DEP_1) | instskip(SKIP_1) | instid1(VALU_DEP_1)
	v_add_co_ci_u32_e64 v32, s0, s9, v28, s0
	v_add_co_u32 v27, s0, s10, v27
	v_add_co_ci_u32_e64 v28, s0, s11, v28, s0
	global_store_b32 v[29:30], v26, off
	global_store_b32 v[31:32], v33, off
	;; [unrolled: 1-line block ×3, first 2 shown]
	s_or_b32 exec_lo, exec_lo, s16
	s_add_i32 s7, s7, 1
	s_delay_alu instid0(SALU_CYCLE_1)
	s_cmp_ge_i32 s7, s4
	s_cbranch_scc1 .LBB140_9
.LBB140_25:                             ;   in Loop: Header=BB140_10 Depth=1
	v_ashrrev_i32_e32 v27, 31, v25
	s_mov_b32 s1, exec_lo
	s_delay_alu instid0(VALU_DEP_1) | instskip(NEXT) | instid1(VALU_DEP_1)
	v_lshrrev_b32_e32 v26, 29, v27
	v_add_nc_u32_e32 v26, v25, v26
	s_delay_alu instid0(VALU_DEP_1) | instskip(SKIP_1) | instid1(VALU_DEP_1)
	v_ashrrev_i32_e32 v26, 3, v26
	s_waitcnt lgkmcnt(0)
	v_lshrrev_b32_e32 v28, 29, v26
	s_delay_alu instid0(VALU_DEP_1) | instskip(NEXT) | instid1(VALU_DEP_1)
	v_add_nc_u32_e32 v28, v26, v28
	v_and_b32_e32 v28, -8, v28
	s_delay_alu instid0(VALU_DEP_1) | instskip(NEXT) | instid1(VALU_DEP_1)
	v_sub_nc_u32_e32 v28, v26, v28
	v_cmpx_eq_u32_e64 v17, v28
	s_cbranch_execz .LBB140_8
; %bb.26:                               ;   in Loop: Header=BB140_10 Depth=1
	v_lshrrev_b32_e32 v27, 26, v27
	v_lshlrev_b32_e32 v26, 3, v26
	s_delay_alu instid0(VALU_DEP_2) | instskip(NEXT) | instid1(VALU_DEP_2)
	v_add_nc_u32_e32 v27, v25, v27
	v_sub_nc_u32_e32 v25, v25, v26
	s_delay_alu instid0(VALU_DEP_2) | instskip(NEXT) | instid1(VALU_DEP_1)
	v_ashrrev_i32_e32 v26, 6, v27
	v_lshl_add_u32 v25, v26, 3, v25
	s_delay_alu instid0(VALU_DEP_1) | instskip(NEXT) | instid1(VALU_DEP_1)
	v_cmp_ne_u32_e64 s0, 7, v25
	v_cndmask_b32_e64 v15, 0xc61c4000, v15, s0
	v_cmp_ne_u32_e64 s0, 6, v25
	s_delay_alu instid0(VALU_DEP_1) | instskip(SKIP_1) | instid1(VALU_DEP_1)
	v_cndmask_b32_e64 v14, 0xc61c4000, v14, s0
	v_cmp_ne_u32_e64 s0, 5, v25
	v_cndmask_b32_e64 v13, 0xc61c4000, v13, s0
	v_cmp_ne_u32_e64 s0, 4, v25
	s_delay_alu instid0(VALU_DEP_1) | instskip(SKIP_1) | instid1(VALU_DEP_1)
	v_cndmask_b32_e64 v12, 0xc61c4000, v12, s0
	;; [unrolled: 5-line block ×3, first 2 shown]
	v_cmp_ne_u32_e64 s0, 1, v25
	v_cndmask_b32_e64 v9, 0xc61c4000, v9, s0
	v_cmp_ne_u32_e64 s0, 0, v25
	s_delay_alu instid0(VALU_DEP_1)
	v_cndmask_b32_e64 v8, 0xc61c4000, v8, s0
	s_branch .LBB140_8
.LBB140_27:
                                        ; implicit-def: $vgpr8_vgpr9_vgpr10_vgpr11_vgpr12_vgpr13_vgpr14_vgpr15
	s_and_not1_b32 vcc_lo, exec_lo, s8
	s_cbranch_vccz .LBB140_5
	s_branch .LBB140_6
.LBB140_28:
	v_mov_b32_e32 v22, 0
.LBB140_29:
	v_cmp_eq_u32_e64 s0, 0, v17
	s_delay_alu instid0(VALU_DEP_1) | instskip(NEXT) | instid1(SALU_CYCLE_1)
	s_and_b32 s0, s0, vcc_lo
	s_and_b32 exec_lo, exec_lo, s0
	s_cbranch_execz .LBB140_33
; %bb.30:
	s_and_not1_b32 vcc_lo, exec_lo, s3
	s_cbranch_vccnz .LBB140_33
; %bb.31:
	v_mul_lo_u32 v0, v16, s4
	v_cmp_lt_f32_e32 vcc_lo, 0, v22
	v_cndmask_b32_e32 v2, 1.0, v22, vcc_lo
	s_delay_alu instid0(VALU_DEP_3) | instskip(NEXT) | instid1(VALU_DEP_1)
	v_ashrrev_i32_e32 v1, 31, v0
	v_lshlrev_b64 v[0:1], 2, v[0:1]
	s_delay_alu instid0(VALU_DEP_1) | instskip(NEXT) | instid1(VALU_DEP_2)
	v_add_co_u32 v0, vcc_lo, s12, v0
	v_add_co_ci_u32_e32 v1, vcc_lo, s13, v1, vcc_lo
	.p2align	6
.LBB140_32:                             ; =>This Inner Loop Header: Depth=1
	global_load_b32 v3, v[0:1], off
	s_add_i32 s4, s4, -1
	s_delay_alu instid0(SALU_CYCLE_1) | instskip(SKIP_3) | instid1(VALU_DEP_2)
	s_cmp_lg_u32 s4, 0
	s_waitcnt vmcnt(0)
	v_div_scale_f32 v4, null, v2, v2, v3
	v_div_scale_f32 v7, vcc_lo, v3, v2, v3
	v_rcp_f32_e32 v5, v4
	s_waitcnt_depctr 0xfff
	v_fma_f32 v6, -v4, v5, 1.0
	s_delay_alu instid0(VALU_DEP_1) | instskip(NEXT) | instid1(VALU_DEP_1)
	v_fmac_f32_e32 v5, v6, v5
	v_mul_f32_e32 v6, v7, v5
	s_delay_alu instid0(VALU_DEP_1) | instskip(NEXT) | instid1(VALU_DEP_1)
	v_fma_f32 v8, -v4, v6, v7
	v_fmac_f32_e32 v6, v8, v5
	s_delay_alu instid0(VALU_DEP_1) | instskip(NEXT) | instid1(VALU_DEP_1)
	v_fma_f32 v4, -v4, v6, v7
	v_div_fmas_f32 v4, v4, v5, v6
	s_delay_alu instid0(VALU_DEP_1)
	v_div_fixup_f32 v3, v4, v2, v3
	global_store_b32 v[0:1], v3, off
	v_add_co_u32 v0, vcc_lo, v0, 4
	v_add_co_ci_u32_e32 v1, vcc_lo, 0, v1, vcc_lo
	s_cbranch_scc1 .LBB140_32
.LBB140_33:
	s_nop 0
	s_sendmsg sendmsg(MSG_DEALLOC_VGPRS)
	s_endpgm
	.section	.rodata,"a",@progbits
	.p2align	6, 0x0
	.amdhsa_kernel _ZN4vllm3moe10topkGatingILi8ELi64ELi4ELi16ELi32Ei14__hip_bfloat16LNS0_11ScoringFuncE0EEEvPKT5_PKbPfiPT4_PiiiibPKf
		.amdhsa_group_segment_fixed_size 0
		.amdhsa_private_segment_fixed_size 0
		.amdhsa_kernarg_size 72
		.amdhsa_user_sgpr_count 15
		.amdhsa_user_sgpr_dispatch_ptr 0
		.amdhsa_user_sgpr_queue_ptr 0
		.amdhsa_user_sgpr_kernarg_segment_ptr 1
		.amdhsa_user_sgpr_dispatch_id 0
		.amdhsa_user_sgpr_private_segment_size 0
		.amdhsa_wavefront_size32 1
		.amdhsa_uses_dynamic_stack 0
		.amdhsa_enable_private_segment 0
		.amdhsa_system_sgpr_workgroup_id_x 1
		.amdhsa_system_sgpr_workgroup_id_y 0
		.amdhsa_system_sgpr_workgroup_id_z 0
		.amdhsa_system_sgpr_workgroup_info 0
		.amdhsa_system_vgpr_workitem_id 1
		.amdhsa_next_free_vgpr 37
		.amdhsa_next_free_sgpr 18
		.amdhsa_reserve_vcc 1
		.amdhsa_float_round_mode_32 0
		.amdhsa_float_round_mode_16_64 0
		.amdhsa_float_denorm_mode_32 3
		.amdhsa_float_denorm_mode_16_64 3
		.amdhsa_dx10_clamp 1
		.amdhsa_ieee_mode 1
		.amdhsa_fp16_overflow 0
		.amdhsa_workgroup_processor_mode 1
		.amdhsa_memory_ordered 1
		.amdhsa_forward_progress 0
		.amdhsa_shared_vgpr_count 0
		.amdhsa_exception_fp_ieee_invalid_op 0
		.amdhsa_exception_fp_denorm_src 0
		.amdhsa_exception_fp_ieee_div_zero 0
		.amdhsa_exception_fp_ieee_overflow 0
		.amdhsa_exception_fp_ieee_underflow 0
		.amdhsa_exception_fp_ieee_inexact 0
		.amdhsa_exception_int_div_zero 0
	.end_amdhsa_kernel
	.section	.text._ZN4vllm3moe10topkGatingILi8ELi64ELi4ELi16ELi32Ei14__hip_bfloat16LNS0_11ScoringFuncE0EEEvPKT5_PKbPfiPT4_PiiiibPKf,"axG",@progbits,_ZN4vllm3moe10topkGatingILi8ELi64ELi4ELi16ELi32Ei14__hip_bfloat16LNS0_11ScoringFuncE0EEEvPKT5_PKbPfiPT4_PiiiibPKf,comdat
.Lfunc_end140:
	.size	_ZN4vllm3moe10topkGatingILi8ELi64ELi4ELi16ELi32Ei14__hip_bfloat16LNS0_11ScoringFuncE0EEEvPKT5_PKbPfiPT4_PiiiibPKf, .Lfunc_end140-_ZN4vllm3moe10topkGatingILi8ELi64ELi4ELi16ELi32Ei14__hip_bfloat16LNS0_11ScoringFuncE0EEEvPKT5_PKbPfiPT4_PiiiibPKf
                                        ; -- End function
	.section	.AMDGPU.csdata,"",@progbits
; Kernel info:
; codeLenInByte = 3180
; NumSgprs: 20
; NumVgprs: 37
; ScratchSize: 0
; MemoryBound: 0
; FloatMode: 240
; IeeeMode: 1
; LDSByteSize: 0 bytes/workgroup (compile time only)
; SGPRBlocks: 2
; VGPRBlocks: 4
; NumSGPRsForWavesPerEU: 20
; NumVGPRsForWavesPerEU: 37
; Occupancy: 16
; WaveLimiterHint : 0
; COMPUTE_PGM_RSRC2:SCRATCH_EN: 0
; COMPUTE_PGM_RSRC2:USER_SGPR: 15
; COMPUTE_PGM_RSRC2:TRAP_HANDLER: 0
; COMPUTE_PGM_RSRC2:TGID_X_EN: 1
; COMPUTE_PGM_RSRC2:TGID_Y_EN: 0
; COMPUTE_PGM_RSRC2:TGID_Z_EN: 0
; COMPUTE_PGM_RSRC2:TIDIG_COMP_CNT: 1
	.section	.text._ZN4vllm3moe10topkGatingILi8ELi128ELi4ELi16ELi64Ei14__hip_bfloat16LNS0_11ScoringFuncE0EEEvPKT5_PKbPfiPT4_PiiiibPKf,"axG",@progbits,_ZN4vllm3moe10topkGatingILi8ELi128ELi4ELi16ELi64Ei14__hip_bfloat16LNS0_11ScoringFuncE0EEEvPKT5_PKbPfiPT4_PiiiibPKf,comdat
	.protected	_ZN4vllm3moe10topkGatingILi8ELi128ELi4ELi16ELi64Ei14__hip_bfloat16LNS0_11ScoringFuncE0EEEvPKT5_PKbPfiPT4_PiiiibPKf ; -- Begin function _ZN4vllm3moe10topkGatingILi8ELi128ELi4ELi16ELi64Ei14__hip_bfloat16LNS0_11ScoringFuncE0EEEvPKT5_PKbPfiPT4_PiiiibPKf
	.globl	_ZN4vllm3moe10topkGatingILi8ELi128ELi4ELi16ELi64Ei14__hip_bfloat16LNS0_11ScoringFuncE0EEEvPKT5_PKbPfiPT4_PiiiibPKf
	.p2align	8
	.type	_ZN4vllm3moe10topkGatingILi8ELi128ELi4ELi16ELi64Ei14__hip_bfloat16LNS0_11ScoringFuncE0EEEvPKT5_PKbPfiPT4_PiiiibPKf,@function
_ZN4vllm3moe10topkGatingILi8ELi128ELi4ELi16ELi64Ei14__hip_bfloat16LNS0_11ScoringFuncE0EEEvPKT5_PKbPfiPT4_PiiiibPKf: ; @_ZN4vllm3moe10topkGatingILi8ELi128ELi4ELi16ELi64Ei14__hip_bfloat16LNS0_11ScoringFuncE0EEEvPKT5_PKbPfiPT4_PiiiibPKf
; %bb.0:
	s_load_b32 s14, s[0:1], 0x18
	v_bfe_u32 v1, v0, 10, 10
	v_and_b32_e32 v0, 0x3ff, v0
	s_lshl_b32 s2, s15, 4
	s_delay_alu instid0(VALU_DEP_2) | instskip(NEXT) | instid1(VALU_DEP_2)
	v_lshlrev_b32_e32 v1, 2, v1
	v_lshrrev_b32_e32 v2, 4, v0
	s_delay_alu instid0(VALU_DEP_1) | instskip(SKIP_2) | instid1(VALU_DEP_1)
	v_add3_u32 v16, s2, v1, v2
	s_mov_b32 s2, exec_lo
	s_waitcnt lgkmcnt(0)
	v_cmpx_gt_i32_e64 s14, v16
	s_cbranch_execz .LBB141_37
; %bb.1:
	s_clause 0x1
	s_load_b128 s[4:7], s[0:1], 0x0
	s_load_b64 s[12:13], s[0:1], 0x10
	s_mov_b32 s8, -1
	s_mov_b32 s15, -1
	s_waitcnt lgkmcnt(0)
	s_cmp_eq_u64 s[6:7], 0
	s_cbranch_scc1 .LBB141_3
; %bb.2:
	v_ashrrev_i32_e32 v2, 31, v16
	v_add_co_u32 v1, vcc_lo, s6, v16
	s_delay_alu instid0(VALU_DEP_2) | instskip(SKIP_3) | instid1(VALU_DEP_1)
	v_add_co_ci_u32_e32 v2, vcc_lo, s7, v2, vcc_lo
	global_load_u8 v1, v[1:2], off
	s_waitcnt vmcnt(0)
	v_and_b32_e32 v1, 1, v1
	v_cmp_eq_u32_e32 vcc_lo, 1, v1
	s_xor_b32 s2, vcc_lo, -1
	s_delay_alu instid0(SALU_CYCLE_1)
	s_or_not1_b32 s15, s2, exec_lo
.LBB141_3:
	v_lshlrev_b32_e32 v1, 7, v16
	v_and_b32_e32 v17, 15, v0
	v_mbcnt_lo_u32_b32 v5, -1, 0
	s_load_b64 s[2:3], s[0:1], 0x40
	s_delay_alu instid0(VALU_DEP_3) | instskip(NEXT) | instid1(VALU_DEP_2)
	v_ashrrev_i32_e32 v2, 31, v1
	v_xor_b32_e32 v9, 8, v5
	v_and_b32_e32 v8, 16, v5
	v_xor_b32_e32 v12, 4, v5
	s_delay_alu instid0(VALU_DEP_4) | instskip(SKIP_1) | instid1(VALU_DEP_2)
	v_lshlrev_b64 v[0:1], 1, v[1:2]
	v_lshlrev_b32_e32 v2, 4, v17
	v_add_co_u32 v0, vcc_lo, s4, v0
	s_delay_alu instid0(VALU_DEP_3) | instskip(NEXT) | instid1(VALU_DEP_2)
	v_add_co_ci_u32_e32 v1, vcc_lo, s5, v1, vcc_lo
	v_add_co_u32 v0, vcc_lo, v0, v2
	s_delay_alu instid0(VALU_DEP_2)
	v_add_co_ci_u32_e32 v1, vcc_lo, 0, v1, vcc_lo
	s_waitcnt lgkmcnt(0)
	s_cmp_eq_u64 s[2:3], 0
	global_load_b128 v[0:3], v[0:1], off
	s_waitcnt vmcnt(0)
	v_and_b32_e32 v4, 0xffff0000, v0
	v_lshlrev_b32_e32 v0, 16, v0
	v_lshlrev_b32_e32 v10, 16, v1
	s_delay_alu instid0(VALU_DEP_3) | instskip(NEXT) | instid1(VALU_DEP_3)
	v_dual_max_f32 v6, v4, v4 :: v_dual_and_b32 v1, 0xffff0000, v1
	v_max_f32_e32 v7, v0, v0
	s_delay_alu instid0(VALU_DEP_1) | instskip(SKIP_2) | instid1(VALU_DEP_3)
	v_dual_max_f32 v6, v7, v6 :: v_dual_add_nc_u32 v7, 16, v8
	v_lshlrev_b32_e32 v8, 16, v2
	v_and_b32_e32 v2, 0xffff0000, v2
	v_max3_f32 v6, v6, v10, v1
	s_delay_alu instid0(VALU_DEP_4) | instskip(NEXT) | instid1(VALU_DEP_2)
	v_cmp_lt_i32_e32 vcc_lo, v9, v7
	v_max3_f32 v6, v6, v8, v2
	v_cndmask_b32_e32 v9, v5, v9, vcc_lo
	v_cmp_lt_i32_e32 vcc_lo, v12, v7
	v_lshlrev_b32_e32 v11, 16, v3
	s_delay_alu instid0(VALU_DEP_3) | instskip(SKIP_1) | instid1(VALU_DEP_1)
	v_lshlrev_b32_e32 v18, 2, v9
	v_cndmask_b32_e32 v12, v5, v12, vcc_lo
	v_lshlrev_b32_e32 v19, 2, v12
	v_xor_b32_e32 v12, 2, v5
	v_and_b32_e32 v3, 0xffff0000, v3
	s_delay_alu instid0(VALU_DEP_1) | instskip(SKIP_3) | instid1(VALU_DEP_1)
	v_max3_f32 v6, v6, v11, v3
	ds_bpermute_b32 v9, v18, v6
	s_waitcnt lgkmcnt(0)
	v_max_f32_e32 v9, v9, v9
	v_max_f32_e32 v6, v6, v9
	ds_bpermute_b32 v9, v19, v6
	s_waitcnt lgkmcnt(0)
	v_max_f32_e32 v9, v9, v9
	s_delay_alu instid0(VALU_DEP_1) | instskip(SKIP_2) | instid1(VALU_DEP_1)
	v_max_f32_e32 v6, v6, v9
	v_cmp_lt_i32_e32 vcc_lo, v12, v7
	v_cndmask_b32_e32 v12, v5, v12, vcc_lo
	v_lshlrev_b32_e32 v20, 2, v12
	v_xor_b32_e32 v12, 1, v5
	ds_bpermute_b32 v9, v20, v6
	v_cmp_lt_i32_e32 vcc_lo, v12, v7
	v_cndmask_b32_e32 v5, v5, v12, vcc_lo
	s_delay_alu instid0(VALU_DEP_1) | instskip(SKIP_2) | instid1(VALU_DEP_1)
	v_lshlrev_b32_e32 v21, 2, v5
	s_waitcnt lgkmcnt(0)
	v_max_f32_e32 v7, v9, v9
	v_max_f32_e32 v5, v6, v7
	ds_bpermute_b32 v6, v21, v5
	s_waitcnt lgkmcnt(0)
	v_max_f32_e32 v6, v6, v6
	s_delay_alu instid0(VALU_DEP_1) | instskip(NEXT) | instid1(VALU_DEP_1)
	v_max_f32_e32 v5, v5, v6
	v_sub_f32_e32 v7, v8, v5
	v_sub_f32_e32 v3, v3, v5
	;; [unrolled: 1-line block ×6, first 2 shown]
	v_dual_mul_f32 v15, 0x3fb8aa3b, v3 :: v_dual_sub_f32 v6, v10, v5
	v_dual_sub_f32 v8, v11, v5 :: v_dual_mul_f32 v9, 0x3fb8aa3b, v4
	v_mul_f32_e32 v5, 0x3fb8aa3b, v0
	v_mul_f32_e32 v13, 0x3fb8aa3b, v2
	s_delay_alu instid0(VALU_DEP_4)
	v_mul_f32_e32 v10, 0x3fb8aa3b, v6
	v_cmp_ngt_f32_e32 vcc_lo, 0xc2ce8ed0, v0
	v_fma_f32 v24, 0x3fb8aa3b, v4, -v9
	v_fma_f32 v22, 0x3fb8aa3b, v0, -v5
	v_rndne_f32_e32 v23, v5
	v_rndne_f32_e32 v27, v10
	v_mul_f32_e32 v11, 0x3fb8aa3b, v1
	v_rndne_f32_e32 v25, v9
	v_fma_f32 v26, 0x3fb8aa3b, v6, -v10
	v_dual_fmac_f32 v22, 0x32a5705f, v0 :: v_dual_sub_f32 v5, v5, v23
	s_delay_alu instid0(VALU_DEP_3)
	v_dual_mul_f32 v14, 0x3fb8aa3b, v8 :: v_dual_sub_f32 v9, v9, v25
	v_mul_f32_e32 v12, 0x3fb8aa3b, v7
	v_sub_f32_e32 v10, v10, v27
	v_fma_f32 v28, 0x3fb8aa3b, v1, -v11
	v_rndne_f32_e32 v29, v11
	v_fmac_f32_e32 v24, 0x32a5705f, v4
	v_rndne_f32_e32 v31, v12
	s_delay_alu instid0(VALU_DEP_4) | instskip(SKIP_1) | instid1(VALU_DEP_3)
	v_dual_add_f32 v5, v5, v22 :: v_dual_fmac_f32 v28, 0x32a5705f, v1
	v_fma_f32 v30, 0x3fb8aa3b, v7, -v12
	v_dual_sub_f32 v11, v11, v29 :: v_dual_sub_f32 v12, v12, v31
	v_add_f32_e32 v9, v9, v24
	s_delay_alu instid0(VALU_DEP_4)
	v_exp_f32_e32 v5, v5
	v_cvt_i32_f32_e32 v23, v23
	v_fma_f32 v34, 0x3fb8aa3b, v8, -v14
	v_cvt_i32_f32_e32 v25, v25
	v_exp_f32_e32 v9, v9
	v_fma_f32 v32, 0x3fb8aa3b, v2, -v13
	v_rndne_f32_e32 v33, v13
	v_fma_f32 v36, 0x3fb8aa3b, v3, -v15
	v_rndne_f32_e32 v37, v15
	v_fmac_f32_e32 v26, 0x32a5705f, v6
	v_ldexp_f32 v5, v5, v23
	v_dual_sub_f32 v13, v13, v33 :: v_dual_fmac_f32 v34, 0x32a5705f, v8
	v_rndne_f32_e32 v35, v14
	s_delay_alu instid0(TRANS32_DEP_1) | instskip(NEXT) | instid1(VALU_DEP_4)
	v_ldexp_f32 v9, v9, v25
	v_cndmask_b32_e32 v5, 0, v5, vcc_lo
	v_cmp_ngt_f32_e32 vcc_lo, 0xc2ce8ed0, v4
	v_dual_fmac_f32 v30, 0x32a5705f, v7 :: v_dual_sub_f32 v15, v15, v37
	v_dual_fmac_f32 v32, 0x32a5705f, v2 :: v_dual_add_f32 v11, v11, v28
	v_dual_fmac_f32 v36, 0x32a5705f, v3 :: v_dual_cndmask_b32 v9, 0, v9
	v_add_f32_e32 v10, v10, v26
	s_delay_alu instid0(VALU_DEP_3) | instskip(NEXT) | instid1(VALU_DEP_3)
	v_dual_sub_f32 v14, v14, v35 :: v_dual_add_f32 v13, v13, v32
	v_add_f32_e32 v15, v15, v36
	v_cvt_i32_f32_e32 v27, v27
	s_delay_alu instid0(VALU_DEP_4)
	v_exp_f32_e32 v10, v10
	v_cvt_i32_f32_e32 v33, v33
	v_exp_f32_e32 v13, v13
	v_cmp_ngt_f32_e32 vcc_lo, 0xc2ce8ed0, v6
	v_exp_f32_e32 v11, v11
	v_cvt_i32_f32_e32 v29, v29
	v_cvt_i32_f32_e32 v31, v31
	v_exp_f32_e32 v15, v15
	v_cvt_i32_f32_e32 v24, v37
	v_cvt_i32_f32_e32 v22, v35
	v_ldexp_f32 v10, v10, v27
	s_delay_alu instid0(TRANS32_DEP_3) | instskip(NEXT) | instid1(TRANS32_DEP_2)
	v_ldexp_f32 v13, v13, v33
	v_ldexp_f32 v11, v11, v29
	s_delay_alu instid0(VALU_DEP_3) | instskip(SKIP_1) | instid1(TRANS32_DEP_1)
	v_cndmask_b32_e32 v10, 0, v10, vcc_lo
	v_cmp_nlt_f32_e32 vcc_lo, 0x42b17218, v0
	v_ldexp_f32 v15, v15, v24
	v_cndmask_b32_e32 v0, 0x7f800000, v5, vcc_lo
	v_cmp_nlt_f32_e32 vcc_lo, 0x42b17218, v4
	v_cndmask_b32_e32 v4, 0x7f800000, v9, vcc_lo
	v_cmp_ngt_f32_e32 vcc_lo, 0xc2ce8ed0, v1
	v_add_f32_e32 v12, v12, v30
	s_delay_alu instid0(VALU_DEP_3) | instskip(SKIP_1) | instid1(VALU_DEP_3)
	v_dual_add_f32 v14, v14, v34 :: v_dual_add_f32 v9, v0, v4
	v_cndmask_b32_e32 v5, 0, v11, vcc_lo
	v_exp_f32_e32 v12, v12
	v_cmp_nlt_f32_e32 vcc_lo, 0x42b17218, v6
	s_delay_alu instid0(VALU_DEP_3)
	v_exp_f32_e32 v14, v14
	v_cndmask_b32_e32 v6, 0x7f800000, v10, vcc_lo
	v_cmp_ngt_f32_e32 vcc_lo, 0xc2ce8ed0, v7
	s_waitcnt_depctr 0xfff
	v_ldexp_f32 v12, v12, v31
	v_ldexp_f32 v14, v14, v22
	v_lshlrev_b32_e32 v22, 3, v17
	s_delay_alu instid0(VALU_DEP_3)
	v_cndmask_b32_e32 v10, 0, v12, vcc_lo
	v_cmp_nlt_f32_e32 vcc_lo, 0x42b17218, v1
	v_cndmask_b32_e32 v1, 0x7f800000, v5, vcc_lo
	v_cmp_ngt_f32_e32 vcc_lo, 0xc2ce8ed0, v2
	v_add_f32_e32 v5, v9, v6
	v_cndmask_b32_e32 v9, 0, v13, vcc_lo
	v_cmp_nlt_f32_e32 vcc_lo, 0x42b17218, v7
	s_delay_alu instid0(VALU_DEP_3) | instskip(SKIP_2) | instid1(VALU_DEP_2)
	v_add_f32_e32 v5, v5, v1
	v_cndmask_b32_e32 v7, 0x7f800000, v10, vcc_lo
	v_cmp_ngt_f32_e32 vcc_lo, 0xc2ce8ed0, v8
	v_dual_add_f32 v5, v5, v7 :: v_dual_cndmask_b32 v10, 0, v14
	v_cmp_nlt_f32_e32 vcc_lo, 0x42b17218, v2
	v_cndmask_b32_e32 v2, 0x7f800000, v9, vcc_lo
	v_cmp_ngt_f32_e32 vcc_lo, 0xc2ce8ed0, v3
	s_delay_alu instid0(VALU_DEP_2) | instskip(SKIP_4) | instid1(VALU_DEP_2)
	v_add_f32_e32 v5, v5, v2
	v_cndmask_b32_e32 v9, 0, v15, vcc_lo
	v_cmp_nlt_f32_e32 vcc_lo, 0x42b17218, v8
	v_cndmask_b32_e32 v8, 0x7f800000, v10, vcc_lo
	v_cmp_nlt_f32_e32 vcc_lo, 0x42b17218, v3
	v_add_f32_e32 v5, v5, v8
	v_cndmask_b32_e32 v3, 0x7f800000, v9, vcc_lo
	s_delay_alu instid0(VALU_DEP_1)
	v_add_f32_e32 v5, v5, v3
	ds_bpermute_b32 v9, v18, v5
	s_waitcnt lgkmcnt(0)
	v_add_f32_e32 v5, v5, v9
	ds_bpermute_b32 v9, v19, v5
	s_waitcnt lgkmcnt(0)
	;; [unrolled: 3-line block ×4, first 2 shown]
	v_add_f32_e32 v5, v5, v9
	s_delay_alu instid0(VALU_DEP_1) | instskip(SKIP_1) | instid1(VALU_DEP_2)
	v_div_scale_f32 v9, null, v5, v5, 1.0
	v_div_scale_f32 v12, vcc_lo, 1.0, v5, 1.0
	v_rcp_f32_e32 v10, v9
	s_waitcnt_depctr 0xfff
	v_fma_f32 v11, -v9, v10, 1.0
	s_delay_alu instid0(VALU_DEP_1) | instskip(NEXT) | instid1(VALU_DEP_1)
	v_fmac_f32_e32 v10, v11, v10
	v_mul_f32_e32 v11, v12, v10
	s_delay_alu instid0(VALU_DEP_1) | instskip(NEXT) | instid1(VALU_DEP_1)
	v_fma_f32 v13, -v9, v11, v12
	v_fmac_f32_e32 v11, v13, v10
	s_delay_alu instid0(VALU_DEP_1) | instskip(NEXT) | instid1(VALU_DEP_1)
	v_fma_f32 v9, -v9, v11, v12
	v_div_fmas_f32 v9, v9, v10, v11
	s_delay_alu instid0(VALU_DEP_1) | instskip(NEXT) | instid1(VALU_DEP_1)
	v_div_fixup_f32 v5, v9, v5, 1.0
	v_mul_f32_e32 v4, v5, v4
	v_mul_f32_e32 v0, v5, v0
	v_mul_f32_e32 v9, v5, v1
	v_mul_f32_e32 v7, v5, v7
	v_mul_f32_e32 v10, v5, v2
	v_mul_f32_e32 v11, v5, v3
	v_cmp_class_f32_e64 vcc_lo, v0, 0x1f8
	v_cndmask_b32_e32 v0, 0, v0, vcc_lo
	v_cmp_class_f32_e64 vcc_lo, v4, 0x1f8
	v_dual_mul_f32 v6, v5, v6 :: v_dual_cndmask_b32 v1, 0, v4
	s_delay_alu instid0(VALU_DEP_1)
	v_cmp_class_f32_e64 vcc_lo, v6, 0x1f8
	v_cndmask_b32_e32 v2, 0, v6, vcc_lo
	v_cmp_class_f32_e64 vcc_lo, v9, 0x1f8
	v_cndmask_b32_e32 v3, 0, v9, vcc_lo
	;; [unrolled: 2-line block ×3, first 2 shown]
	v_cmp_class_f32_e64 vcc_lo, v10, 0x1f8
	v_dual_mul_f32 v8, v5, v8 :: v_dual_cndmask_b32 v5, 0, v10
	s_delay_alu instid0(VALU_DEP_1)
	v_cmp_class_f32_e64 vcc_lo, v8, 0x1f8
	v_cndmask_b32_e32 v6, 0, v8, vcc_lo
	v_cmp_class_f32_e64 vcc_lo, v11, 0x1f8
	v_cndmask_b32_e32 v7, 0, v11, vcc_lo
	s_cbranch_scc1 .LBB141_31
; %bb.4:
	v_lshlrev_b32_e32 v12, 2, v22
	s_clause 0x1
	global_load_b128 v[8:11], v12, s[2:3]
	global_load_b128 v[12:15], v12, s[2:3] offset:16
	s_waitcnt vmcnt(1)
	v_dual_add_f32 v9, v9, v1 :: v_dual_add_f32 v8, v8, v0
	v_dual_add_f32 v11, v11, v3 :: v_dual_add_f32 v10, v10, v2
	s_waitcnt vmcnt(0)
	v_dual_add_f32 v13, v13, v5 :: v_dual_add_f32 v12, v12, v4
	v_dual_add_f32 v15, v15, v7 :: v_dual_add_f32 v14, v14, v6
	s_cbranch_execnz .LBB141_6
.LBB141_5:
	v_dual_mov_b32 v15, v7 :: v_dual_mov_b32 v14, v6
	v_dual_mov_b32 v13, v5 :: v_dual_mov_b32 v12, v4
	;; [unrolled: 1-line block ×4, first 2 shown]
.LBB141_6:
	s_load_b128 s[4:7], s[0:1], 0x30
	v_cmp_eq_u32_e64 s2, 0, v17
	s_waitcnt lgkmcnt(0)
	s_bitcmp1_b32 s7, 0
	s_mov_b32 s7, 0
	s_cselect_b32 vcc_lo, -1, 0
	s_cmp_gt_i32 s4, 0
	s_cselect_b32 s3, -1, 0
	s_cmp_lt_i32 s4, 1
	s_cbranch_scc1 .LBB141_32
; %bb.7:
	s_load_b128 s[8:11], s[0:1], 0x20
	v_mul_lo_u32 v24, v16, s4
	v_mov_b32_e32 v23, 0
	v_mov_b32_e32 v25, v16
	s_branch .LBB141_10
.LBB141_8:                              ;   in Loop: Header=BB141_10 Depth=1
	s_or_b32 exec_lo, exec_lo, s1
.LBB141_9:                              ;   in Loop: Header=BB141_10 Depth=1
	v_add_nc_u32_e32 v25, s14, v25
	s_cmp_eq_u32 s4, s7
	s_cbranch_scc1 .LBB141_33
.LBB141_10:                             ; =>This Inner Loop Header: Depth=1
	v_cmp_gt_f32_e64 s0, v9, v8
	s_mov_b32 s17, exec_lo
	s_delay_alu instid0(VALU_DEP_1) | instskip(SKIP_2) | instid1(VALU_DEP_3)
	v_cndmask_b32_e64 v26, v8, v9, s0
	v_cndmask_b32_e64 v27, 0, 1, s0
	;; [unrolled: 1-line block ×3, first 2 shown]
	v_cmp_gt_f32_e64 s1, v10, v26
	s_delay_alu instid0(VALU_DEP_1) | instskip(NEXT) | instid1(VALU_DEP_4)
	v_cndmask_b32_e64 v26, v26, v10, s1
	v_cndmask_b32_e64 v27, v27, 2, s1
	s_delay_alu instid0(VALU_DEP_4) | instskip(NEXT) | instid1(VALU_DEP_3)
	v_cndmask_b32_e64 v28, v28, v2, s1
	v_cmp_gt_f32_e64 s0, v11, v26
	s_delay_alu instid0(VALU_DEP_1) | instskip(NEXT) | instid1(VALU_DEP_4)
	v_cndmask_b32_e64 v26, v26, v11, s0
	v_cndmask_b32_e64 v27, v27, 3, s0
	s_delay_alu instid0(VALU_DEP_4) | instskip(NEXT) | instid1(VALU_DEP_3)
	v_cndmask_b32_e64 v28, v28, v3, s0
	;; [unrolled: 6-line block ×4, first 2 shown]
	v_cmp_gt_f32_e64 s1, v14, v26
	s_delay_alu instid0(VALU_DEP_1) | instskip(NEXT) | instid1(VALU_DEP_4)
	v_cndmask_b32_e64 v26, v26, v14, s1
	v_cndmask_b32_e64 v27, v27, 6, s1
	s_waitcnt lgkmcnt(0)
	v_cndmask_b32_e64 v29, v28, v6, s1
	s_delay_alu instid0(VALU_DEP_3) | instskip(NEXT) | instid1(VALU_DEP_1)
	v_cmp_gt_f32_e64 s0, v15, v26
	v_cndmask_b32_e64 v28, v26, v15, s0
	v_cndmask_b32_e64 v26, v27, 7, s0
	s_delay_alu instid0(VALU_DEP_4)
	v_cndmask_b32_e64 v27, v29, v7, s0
	ds_bpermute_b32 v29, v18, v28
	v_or_b32_e32 v26, v22, v26
	ds_bpermute_b32 v31, v18, v27
	ds_bpermute_b32 v30, v18, v26
	s_waitcnt lgkmcnt(0)
	v_cmp_lt_f32_e64 s16, v28, v29
	v_cmpx_nlt_f32_e32 v28, v29
; %bb.11:                               ;   in Loop: Header=BB141_10 Depth=1
	v_cmp_eq_f32_e64 s0, v28, v29
	v_cmp_lt_i32_e64 s1, v30, v26
	s_delay_alu instid0(VALU_DEP_1) | instskip(SKIP_2) | instid1(SALU_CYCLE_1)
	s_and_b32 s0, s0, s1
	s_and_not1_b32 s1, s16, exec_lo
	s_and_b32 s0, s0, exec_lo
	s_or_b32 s16, s1, s0
; %bb.12:                               ;   in Loop: Header=BB141_10 Depth=1
	s_or_b32 exec_lo, exec_lo, s17
	s_and_saveexec_b32 s0, s16
; %bb.13:                               ;   in Loop: Header=BB141_10 Depth=1
	v_dual_mov_b32 v27, v31 :: v_dual_mov_b32 v28, v29
	v_mov_b32_e32 v26, v30
; %bb.14:                               ;   in Loop: Header=BB141_10 Depth=1
	s_or_b32 exec_lo, exec_lo, s0
	ds_bpermute_b32 v30, v19, v28
	ds_bpermute_b32 v31, v19, v27
	;; [unrolled: 1-line block ×3, first 2 shown]
	s_mov_b32 s17, exec_lo
	s_waitcnt lgkmcnt(2)
	v_cmp_lt_f32_e64 s16, v28, v30
	v_cmpx_nlt_f32_e32 v28, v30
	s_cbranch_execz .LBB141_16
; %bb.15:                               ;   in Loop: Header=BB141_10 Depth=1
	v_cmp_eq_f32_e64 s0, v28, v30
	s_waitcnt lgkmcnt(0)
	v_cmp_lt_i32_e64 s1, v29, v26
	s_delay_alu instid0(VALU_DEP_1) | instskip(SKIP_2) | instid1(SALU_CYCLE_1)
	s_and_b32 s0, s0, s1
	s_and_not1_b32 s1, s16, exec_lo
	s_and_b32 s0, s0, exec_lo
	s_or_b32 s16, s1, s0
.LBB141_16:                             ;   in Loop: Header=BB141_10 Depth=1
	s_or_b32 exec_lo, exec_lo, s17
	s_delay_alu instid0(VALU_DEP_2)
	s_and_saveexec_b32 s0, s16
	s_cbranch_execz .LBB141_18
; %bb.17:                               ;   in Loop: Header=BB141_10 Depth=1
	s_waitcnt lgkmcnt(1)
	v_dual_mov_b32 v27, v31 :: v_dual_mov_b32 v28, v30
	s_waitcnt lgkmcnt(0)
	v_mov_b32_e32 v26, v29
.LBB141_18:                             ;   in Loop: Header=BB141_10 Depth=1
	s_or_b32 exec_lo, exec_lo, s0
	ds_bpermute_b32 v30, v20, v28
	s_waitcnt lgkmcnt(2)
	ds_bpermute_b32 v31, v20, v27
	s_waitcnt lgkmcnt(2)
	ds_bpermute_b32 v29, v20, v26
	s_mov_b32 s17, exec_lo
	s_waitcnt lgkmcnt(2)
	v_cmp_lt_f32_e64 s16, v28, v30
	v_cmpx_nlt_f32_e32 v28, v30
	s_cbranch_execz .LBB141_20
; %bb.19:                               ;   in Loop: Header=BB141_10 Depth=1
	v_cmp_eq_f32_e64 s0, v28, v30
	s_waitcnt lgkmcnt(0)
	v_cmp_lt_i32_e64 s1, v29, v26
	s_delay_alu instid0(VALU_DEP_1) | instskip(SKIP_2) | instid1(SALU_CYCLE_1)
	s_and_b32 s0, s0, s1
	s_and_not1_b32 s1, s16, exec_lo
	s_and_b32 s0, s0, exec_lo
	s_or_b32 s16, s1, s0
.LBB141_20:                             ;   in Loop: Header=BB141_10 Depth=1
	s_or_b32 exec_lo, exec_lo, s17
	s_delay_alu instid0(VALU_DEP_2)
	s_and_saveexec_b32 s0, s16
	s_cbranch_execz .LBB141_22
; %bb.21:                               ;   in Loop: Header=BB141_10 Depth=1
	s_waitcnt lgkmcnt(1)
	v_dual_mov_b32 v27, v31 :: v_dual_mov_b32 v28, v30
	s_waitcnt lgkmcnt(0)
	v_mov_b32_e32 v26, v29
.LBB141_22:                             ;   in Loop: Header=BB141_10 Depth=1
	s_or_b32 exec_lo, exec_lo, s0
	s_waitcnt lgkmcnt(1)
	ds_bpermute_b32 v31, v21, v28
	ds_bpermute_b32 v30, v21, v27
	s_waitcnt lgkmcnt(2)
	ds_bpermute_b32 v29, v21, v26
	s_mov_b32 s17, exec_lo
	s_waitcnt lgkmcnt(2)
	v_cmp_lt_f32_e64 s16, v28, v31
	v_cmpx_nlt_f32_e32 v28, v31
	s_cbranch_execnz .LBB141_26
; %bb.23:                               ;   in Loop: Header=BB141_10 Depth=1
	s_or_b32 exec_lo, exec_lo, s17
	s_delay_alu instid0(VALU_DEP_2)
	s_and_saveexec_b32 s0, s16
	s_cbranch_execnz .LBB141_27
.LBB141_24:                             ;   in Loop: Header=BB141_10 Depth=1
	s_or_b32 exec_lo, exec_lo, s0
	s_and_saveexec_b32 s16, s2
	s_cbranch_execnz .LBB141_28
.LBB141_25:                             ;   in Loop: Header=BB141_10 Depth=1
	s_or_b32 exec_lo, exec_lo, s16
	s_add_i32 s7, s7, 1
	s_delay_alu instid0(SALU_CYCLE_1)
	s_cmp_ge_i32 s7, s4
	s_cbranch_scc1 .LBB141_9
	s_branch .LBB141_29
.LBB141_26:                             ;   in Loop: Header=BB141_10 Depth=1
	v_cmp_eq_f32_e64 s0, v28, v31
	s_waitcnt lgkmcnt(0)
	v_cmp_lt_i32_e64 s1, v29, v26
	s_delay_alu instid0(VALU_DEP_1) | instskip(SKIP_2) | instid1(SALU_CYCLE_1)
	s_and_b32 s0, s0, s1
	s_and_not1_b32 s1, s16, exec_lo
	s_and_b32 s0, s0, exec_lo
	s_or_b32 s16, s1, s0
	s_or_b32 exec_lo, exec_lo, s17
	s_and_saveexec_b32 s0, s16
	s_cbranch_execz .LBB141_24
.LBB141_27:                             ;   in Loop: Header=BB141_10 Depth=1
	s_waitcnt lgkmcnt(0)
	v_dual_mov_b32 v27, v30 :: v_dual_mov_b32 v26, v29
	s_or_b32 exec_lo, exec_lo, s0
	s_and_saveexec_b32 s16, s2
	s_cbranch_execz .LBB141_25
.LBB141_28:                             ;   in Loop: Header=BB141_10 Depth=1
	s_delay_alu instid0(VALU_DEP_1)
	v_dual_add_f32 v35, v23, v27 :: v_dual_add_nc_u32 v28, s7, v24
	v_cmp_le_i32_e64 s0, s5, v26
	v_cmp_gt_i32_e64 s1, s6, v26
	s_waitcnt lgkmcnt(1)
	v_subrev_nc_u32_e32 v30, s5, v26
	s_waitcnt lgkmcnt(0)
	v_ashrrev_i32_e32 v29, 31, v28
	v_cndmask_b32_e32 v23, v23, v35, vcc_lo
	s_and_b32 s0, s0, s1
	s_delay_alu instid0(SALU_CYCLE_1) | instskip(NEXT) | instid1(VALU_DEP_2)
	s_and_b32 s0, s15, s0
	v_lshlrev_b64 v[28:29], 2, v[28:29]
	v_cndmask_b32_e64 v34, 0x80, v30, s0
	s_delay_alu instid0(VALU_DEP_2) | instskip(NEXT) | instid1(VALU_DEP_1)
	v_add_co_u32 v30, s0, s12, v28
	v_add_co_ci_u32_e64 v31, s0, s13, v29, s0
	v_add_co_u32 v32, s0, s8, v28
	s_delay_alu instid0(VALU_DEP_1) | instskip(SKIP_1) | instid1(VALU_DEP_1)
	v_add_co_ci_u32_e64 v33, s0, s9, v29, s0
	v_add_co_u32 v28, s0, s10, v28
	v_add_co_ci_u32_e64 v29, s0, s11, v29, s0
	global_store_b32 v[30:31], v27, off
	global_store_b32 v[32:33], v34, off
	;; [unrolled: 1-line block ×3, first 2 shown]
	s_or_b32 exec_lo, exec_lo, s16
	s_add_i32 s7, s7, 1
	s_delay_alu instid0(SALU_CYCLE_1)
	s_cmp_ge_i32 s7, s4
	s_cbranch_scc1 .LBB141_9
.LBB141_29:                             ;   in Loop: Header=BB141_10 Depth=1
	v_ashrrev_i32_e32 v28, 31, v26
	s_mov_b32 s1, exec_lo
	s_delay_alu instid0(VALU_DEP_1) | instskip(NEXT) | instid1(VALU_DEP_1)
	v_lshrrev_b32_e32 v27, 29, v28
	v_add_nc_u32_e32 v27, v26, v27
	s_delay_alu instid0(VALU_DEP_1) | instskip(SKIP_1) | instid1(VALU_DEP_1)
	v_ashrrev_i32_e32 v27, 3, v27
	s_waitcnt lgkmcnt(0)
	v_lshrrev_b32_e32 v29, 28, v27
	s_delay_alu instid0(VALU_DEP_1) | instskip(NEXT) | instid1(VALU_DEP_1)
	v_add_nc_u32_e32 v29, v27, v29
	v_and_b32_e32 v29, -16, v29
	s_delay_alu instid0(VALU_DEP_1) | instskip(NEXT) | instid1(VALU_DEP_1)
	v_sub_nc_u32_e32 v29, v27, v29
	v_cmpx_eq_u32_e64 v17, v29
	s_cbranch_execz .LBB141_8
; %bb.30:                               ;   in Loop: Header=BB141_10 Depth=1
	v_lshrrev_b32_e32 v28, 25, v28
	v_lshlrev_b32_e32 v27, 3, v27
	s_delay_alu instid0(VALU_DEP_2) | instskip(NEXT) | instid1(VALU_DEP_2)
	v_add_nc_u32_e32 v28, v26, v28
	v_sub_nc_u32_e32 v26, v26, v27
	s_delay_alu instid0(VALU_DEP_2) | instskip(NEXT) | instid1(VALU_DEP_1)
	v_ashrrev_i32_e32 v27, 7, v28
	v_lshl_add_u32 v26, v27, 3, v26
	s_delay_alu instid0(VALU_DEP_1) | instskip(NEXT) | instid1(VALU_DEP_1)
	v_cmp_ne_u32_e64 s0, 7, v26
	v_cndmask_b32_e64 v15, 0xc61c4000, v15, s0
	v_cmp_ne_u32_e64 s0, 6, v26
	s_delay_alu instid0(VALU_DEP_1) | instskip(SKIP_1) | instid1(VALU_DEP_1)
	v_cndmask_b32_e64 v14, 0xc61c4000, v14, s0
	v_cmp_ne_u32_e64 s0, 5, v26
	v_cndmask_b32_e64 v13, 0xc61c4000, v13, s0
	v_cmp_ne_u32_e64 s0, 4, v26
	s_delay_alu instid0(VALU_DEP_1) | instskip(SKIP_1) | instid1(VALU_DEP_1)
	v_cndmask_b32_e64 v12, 0xc61c4000, v12, s0
	;; [unrolled: 5-line block ×3, first 2 shown]
	v_cmp_ne_u32_e64 s0, 1, v26
	v_cndmask_b32_e64 v9, 0xc61c4000, v9, s0
	v_cmp_ne_u32_e64 s0, 0, v26
	s_delay_alu instid0(VALU_DEP_1)
	v_cndmask_b32_e64 v8, 0xc61c4000, v8, s0
	s_branch .LBB141_8
.LBB141_31:
                                        ; implicit-def: $vgpr8_vgpr9_vgpr10_vgpr11_vgpr12_vgpr13_vgpr14_vgpr15
	s_and_not1_b32 vcc_lo, exec_lo, s8
	s_cbranch_vccz .LBB141_5
	s_branch .LBB141_6
.LBB141_32:
	v_mov_b32_e32 v23, 0
.LBB141_33:
	v_cmp_eq_u32_e64 s0, 0, v17
	s_delay_alu instid0(VALU_DEP_1) | instskip(NEXT) | instid1(SALU_CYCLE_1)
	s_and_b32 s0, s0, vcc_lo
	s_and_b32 exec_lo, exec_lo, s0
	s_cbranch_execz .LBB141_37
; %bb.34:
	s_and_not1_b32 vcc_lo, exec_lo, s3
	s_cbranch_vccnz .LBB141_37
; %bb.35:
	v_mul_lo_u32 v0, v16, s4
	v_cmp_lt_f32_e32 vcc_lo, 0, v23
	v_cndmask_b32_e32 v2, 1.0, v23, vcc_lo
	s_delay_alu instid0(VALU_DEP_3) | instskip(NEXT) | instid1(VALU_DEP_1)
	v_ashrrev_i32_e32 v1, 31, v0
	v_lshlrev_b64 v[0:1], 2, v[0:1]
	s_delay_alu instid0(VALU_DEP_1) | instskip(NEXT) | instid1(VALU_DEP_2)
	v_add_co_u32 v0, vcc_lo, s12, v0
	v_add_co_ci_u32_e32 v1, vcc_lo, s13, v1, vcc_lo
	.p2align	6
.LBB141_36:                             ; =>This Inner Loop Header: Depth=1
	global_load_b32 v3, v[0:1], off
	s_add_i32 s4, s4, -1
	s_delay_alu instid0(SALU_CYCLE_1) | instskip(SKIP_3) | instid1(VALU_DEP_2)
	s_cmp_lg_u32 s4, 0
	s_waitcnt vmcnt(0)
	v_div_scale_f32 v4, null, v2, v2, v3
	v_div_scale_f32 v7, vcc_lo, v3, v2, v3
	v_rcp_f32_e32 v5, v4
	s_waitcnt_depctr 0xfff
	v_fma_f32 v6, -v4, v5, 1.0
	s_delay_alu instid0(VALU_DEP_1) | instskip(NEXT) | instid1(VALU_DEP_1)
	v_fmac_f32_e32 v5, v6, v5
	v_mul_f32_e32 v6, v7, v5
	s_delay_alu instid0(VALU_DEP_1) | instskip(NEXT) | instid1(VALU_DEP_1)
	v_fma_f32 v8, -v4, v6, v7
	v_fmac_f32_e32 v6, v8, v5
	s_delay_alu instid0(VALU_DEP_1) | instskip(NEXT) | instid1(VALU_DEP_1)
	v_fma_f32 v4, -v4, v6, v7
	v_div_fmas_f32 v4, v4, v5, v6
	s_delay_alu instid0(VALU_DEP_1)
	v_div_fixup_f32 v3, v4, v2, v3
	global_store_b32 v[0:1], v3, off
	v_add_co_u32 v0, vcc_lo, v0, 4
	v_add_co_ci_u32_e32 v1, vcc_lo, 0, v1, vcc_lo
	s_cbranch_scc1 .LBB141_36
.LBB141_37:
	s_nop 0
	s_sendmsg sendmsg(MSG_DEALLOC_VGPRS)
	s_endpgm
	.section	.rodata,"a",@progbits
	.p2align	6, 0x0
	.amdhsa_kernel _ZN4vllm3moe10topkGatingILi8ELi128ELi4ELi16ELi64Ei14__hip_bfloat16LNS0_11ScoringFuncE0EEEvPKT5_PKbPfiPT4_PiiiibPKf
		.amdhsa_group_segment_fixed_size 0
		.amdhsa_private_segment_fixed_size 0
		.amdhsa_kernarg_size 72
		.amdhsa_user_sgpr_count 15
		.amdhsa_user_sgpr_dispatch_ptr 0
		.amdhsa_user_sgpr_queue_ptr 0
		.amdhsa_user_sgpr_kernarg_segment_ptr 1
		.amdhsa_user_sgpr_dispatch_id 0
		.amdhsa_user_sgpr_private_segment_size 0
		.amdhsa_wavefront_size32 1
		.amdhsa_uses_dynamic_stack 0
		.amdhsa_enable_private_segment 0
		.amdhsa_system_sgpr_workgroup_id_x 1
		.amdhsa_system_sgpr_workgroup_id_y 0
		.amdhsa_system_sgpr_workgroup_id_z 0
		.amdhsa_system_sgpr_workgroup_info 0
		.amdhsa_system_vgpr_workitem_id 1
		.amdhsa_next_free_vgpr 38
		.amdhsa_next_free_sgpr 18
		.amdhsa_reserve_vcc 1
		.amdhsa_float_round_mode_32 0
		.amdhsa_float_round_mode_16_64 0
		.amdhsa_float_denorm_mode_32 3
		.amdhsa_float_denorm_mode_16_64 3
		.amdhsa_dx10_clamp 1
		.amdhsa_ieee_mode 1
		.amdhsa_fp16_overflow 0
		.amdhsa_workgroup_processor_mode 1
		.amdhsa_memory_ordered 1
		.amdhsa_forward_progress 0
		.amdhsa_shared_vgpr_count 0
		.amdhsa_exception_fp_ieee_invalid_op 0
		.amdhsa_exception_fp_denorm_src 0
		.amdhsa_exception_fp_ieee_div_zero 0
		.amdhsa_exception_fp_ieee_overflow 0
		.amdhsa_exception_fp_ieee_underflow 0
		.amdhsa_exception_fp_ieee_inexact 0
		.amdhsa_exception_int_div_zero 0
	.end_amdhsa_kernel
	.section	.text._ZN4vllm3moe10topkGatingILi8ELi128ELi4ELi16ELi64Ei14__hip_bfloat16LNS0_11ScoringFuncE0EEEvPKT5_PKbPfiPT4_PiiiibPKf,"axG",@progbits,_ZN4vllm3moe10topkGatingILi8ELi128ELi4ELi16ELi64Ei14__hip_bfloat16LNS0_11ScoringFuncE0EEEvPKT5_PKbPfiPT4_PiiiibPKf,comdat
.Lfunc_end141:
	.size	_ZN4vllm3moe10topkGatingILi8ELi128ELi4ELi16ELi64Ei14__hip_bfloat16LNS0_11ScoringFuncE0EEEvPKT5_PKbPfiPT4_PiiiibPKf, .Lfunc_end141-_ZN4vllm3moe10topkGatingILi8ELi128ELi4ELi16ELi64Ei14__hip_bfloat16LNS0_11ScoringFuncE0EEEvPKT5_PKbPfiPT4_PiiiibPKf
                                        ; -- End function
	.section	.AMDGPU.csdata,"",@progbits
; Kernel info:
; codeLenInByte = 3404
; NumSgprs: 20
; NumVgprs: 38
; ScratchSize: 0
; MemoryBound: 0
; FloatMode: 240
; IeeeMode: 1
; LDSByteSize: 0 bytes/workgroup (compile time only)
; SGPRBlocks: 2
; VGPRBlocks: 4
; NumSGPRsForWavesPerEU: 20
; NumVGPRsForWavesPerEU: 38
; Occupancy: 16
; WaveLimiterHint : 0
; COMPUTE_PGM_RSRC2:SCRATCH_EN: 0
; COMPUTE_PGM_RSRC2:USER_SGPR: 15
; COMPUTE_PGM_RSRC2:TRAP_HANDLER: 0
; COMPUTE_PGM_RSRC2:TGID_X_EN: 1
; COMPUTE_PGM_RSRC2:TGID_Y_EN: 0
; COMPUTE_PGM_RSRC2:TGID_Z_EN: 0
; COMPUTE_PGM_RSRC2:TIDIG_COMP_CNT: 1
	.section	.text._ZN4vllm3moe10topkGatingILi8ELi128ELi4ELi16ELi32Ei14__hip_bfloat16LNS0_11ScoringFuncE0EEEvPKT5_PKbPfiPT4_PiiiibPKf,"axG",@progbits,_ZN4vllm3moe10topkGatingILi8ELi128ELi4ELi16ELi32Ei14__hip_bfloat16LNS0_11ScoringFuncE0EEEvPKT5_PKbPfiPT4_PiiiibPKf,comdat
	.protected	_ZN4vllm3moe10topkGatingILi8ELi128ELi4ELi16ELi32Ei14__hip_bfloat16LNS0_11ScoringFuncE0EEEvPKT5_PKbPfiPT4_PiiiibPKf ; -- Begin function _ZN4vllm3moe10topkGatingILi8ELi128ELi4ELi16ELi32Ei14__hip_bfloat16LNS0_11ScoringFuncE0EEEvPKT5_PKbPfiPT4_PiiiibPKf
	.globl	_ZN4vllm3moe10topkGatingILi8ELi128ELi4ELi16ELi32Ei14__hip_bfloat16LNS0_11ScoringFuncE0EEEvPKT5_PKbPfiPT4_PiiiibPKf
	.p2align	8
	.type	_ZN4vllm3moe10topkGatingILi8ELi128ELi4ELi16ELi32Ei14__hip_bfloat16LNS0_11ScoringFuncE0EEEvPKT5_PKbPfiPT4_PiiiibPKf,@function
_ZN4vllm3moe10topkGatingILi8ELi128ELi4ELi16ELi32Ei14__hip_bfloat16LNS0_11ScoringFuncE0EEEvPKT5_PKbPfiPT4_PiiiibPKf: ; @_ZN4vllm3moe10topkGatingILi8ELi128ELi4ELi16ELi32Ei14__hip_bfloat16LNS0_11ScoringFuncE0EEEvPKT5_PKbPfiPT4_PiiiibPKf
; %bb.0:
	s_load_b32 s14, s[0:1], 0x18
	v_bfe_u32 v1, v0, 10, 10
	v_and_b32_e32 v0, 0x3ff, v0
	s_lshl_b32 s2, s15, 3
	s_delay_alu instid0(VALU_DEP_2) | instskip(NEXT) | instid1(VALU_DEP_2)
	v_lshlrev_b32_e32 v1, 1, v1
	v_lshrrev_b32_e32 v2, 4, v0
	s_delay_alu instid0(VALU_DEP_1) | instskip(SKIP_2) | instid1(VALU_DEP_1)
	v_add3_u32 v16, s2, v1, v2
	s_mov_b32 s2, exec_lo
	s_waitcnt lgkmcnt(0)
	v_cmpx_gt_i32_e64 s14, v16
	s_cbranch_execz .LBB142_37
; %bb.1:
	s_clause 0x1
	s_load_b128 s[4:7], s[0:1], 0x0
	s_load_b64 s[12:13], s[0:1], 0x10
	s_mov_b32 s8, -1
	s_mov_b32 s15, -1
	s_waitcnt lgkmcnt(0)
	s_cmp_eq_u64 s[6:7], 0
	s_cbranch_scc1 .LBB142_3
; %bb.2:
	v_ashrrev_i32_e32 v2, 31, v16
	v_add_co_u32 v1, vcc_lo, s6, v16
	s_delay_alu instid0(VALU_DEP_2) | instskip(SKIP_3) | instid1(VALU_DEP_1)
	v_add_co_ci_u32_e32 v2, vcc_lo, s7, v2, vcc_lo
	global_load_u8 v1, v[1:2], off
	s_waitcnt vmcnt(0)
	v_and_b32_e32 v1, 1, v1
	v_cmp_eq_u32_e32 vcc_lo, 1, v1
	s_xor_b32 s2, vcc_lo, -1
	s_delay_alu instid0(SALU_CYCLE_1)
	s_or_not1_b32 s15, s2, exec_lo
.LBB142_3:
	v_lshlrev_b32_e32 v1, 7, v16
	v_and_b32_e32 v17, 15, v0
	v_mbcnt_lo_u32_b32 v5, -1, 0
	s_load_b64 s[2:3], s[0:1], 0x40
	s_delay_alu instid0(VALU_DEP_3) | instskip(NEXT) | instid1(VALU_DEP_2)
	v_ashrrev_i32_e32 v2, 31, v1
	v_xor_b32_e32 v9, 8, v5
	v_and_b32_e32 v8, 16, v5
	v_xor_b32_e32 v12, 4, v5
	s_delay_alu instid0(VALU_DEP_4) | instskip(SKIP_1) | instid1(VALU_DEP_2)
	v_lshlrev_b64 v[0:1], 1, v[1:2]
	v_lshlrev_b32_e32 v2, 4, v17
	v_add_co_u32 v0, vcc_lo, s4, v0
	s_delay_alu instid0(VALU_DEP_3) | instskip(NEXT) | instid1(VALU_DEP_2)
	v_add_co_ci_u32_e32 v1, vcc_lo, s5, v1, vcc_lo
	v_add_co_u32 v0, vcc_lo, v0, v2
	s_delay_alu instid0(VALU_DEP_2)
	v_add_co_ci_u32_e32 v1, vcc_lo, 0, v1, vcc_lo
	s_waitcnt lgkmcnt(0)
	s_cmp_eq_u64 s[2:3], 0
	global_load_b128 v[0:3], v[0:1], off
	s_waitcnt vmcnt(0)
	v_and_b32_e32 v4, 0xffff0000, v0
	v_lshlrev_b32_e32 v0, 16, v0
	v_lshlrev_b32_e32 v10, 16, v1
	s_delay_alu instid0(VALU_DEP_3) | instskip(NEXT) | instid1(VALU_DEP_3)
	v_dual_max_f32 v6, v4, v4 :: v_dual_and_b32 v1, 0xffff0000, v1
	v_max_f32_e32 v7, v0, v0
	s_delay_alu instid0(VALU_DEP_1) | instskip(SKIP_2) | instid1(VALU_DEP_3)
	v_dual_max_f32 v6, v7, v6 :: v_dual_add_nc_u32 v7, 16, v8
	v_lshlrev_b32_e32 v8, 16, v2
	v_and_b32_e32 v2, 0xffff0000, v2
	v_max3_f32 v6, v6, v10, v1
	s_delay_alu instid0(VALU_DEP_4) | instskip(NEXT) | instid1(VALU_DEP_2)
	v_cmp_lt_i32_e32 vcc_lo, v9, v7
	v_max3_f32 v6, v6, v8, v2
	v_cndmask_b32_e32 v9, v5, v9, vcc_lo
	v_cmp_lt_i32_e32 vcc_lo, v12, v7
	v_lshlrev_b32_e32 v11, 16, v3
	s_delay_alu instid0(VALU_DEP_3) | instskip(SKIP_1) | instid1(VALU_DEP_1)
	v_lshlrev_b32_e32 v18, 2, v9
	v_cndmask_b32_e32 v12, v5, v12, vcc_lo
	v_lshlrev_b32_e32 v19, 2, v12
	v_xor_b32_e32 v12, 2, v5
	v_and_b32_e32 v3, 0xffff0000, v3
	s_delay_alu instid0(VALU_DEP_1) | instskip(SKIP_3) | instid1(VALU_DEP_1)
	v_max3_f32 v6, v6, v11, v3
	ds_bpermute_b32 v9, v18, v6
	s_waitcnt lgkmcnt(0)
	v_max_f32_e32 v9, v9, v9
	v_max_f32_e32 v6, v6, v9
	ds_bpermute_b32 v9, v19, v6
	s_waitcnt lgkmcnt(0)
	v_max_f32_e32 v9, v9, v9
	s_delay_alu instid0(VALU_DEP_1) | instskip(SKIP_2) | instid1(VALU_DEP_1)
	v_max_f32_e32 v6, v6, v9
	v_cmp_lt_i32_e32 vcc_lo, v12, v7
	v_cndmask_b32_e32 v12, v5, v12, vcc_lo
	v_lshlrev_b32_e32 v20, 2, v12
	v_xor_b32_e32 v12, 1, v5
	ds_bpermute_b32 v9, v20, v6
	v_cmp_lt_i32_e32 vcc_lo, v12, v7
	v_cndmask_b32_e32 v5, v5, v12, vcc_lo
	s_delay_alu instid0(VALU_DEP_1) | instskip(SKIP_2) | instid1(VALU_DEP_1)
	v_lshlrev_b32_e32 v21, 2, v5
	s_waitcnt lgkmcnt(0)
	v_max_f32_e32 v7, v9, v9
	v_max_f32_e32 v5, v6, v7
	ds_bpermute_b32 v6, v21, v5
	s_waitcnt lgkmcnt(0)
	v_max_f32_e32 v6, v6, v6
	s_delay_alu instid0(VALU_DEP_1) | instskip(NEXT) | instid1(VALU_DEP_1)
	v_max_f32_e32 v5, v5, v6
	v_sub_f32_e32 v7, v8, v5
	v_sub_f32_e32 v3, v3, v5
	;; [unrolled: 1-line block ×6, first 2 shown]
	v_dual_mul_f32 v15, 0x3fb8aa3b, v3 :: v_dual_sub_f32 v6, v10, v5
	v_dual_sub_f32 v8, v11, v5 :: v_dual_mul_f32 v9, 0x3fb8aa3b, v4
	v_mul_f32_e32 v5, 0x3fb8aa3b, v0
	v_mul_f32_e32 v13, 0x3fb8aa3b, v2
	s_delay_alu instid0(VALU_DEP_4)
	v_mul_f32_e32 v10, 0x3fb8aa3b, v6
	v_cmp_ngt_f32_e32 vcc_lo, 0xc2ce8ed0, v0
	v_fma_f32 v24, 0x3fb8aa3b, v4, -v9
	v_fma_f32 v22, 0x3fb8aa3b, v0, -v5
	v_rndne_f32_e32 v23, v5
	v_rndne_f32_e32 v27, v10
	v_mul_f32_e32 v11, 0x3fb8aa3b, v1
	v_rndne_f32_e32 v25, v9
	v_fma_f32 v26, 0x3fb8aa3b, v6, -v10
	v_dual_fmac_f32 v22, 0x32a5705f, v0 :: v_dual_sub_f32 v5, v5, v23
	s_delay_alu instid0(VALU_DEP_3)
	v_dual_mul_f32 v14, 0x3fb8aa3b, v8 :: v_dual_sub_f32 v9, v9, v25
	v_mul_f32_e32 v12, 0x3fb8aa3b, v7
	v_sub_f32_e32 v10, v10, v27
	v_fma_f32 v28, 0x3fb8aa3b, v1, -v11
	v_rndne_f32_e32 v29, v11
	v_fmac_f32_e32 v24, 0x32a5705f, v4
	v_rndne_f32_e32 v31, v12
	s_delay_alu instid0(VALU_DEP_4) | instskip(SKIP_1) | instid1(VALU_DEP_3)
	v_dual_add_f32 v5, v5, v22 :: v_dual_fmac_f32 v28, 0x32a5705f, v1
	v_fma_f32 v30, 0x3fb8aa3b, v7, -v12
	v_dual_sub_f32 v11, v11, v29 :: v_dual_sub_f32 v12, v12, v31
	v_add_f32_e32 v9, v9, v24
	s_delay_alu instid0(VALU_DEP_4)
	v_exp_f32_e32 v5, v5
	v_cvt_i32_f32_e32 v23, v23
	v_fma_f32 v34, 0x3fb8aa3b, v8, -v14
	v_cvt_i32_f32_e32 v25, v25
	v_exp_f32_e32 v9, v9
	v_fma_f32 v32, 0x3fb8aa3b, v2, -v13
	v_rndne_f32_e32 v33, v13
	v_fma_f32 v36, 0x3fb8aa3b, v3, -v15
	v_rndne_f32_e32 v37, v15
	v_fmac_f32_e32 v26, 0x32a5705f, v6
	v_ldexp_f32 v5, v5, v23
	v_dual_sub_f32 v13, v13, v33 :: v_dual_fmac_f32 v34, 0x32a5705f, v8
	v_rndne_f32_e32 v35, v14
	s_delay_alu instid0(TRANS32_DEP_1) | instskip(NEXT) | instid1(VALU_DEP_4)
	v_ldexp_f32 v9, v9, v25
	v_cndmask_b32_e32 v5, 0, v5, vcc_lo
	v_cmp_ngt_f32_e32 vcc_lo, 0xc2ce8ed0, v4
	v_dual_fmac_f32 v30, 0x32a5705f, v7 :: v_dual_sub_f32 v15, v15, v37
	v_dual_fmac_f32 v32, 0x32a5705f, v2 :: v_dual_add_f32 v11, v11, v28
	v_dual_fmac_f32 v36, 0x32a5705f, v3 :: v_dual_cndmask_b32 v9, 0, v9
	v_add_f32_e32 v10, v10, v26
	s_delay_alu instid0(VALU_DEP_3) | instskip(NEXT) | instid1(VALU_DEP_3)
	v_dual_sub_f32 v14, v14, v35 :: v_dual_add_f32 v13, v13, v32
	v_add_f32_e32 v15, v15, v36
	v_cvt_i32_f32_e32 v27, v27
	s_delay_alu instid0(VALU_DEP_4)
	v_exp_f32_e32 v10, v10
	v_cvt_i32_f32_e32 v33, v33
	v_exp_f32_e32 v13, v13
	v_cmp_ngt_f32_e32 vcc_lo, 0xc2ce8ed0, v6
	v_exp_f32_e32 v11, v11
	v_cvt_i32_f32_e32 v29, v29
	v_cvt_i32_f32_e32 v31, v31
	v_exp_f32_e32 v15, v15
	v_cvt_i32_f32_e32 v24, v37
	v_cvt_i32_f32_e32 v22, v35
	v_ldexp_f32 v10, v10, v27
	s_delay_alu instid0(TRANS32_DEP_3) | instskip(NEXT) | instid1(TRANS32_DEP_2)
	v_ldexp_f32 v13, v13, v33
	v_ldexp_f32 v11, v11, v29
	s_delay_alu instid0(VALU_DEP_3) | instskip(SKIP_1) | instid1(TRANS32_DEP_1)
	v_cndmask_b32_e32 v10, 0, v10, vcc_lo
	v_cmp_nlt_f32_e32 vcc_lo, 0x42b17218, v0
	v_ldexp_f32 v15, v15, v24
	v_cndmask_b32_e32 v0, 0x7f800000, v5, vcc_lo
	v_cmp_nlt_f32_e32 vcc_lo, 0x42b17218, v4
	v_cndmask_b32_e32 v4, 0x7f800000, v9, vcc_lo
	v_cmp_ngt_f32_e32 vcc_lo, 0xc2ce8ed0, v1
	v_add_f32_e32 v12, v12, v30
	s_delay_alu instid0(VALU_DEP_3) | instskip(SKIP_1) | instid1(VALU_DEP_3)
	v_dual_add_f32 v14, v14, v34 :: v_dual_add_f32 v9, v0, v4
	v_cndmask_b32_e32 v5, 0, v11, vcc_lo
	v_exp_f32_e32 v12, v12
	v_cmp_nlt_f32_e32 vcc_lo, 0x42b17218, v6
	s_delay_alu instid0(VALU_DEP_3)
	v_exp_f32_e32 v14, v14
	v_cndmask_b32_e32 v6, 0x7f800000, v10, vcc_lo
	v_cmp_ngt_f32_e32 vcc_lo, 0xc2ce8ed0, v7
	s_waitcnt_depctr 0xfff
	v_ldexp_f32 v12, v12, v31
	v_ldexp_f32 v14, v14, v22
	v_lshlrev_b32_e32 v22, 3, v17
	s_delay_alu instid0(VALU_DEP_3)
	v_cndmask_b32_e32 v10, 0, v12, vcc_lo
	v_cmp_nlt_f32_e32 vcc_lo, 0x42b17218, v1
	v_cndmask_b32_e32 v1, 0x7f800000, v5, vcc_lo
	v_cmp_ngt_f32_e32 vcc_lo, 0xc2ce8ed0, v2
	v_add_f32_e32 v5, v9, v6
	v_cndmask_b32_e32 v9, 0, v13, vcc_lo
	v_cmp_nlt_f32_e32 vcc_lo, 0x42b17218, v7
	s_delay_alu instid0(VALU_DEP_3) | instskip(SKIP_2) | instid1(VALU_DEP_2)
	v_add_f32_e32 v5, v5, v1
	v_cndmask_b32_e32 v7, 0x7f800000, v10, vcc_lo
	v_cmp_ngt_f32_e32 vcc_lo, 0xc2ce8ed0, v8
	v_dual_add_f32 v5, v5, v7 :: v_dual_cndmask_b32 v10, 0, v14
	v_cmp_nlt_f32_e32 vcc_lo, 0x42b17218, v2
	v_cndmask_b32_e32 v2, 0x7f800000, v9, vcc_lo
	v_cmp_ngt_f32_e32 vcc_lo, 0xc2ce8ed0, v3
	s_delay_alu instid0(VALU_DEP_2) | instskip(SKIP_4) | instid1(VALU_DEP_2)
	v_add_f32_e32 v5, v5, v2
	v_cndmask_b32_e32 v9, 0, v15, vcc_lo
	v_cmp_nlt_f32_e32 vcc_lo, 0x42b17218, v8
	v_cndmask_b32_e32 v8, 0x7f800000, v10, vcc_lo
	v_cmp_nlt_f32_e32 vcc_lo, 0x42b17218, v3
	v_add_f32_e32 v5, v5, v8
	v_cndmask_b32_e32 v3, 0x7f800000, v9, vcc_lo
	s_delay_alu instid0(VALU_DEP_1)
	v_add_f32_e32 v5, v5, v3
	ds_bpermute_b32 v9, v18, v5
	s_waitcnt lgkmcnt(0)
	v_add_f32_e32 v5, v5, v9
	ds_bpermute_b32 v9, v19, v5
	s_waitcnt lgkmcnt(0)
	;; [unrolled: 3-line block ×4, first 2 shown]
	v_add_f32_e32 v5, v5, v9
	s_delay_alu instid0(VALU_DEP_1) | instskip(SKIP_1) | instid1(VALU_DEP_2)
	v_div_scale_f32 v9, null, v5, v5, 1.0
	v_div_scale_f32 v12, vcc_lo, 1.0, v5, 1.0
	v_rcp_f32_e32 v10, v9
	s_waitcnt_depctr 0xfff
	v_fma_f32 v11, -v9, v10, 1.0
	s_delay_alu instid0(VALU_DEP_1) | instskip(NEXT) | instid1(VALU_DEP_1)
	v_fmac_f32_e32 v10, v11, v10
	v_mul_f32_e32 v11, v12, v10
	s_delay_alu instid0(VALU_DEP_1) | instskip(NEXT) | instid1(VALU_DEP_1)
	v_fma_f32 v13, -v9, v11, v12
	v_fmac_f32_e32 v11, v13, v10
	s_delay_alu instid0(VALU_DEP_1) | instskip(NEXT) | instid1(VALU_DEP_1)
	v_fma_f32 v9, -v9, v11, v12
	v_div_fmas_f32 v9, v9, v10, v11
	s_delay_alu instid0(VALU_DEP_1) | instskip(NEXT) | instid1(VALU_DEP_1)
	v_div_fixup_f32 v5, v9, v5, 1.0
	v_mul_f32_e32 v4, v5, v4
	v_mul_f32_e32 v0, v5, v0
	;; [unrolled: 1-line block ×6, first 2 shown]
	v_cmp_class_f32_e64 vcc_lo, v0, 0x1f8
	v_cndmask_b32_e32 v0, 0, v0, vcc_lo
	v_cmp_class_f32_e64 vcc_lo, v4, 0x1f8
	v_dual_mul_f32 v6, v5, v6 :: v_dual_cndmask_b32 v1, 0, v4
	s_delay_alu instid0(VALU_DEP_1)
	v_cmp_class_f32_e64 vcc_lo, v6, 0x1f8
	v_cndmask_b32_e32 v2, 0, v6, vcc_lo
	v_cmp_class_f32_e64 vcc_lo, v9, 0x1f8
	v_cndmask_b32_e32 v3, 0, v9, vcc_lo
	;; [unrolled: 2-line block ×3, first 2 shown]
	v_cmp_class_f32_e64 vcc_lo, v10, 0x1f8
	v_dual_mul_f32 v8, v5, v8 :: v_dual_cndmask_b32 v5, 0, v10
	s_delay_alu instid0(VALU_DEP_1)
	v_cmp_class_f32_e64 vcc_lo, v8, 0x1f8
	v_cndmask_b32_e32 v6, 0, v8, vcc_lo
	v_cmp_class_f32_e64 vcc_lo, v11, 0x1f8
	v_cndmask_b32_e32 v7, 0, v11, vcc_lo
	s_cbranch_scc1 .LBB142_31
; %bb.4:
	v_lshlrev_b32_e32 v12, 2, v22
	s_clause 0x1
	global_load_b128 v[8:11], v12, s[2:3]
	global_load_b128 v[12:15], v12, s[2:3] offset:16
	s_waitcnt vmcnt(1)
	v_dual_add_f32 v9, v9, v1 :: v_dual_add_f32 v8, v8, v0
	v_dual_add_f32 v11, v11, v3 :: v_dual_add_f32 v10, v10, v2
	s_waitcnt vmcnt(0)
	v_dual_add_f32 v13, v13, v5 :: v_dual_add_f32 v12, v12, v4
	v_dual_add_f32 v15, v15, v7 :: v_dual_add_f32 v14, v14, v6
	s_cbranch_execnz .LBB142_6
.LBB142_5:
	v_dual_mov_b32 v15, v7 :: v_dual_mov_b32 v14, v6
	v_dual_mov_b32 v13, v5 :: v_dual_mov_b32 v12, v4
	v_dual_mov_b32 v11, v3 :: v_dual_mov_b32 v10, v2
	v_dual_mov_b32 v9, v1 :: v_dual_mov_b32 v8, v0
.LBB142_6:
	s_load_b128 s[4:7], s[0:1], 0x30
	v_cmp_eq_u32_e64 s2, 0, v17
	s_waitcnt lgkmcnt(0)
	s_bitcmp1_b32 s7, 0
	s_mov_b32 s7, 0
	s_cselect_b32 vcc_lo, -1, 0
	s_cmp_gt_i32 s4, 0
	s_cselect_b32 s3, -1, 0
	s_cmp_lt_i32 s4, 1
	s_cbranch_scc1 .LBB142_32
; %bb.7:
	s_load_b128 s[8:11], s[0:1], 0x20
	v_mul_lo_u32 v24, v16, s4
	v_mov_b32_e32 v23, 0
	v_mov_b32_e32 v25, v16
	s_branch .LBB142_10
.LBB142_8:                              ;   in Loop: Header=BB142_10 Depth=1
	s_or_b32 exec_lo, exec_lo, s1
.LBB142_9:                              ;   in Loop: Header=BB142_10 Depth=1
	v_add_nc_u32_e32 v25, s14, v25
	s_cmp_eq_u32 s4, s7
	s_cbranch_scc1 .LBB142_33
.LBB142_10:                             ; =>This Inner Loop Header: Depth=1
	v_cmp_gt_f32_e64 s0, v9, v8
	s_mov_b32 s17, exec_lo
	s_delay_alu instid0(VALU_DEP_1) | instskip(SKIP_2) | instid1(VALU_DEP_3)
	v_cndmask_b32_e64 v26, v8, v9, s0
	v_cndmask_b32_e64 v27, 0, 1, s0
	;; [unrolled: 1-line block ×3, first 2 shown]
	v_cmp_gt_f32_e64 s1, v10, v26
	s_delay_alu instid0(VALU_DEP_1) | instskip(NEXT) | instid1(VALU_DEP_4)
	v_cndmask_b32_e64 v26, v26, v10, s1
	v_cndmask_b32_e64 v27, v27, 2, s1
	s_delay_alu instid0(VALU_DEP_4) | instskip(NEXT) | instid1(VALU_DEP_3)
	v_cndmask_b32_e64 v28, v28, v2, s1
	v_cmp_gt_f32_e64 s0, v11, v26
	s_delay_alu instid0(VALU_DEP_1) | instskip(NEXT) | instid1(VALU_DEP_4)
	v_cndmask_b32_e64 v26, v26, v11, s0
	v_cndmask_b32_e64 v27, v27, 3, s0
	s_delay_alu instid0(VALU_DEP_4) | instskip(NEXT) | instid1(VALU_DEP_3)
	v_cndmask_b32_e64 v28, v28, v3, s0
	;; [unrolled: 6-line block ×4, first 2 shown]
	v_cmp_gt_f32_e64 s1, v14, v26
	s_delay_alu instid0(VALU_DEP_1) | instskip(NEXT) | instid1(VALU_DEP_4)
	v_cndmask_b32_e64 v26, v26, v14, s1
	v_cndmask_b32_e64 v27, v27, 6, s1
	s_waitcnt lgkmcnt(0)
	v_cndmask_b32_e64 v29, v28, v6, s1
	s_delay_alu instid0(VALU_DEP_3) | instskip(NEXT) | instid1(VALU_DEP_1)
	v_cmp_gt_f32_e64 s0, v15, v26
	v_cndmask_b32_e64 v28, v26, v15, s0
	v_cndmask_b32_e64 v26, v27, 7, s0
	s_delay_alu instid0(VALU_DEP_4)
	v_cndmask_b32_e64 v27, v29, v7, s0
	ds_bpermute_b32 v29, v18, v28
	v_or_b32_e32 v26, v22, v26
	ds_bpermute_b32 v31, v18, v27
	ds_bpermute_b32 v30, v18, v26
	s_waitcnt lgkmcnt(0)
	v_cmp_lt_f32_e64 s16, v28, v29
	v_cmpx_nlt_f32_e32 v28, v29
; %bb.11:                               ;   in Loop: Header=BB142_10 Depth=1
	v_cmp_eq_f32_e64 s0, v28, v29
	v_cmp_lt_i32_e64 s1, v30, v26
	s_delay_alu instid0(VALU_DEP_1) | instskip(SKIP_2) | instid1(SALU_CYCLE_1)
	s_and_b32 s0, s0, s1
	s_and_not1_b32 s1, s16, exec_lo
	s_and_b32 s0, s0, exec_lo
	s_or_b32 s16, s1, s0
; %bb.12:                               ;   in Loop: Header=BB142_10 Depth=1
	s_or_b32 exec_lo, exec_lo, s17
	s_and_saveexec_b32 s0, s16
; %bb.13:                               ;   in Loop: Header=BB142_10 Depth=1
	v_dual_mov_b32 v27, v31 :: v_dual_mov_b32 v28, v29
	v_mov_b32_e32 v26, v30
; %bb.14:                               ;   in Loop: Header=BB142_10 Depth=1
	s_or_b32 exec_lo, exec_lo, s0
	ds_bpermute_b32 v30, v19, v28
	ds_bpermute_b32 v31, v19, v27
	;; [unrolled: 1-line block ×3, first 2 shown]
	s_mov_b32 s17, exec_lo
	s_waitcnt lgkmcnt(2)
	v_cmp_lt_f32_e64 s16, v28, v30
	v_cmpx_nlt_f32_e32 v28, v30
	s_cbranch_execz .LBB142_16
; %bb.15:                               ;   in Loop: Header=BB142_10 Depth=1
	v_cmp_eq_f32_e64 s0, v28, v30
	s_waitcnt lgkmcnt(0)
	v_cmp_lt_i32_e64 s1, v29, v26
	s_delay_alu instid0(VALU_DEP_1) | instskip(SKIP_2) | instid1(SALU_CYCLE_1)
	s_and_b32 s0, s0, s1
	s_and_not1_b32 s1, s16, exec_lo
	s_and_b32 s0, s0, exec_lo
	s_or_b32 s16, s1, s0
.LBB142_16:                             ;   in Loop: Header=BB142_10 Depth=1
	s_or_b32 exec_lo, exec_lo, s17
	s_delay_alu instid0(VALU_DEP_2)
	s_and_saveexec_b32 s0, s16
	s_cbranch_execz .LBB142_18
; %bb.17:                               ;   in Loop: Header=BB142_10 Depth=1
	s_waitcnt lgkmcnt(1)
	v_dual_mov_b32 v27, v31 :: v_dual_mov_b32 v28, v30
	s_waitcnt lgkmcnt(0)
	v_mov_b32_e32 v26, v29
.LBB142_18:                             ;   in Loop: Header=BB142_10 Depth=1
	s_or_b32 exec_lo, exec_lo, s0
	ds_bpermute_b32 v30, v20, v28
	s_waitcnt lgkmcnt(2)
	ds_bpermute_b32 v31, v20, v27
	s_waitcnt lgkmcnt(2)
	ds_bpermute_b32 v29, v20, v26
	s_mov_b32 s17, exec_lo
	s_waitcnt lgkmcnt(2)
	v_cmp_lt_f32_e64 s16, v28, v30
	v_cmpx_nlt_f32_e32 v28, v30
	s_cbranch_execz .LBB142_20
; %bb.19:                               ;   in Loop: Header=BB142_10 Depth=1
	v_cmp_eq_f32_e64 s0, v28, v30
	s_waitcnt lgkmcnt(0)
	v_cmp_lt_i32_e64 s1, v29, v26
	s_delay_alu instid0(VALU_DEP_1) | instskip(SKIP_2) | instid1(SALU_CYCLE_1)
	s_and_b32 s0, s0, s1
	s_and_not1_b32 s1, s16, exec_lo
	s_and_b32 s0, s0, exec_lo
	s_or_b32 s16, s1, s0
.LBB142_20:                             ;   in Loop: Header=BB142_10 Depth=1
	s_or_b32 exec_lo, exec_lo, s17
	s_delay_alu instid0(VALU_DEP_2)
	s_and_saveexec_b32 s0, s16
	s_cbranch_execz .LBB142_22
; %bb.21:                               ;   in Loop: Header=BB142_10 Depth=1
	s_waitcnt lgkmcnt(1)
	v_dual_mov_b32 v27, v31 :: v_dual_mov_b32 v28, v30
	s_waitcnt lgkmcnt(0)
	v_mov_b32_e32 v26, v29
.LBB142_22:                             ;   in Loop: Header=BB142_10 Depth=1
	s_or_b32 exec_lo, exec_lo, s0
	s_waitcnt lgkmcnt(1)
	ds_bpermute_b32 v31, v21, v28
	ds_bpermute_b32 v30, v21, v27
	s_waitcnt lgkmcnt(2)
	ds_bpermute_b32 v29, v21, v26
	s_mov_b32 s17, exec_lo
	s_waitcnt lgkmcnt(2)
	v_cmp_lt_f32_e64 s16, v28, v31
	v_cmpx_nlt_f32_e32 v28, v31
	s_cbranch_execnz .LBB142_26
; %bb.23:                               ;   in Loop: Header=BB142_10 Depth=1
	s_or_b32 exec_lo, exec_lo, s17
	s_delay_alu instid0(VALU_DEP_2)
	s_and_saveexec_b32 s0, s16
	s_cbranch_execnz .LBB142_27
.LBB142_24:                             ;   in Loop: Header=BB142_10 Depth=1
	s_or_b32 exec_lo, exec_lo, s0
	s_and_saveexec_b32 s16, s2
	s_cbranch_execnz .LBB142_28
.LBB142_25:                             ;   in Loop: Header=BB142_10 Depth=1
	s_or_b32 exec_lo, exec_lo, s16
	s_add_i32 s7, s7, 1
	s_delay_alu instid0(SALU_CYCLE_1)
	s_cmp_ge_i32 s7, s4
	s_cbranch_scc1 .LBB142_9
	s_branch .LBB142_29
.LBB142_26:                             ;   in Loop: Header=BB142_10 Depth=1
	v_cmp_eq_f32_e64 s0, v28, v31
	s_waitcnt lgkmcnt(0)
	v_cmp_lt_i32_e64 s1, v29, v26
	s_delay_alu instid0(VALU_DEP_1) | instskip(SKIP_2) | instid1(SALU_CYCLE_1)
	s_and_b32 s0, s0, s1
	s_and_not1_b32 s1, s16, exec_lo
	s_and_b32 s0, s0, exec_lo
	s_or_b32 s16, s1, s0
	s_or_b32 exec_lo, exec_lo, s17
	s_and_saveexec_b32 s0, s16
	s_cbranch_execz .LBB142_24
.LBB142_27:                             ;   in Loop: Header=BB142_10 Depth=1
	s_waitcnt lgkmcnt(0)
	v_dual_mov_b32 v27, v30 :: v_dual_mov_b32 v26, v29
	s_or_b32 exec_lo, exec_lo, s0
	s_and_saveexec_b32 s16, s2
	s_cbranch_execz .LBB142_25
.LBB142_28:                             ;   in Loop: Header=BB142_10 Depth=1
	s_delay_alu instid0(VALU_DEP_1)
	v_dual_add_f32 v35, v23, v27 :: v_dual_add_nc_u32 v28, s7, v24
	v_cmp_le_i32_e64 s0, s5, v26
	v_cmp_gt_i32_e64 s1, s6, v26
	s_waitcnt lgkmcnt(1)
	v_subrev_nc_u32_e32 v30, s5, v26
	s_waitcnt lgkmcnt(0)
	v_ashrrev_i32_e32 v29, 31, v28
	v_cndmask_b32_e32 v23, v23, v35, vcc_lo
	s_and_b32 s0, s0, s1
	s_delay_alu instid0(SALU_CYCLE_1) | instskip(NEXT) | instid1(VALU_DEP_2)
	s_and_b32 s0, s15, s0
	v_lshlrev_b64 v[28:29], 2, v[28:29]
	v_cndmask_b32_e64 v34, 0x80, v30, s0
	s_delay_alu instid0(VALU_DEP_2) | instskip(NEXT) | instid1(VALU_DEP_1)
	v_add_co_u32 v30, s0, s12, v28
	v_add_co_ci_u32_e64 v31, s0, s13, v29, s0
	v_add_co_u32 v32, s0, s8, v28
	s_delay_alu instid0(VALU_DEP_1) | instskip(SKIP_1) | instid1(VALU_DEP_1)
	v_add_co_ci_u32_e64 v33, s0, s9, v29, s0
	v_add_co_u32 v28, s0, s10, v28
	v_add_co_ci_u32_e64 v29, s0, s11, v29, s0
	global_store_b32 v[30:31], v27, off
	global_store_b32 v[32:33], v34, off
	;; [unrolled: 1-line block ×3, first 2 shown]
	s_or_b32 exec_lo, exec_lo, s16
	s_add_i32 s7, s7, 1
	s_delay_alu instid0(SALU_CYCLE_1)
	s_cmp_ge_i32 s7, s4
	s_cbranch_scc1 .LBB142_9
.LBB142_29:                             ;   in Loop: Header=BB142_10 Depth=1
	v_ashrrev_i32_e32 v28, 31, v26
	s_mov_b32 s1, exec_lo
	s_delay_alu instid0(VALU_DEP_1) | instskip(NEXT) | instid1(VALU_DEP_1)
	v_lshrrev_b32_e32 v27, 29, v28
	v_add_nc_u32_e32 v27, v26, v27
	s_delay_alu instid0(VALU_DEP_1) | instskip(SKIP_1) | instid1(VALU_DEP_1)
	v_ashrrev_i32_e32 v27, 3, v27
	s_waitcnt lgkmcnt(0)
	v_lshrrev_b32_e32 v29, 28, v27
	s_delay_alu instid0(VALU_DEP_1) | instskip(NEXT) | instid1(VALU_DEP_1)
	v_add_nc_u32_e32 v29, v27, v29
	v_and_b32_e32 v29, -16, v29
	s_delay_alu instid0(VALU_DEP_1) | instskip(NEXT) | instid1(VALU_DEP_1)
	v_sub_nc_u32_e32 v29, v27, v29
	v_cmpx_eq_u32_e64 v17, v29
	s_cbranch_execz .LBB142_8
; %bb.30:                               ;   in Loop: Header=BB142_10 Depth=1
	v_lshrrev_b32_e32 v28, 25, v28
	v_lshlrev_b32_e32 v27, 3, v27
	s_delay_alu instid0(VALU_DEP_2) | instskip(NEXT) | instid1(VALU_DEP_2)
	v_add_nc_u32_e32 v28, v26, v28
	v_sub_nc_u32_e32 v26, v26, v27
	s_delay_alu instid0(VALU_DEP_2) | instskip(NEXT) | instid1(VALU_DEP_1)
	v_ashrrev_i32_e32 v27, 7, v28
	v_lshl_add_u32 v26, v27, 3, v26
	s_delay_alu instid0(VALU_DEP_1) | instskip(NEXT) | instid1(VALU_DEP_1)
	v_cmp_ne_u32_e64 s0, 7, v26
	v_cndmask_b32_e64 v15, 0xc61c4000, v15, s0
	v_cmp_ne_u32_e64 s0, 6, v26
	s_delay_alu instid0(VALU_DEP_1) | instskip(SKIP_1) | instid1(VALU_DEP_1)
	v_cndmask_b32_e64 v14, 0xc61c4000, v14, s0
	v_cmp_ne_u32_e64 s0, 5, v26
	v_cndmask_b32_e64 v13, 0xc61c4000, v13, s0
	v_cmp_ne_u32_e64 s0, 4, v26
	s_delay_alu instid0(VALU_DEP_1) | instskip(SKIP_1) | instid1(VALU_DEP_1)
	v_cndmask_b32_e64 v12, 0xc61c4000, v12, s0
	;; [unrolled: 5-line block ×3, first 2 shown]
	v_cmp_ne_u32_e64 s0, 1, v26
	v_cndmask_b32_e64 v9, 0xc61c4000, v9, s0
	v_cmp_ne_u32_e64 s0, 0, v26
	s_delay_alu instid0(VALU_DEP_1)
	v_cndmask_b32_e64 v8, 0xc61c4000, v8, s0
	s_branch .LBB142_8
.LBB142_31:
                                        ; implicit-def: $vgpr8_vgpr9_vgpr10_vgpr11_vgpr12_vgpr13_vgpr14_vgpr15
	s_and_not1_b32 vcc_lo, exec_lo, s8
	s_cbranch_vccz .LBB142_5
	s_branch .LBB142_6
.LBB142_32:
	v_mov_b32_e32 v23, 0
.LBB142_33:
	v_cmp_eq_u32_e64 s0, 0, v17
	s_delay_alu instid0(VALU_DEP_1) | instskip(NEXT) | instid1(SALU_CYCLE_1)
	s_and_b32 s0, s0, vcc_lo
	s_and_b32 exec_lo, exec_lo, s0
	s_cbranch_execz .LBB142_37
; %bb.34:
	s_and_not1_b32 vcc_lo, exec_lo, s3
	s_cbranch_vccnz .LBB142_37
; %bb.35:
	v_mul_lo_u32 v0, v16, s4
	v_cmp_lt_f32_e32 vcc_lo, 0, v23
	v_cndmask_b32_e32 v2, 1.0, v23, vcc_lo
	s_delay_alu instid0(VALU_DEP_3) | instskip(NEXT) | instid1(VALU_DEP_1)
	v_ashrrev_i32_e32 v1, 31, v0
	v_lshlrev_b64 v[0:1], 2, v[0:1]
	s_delay_alu instid0(VALU_DEP_1) | instskip(NEXT) | instid1(VALU_DEP_2)
	v_add_co_u32 v0, vcc_lo, s12, v0
	v_add_co_ci_u32_e32 v1, vcc_lo, s13, v1, vcc_lo
	.p2align	6
.LBB142_36:                             ; =>This Inner Loop Header: Depth=1
	global_load_b32 v3, v[0:1], off
	s_add_i32 s4, s4, -1
	s_delay_alu instid0(SALU_CYCLE_1) | instskip(SKIP_3) | instid1(VALU_DEP_2)
	s_cmp_lg_u32 s4, 0
	s_waitcnt vmcnt(0)
	v_div_scale_f32 v4, null, v2, v2, v3
	v_div_scale_f32 v7, vcc_lo, v3, v2, v3
	v_rcp_f32_e32 v5, v4
	s_waitcnt_depctr 0xfff
	v_fma_f32 v6, -v4, v5, 1.0
	s_delay_alu instid0(VALU_DEP_1) | instskip(NEXT) | instid1(VALU_DEP_1)
	v_fmac_f32_e32 v5, v6, v5
	v_mul_f32_e32 v6, v7, v5
	s_delay_alu instid0(VALU_DEP_1) | instskip(NEXT) | instid1(VALU_DEP_1)
	v_fma_f32 v8, -v4, v6, v7
	v_fmac_f32_e32 v6, v8, v5
	s_delay_alu instid0(VALU_DEP_1) | instskip(NEXT) | instid1(VALU_DEP_1)
	v_fma_f32 v4, -v4, v6, v7
	v_div_fmas_f32 v4, v4, v5, v6
	s_delay_alu instid0(VALU_DEP_1)
	v_div_fixup_f32 v3, v4, v2, v3
	global_store_b32 v[0:1], v3, off
	v_add_co_u32 v0, vcc_lo, v0, 4
	v_add_co_ci_u32_e32 v1, vcc_lo, 0, v1, vcc_lo
	s_cbranch_scc1 .LBB142_36
.LBB142_37:
	s_nop 0
	s_sendmsg sendmsg(MSG_DEALLOC_VGPRS)
	s_endpgm
	.section	.rodata,"a",@progbits
	.p2align	6, 0x0
	.amdhsa_kernel _ZN4vllm3moe10topkGatingILi8ELi128ELi4ELi16ELi32Ei14__hip_bfloat16LNS0_11ScoringFuncE0EEEvPKT5_PKbPfiPT4_PiiiibPKf
		.amdhsa_group_segment_fixed_size 0
		.amdhsa_private_segment_fixed_size 0
		.amdhsa_kernarg_size 72
		.amdhsa_user_sgpr_count 15
		.amdhsa_user_sgpr_dispatch_ptr 0
		.amdhsa_user_sgpr_queue_ptr 0
		.amdhsa_user_sgpr_kernarg_segment_ptr 1
		.amdhsa_user_sgpr_dispatch_id 0
		.amdhsa_user_sgpr_private_segment_size 0
		.amdhsa_wavefront_size32 1
		.amdhsa_uses_dynamic_stack 0
		.amdhsa_enable_private_segment 0
		.amdhsa_system_sgpr_workgroup_id_x 1
		.amdhsa_system_sgpr_workgroup_id_y 0
		.amdhsa_system_sgpr_workgroup_id_z 0
		.amdhsa_system_sgpr_workgroup_info 0
		.amdhsa_system_vgpr_workitem_id 1
		.amdhsa_next_free_vgpr 38
		.amdhsa_next_free_sgpr 18
		.amdhsa_reserve_vcc 1
		.amdhsa_float_round_mode_32 0
		.amdhsa_float_round_mode_16_64 0
		.amdhsa_float_denorm_mode_32 3
		.amdhsa_float_denorm_mode_16_64 3
		.amdhsa_dx10_clamp 1
		.amdhsa_ieee_mode 1
		.amdhsa_fp16_overflow 0
		.amdhsa_workgroup_processor_mode 1
		.amdhsa_memory_ordered 1
		.amdhsa_forward_progress 0
		.amdhsa_shared_vgpr_count 0
		.amdhsa_exception_fp_ieee_invalid_op 0
		.amdhsa_exception_fp_denorm_src 0
		.amdhsa_exception_fp_ieee_div_zero 0
		.amdhsa_exception_fp_ieee_overflow 0
		.amdhsa_exception_fp_ieee_underflow 0
		.amdhsa_exception_fp_ieee_inexact 0
		.amdhsa_exception_int_div_zero 0
	.end_amdhsa_kernel
	.section	.text._ZN4vllm3moe10topkGatingILi8ELi128ELi4ELi16ELi32Ei14__hip_bfloat16LNS0_11ScoringFuncE0EEEvPKT5_PKbPfiPT4_PiiiibPKf,"axG",@progbits,_ZN4vllm3moe10topkGatingILi8ELi128ELi4ELi16ELi32Ei14__hip_bfloat16LNS0_11ScoringFuncE0EEEvPKT5_PKbPfiPT4_PiiiibPKf,comdat
.Lfunc_end142:
	.size	_ZN4vllm3moe10topkGatingILi8ELi128ELi4ELi16ELi32Ei14__hip_bfloat16LNS0_11ScoringFuncE0EEEvPKT5_PKbPfiPT4_PiiiibPKf, .Lfunc_end142-_ZN4vllm3moe10topkGatingILi8ELi128ELi4ELi16ELi32Ei14__hip_bfloat16LNS0_11ScoringFuncE0EEEvPKT5_PKbPfiPT4_PiiiibPKf
                                        ; -- End function
	.section	.AMDGPU.csdata,"",@progbits
; Kernel info:
; codeLenInByte = 3404
; NumSgprs: 20
; NumVgprs: 38
; ScratchSize: 0
; MemoryBound: 0
; FloatMode: 240
; IeeeMode: 1
; LDSByteSize: 0 bytes/workgroup (compile time only)
; SGPRBlocks: 2
; VGPRBlocks: 4
; NumSGPRsForWavesPerEU: 20
; NumVGPRsForWavesPerEU: 38
; Occupancy: 16
; WaveLimiterHint : 0
; COMPUTE_PGM_RSRC2:SCRATCH_EN: 0
; COMPUTE_PGM_RSRC2:USER_SGPR: 15
; COMPUTE_PGM_RSRC2:TRAP_HANDLER: 0
; COMPUTE_PGM_RSRC2:TGID_X_EN: 1
; COMPUTE_PGM_RSRC2:TGID_Y_EN: 0
; COMPUTE_PGM_RSRC2:TGID_Z_EN: 0
; COMPUTE_PGM_RSRC2:TIDIG_COMP_CNT: 1
	.section	.text._ZN4vllm3moe10topkGatingILi8ELi256ELi4ELi16ELi64Ei14__hip_bfloat16LNS0_11ScoringFuncE0EEEvPKT5_PKbPfiPT4_PiiiibPKf,"axG",@progbits,_ZN4vllm3moe10topkGatingILi8ELi256ELi4ELi16ELi64Ei14__hip_bfloat16LNS0_11ScoringFuncE0EEEvPKT5_PKbPfiPT4_PiiiibPKf,comdat
	.protected	_ZN4vllm3moe10topkGatingILi8ELi256ELi4ELi16ELi64Ei14__hip_bfloat16LNS0_11ScoringFuncE0EEEvPKT5_PKbPfiPT4_PiiiibPKf ; -- Begin function _ZN4vllm3moe10topkGatingILi8ELi256ELi4ELi16ELi64Ei14__hip_bfloat16LNS0_11ScoringFuncE0EEEvPKT5_PKbPfiPT4_PiiiibPKf
	.globl	_ZN4vllm3moe10topkGatingILi8ELi256ELi4ELi16ELi64Ei14__hip_bfloat16LNS0_11ScoringFuncE0EEEvPKT5_PKbPfiPT4_PiiiibPKf
	.p2align	8
	.type	_ZN4vllm3moe10topkGatingILi8ELi256ELi4ELi16ELi64Ei14__hip_bfloat16LNS0_11ScoringFuncE0EEEvPKT5_PKbPfiPT4_PiiiibPKf,@function
_ZN4vllm3moe10topkGatingILi8ELi256ELi4ELi16ELi64Ei14__hip_bfloat16LNS0_11ScoringFuncE0EEEvPKT5_PKbPfiPT4_PiiiibPKf: ; @_ZN4vllm3moe10topkGatingILi8ELi256ELi4ELi16ELi64Ei14__hip_bfloat16LNS0_11ScoringFuncE0EEEvPKT5_PKbPfiPT4_PiiiibPKf
; %bb.0:
	s_load_b32 s14, s[0:1], 0x18
	v_bfe_u32 v1, v0, 10, 10
	v_and_b32_e32 v0, 0x3ff, v0
	s_lshl_b32 s2, s15, 3
	s_delay_alu instid0(VALU_DEP_2) | instskip(NEXT) | instid1(VALU_DEP_2)
	v_lshlrev_b32_e32 v1, 1, v1
	v_lshrrev_b32_e32 v2, 5, v0
	s_delay_alu instid0(VALU_DEP_1) | instskip(SKIP_2) | instid1(VALU_DEP_1)
	v_add3_u32 v16, s2, v1, v2
	s_mov_b32 s2, exec_lo
	s_waitcnt lgkmcnt(0)
	v_cmpx_gt_i32_e64 s14, v16
	s_cbranch_execz .LBB143_41
; %bb.1:
	s_clause 0x1
	s_load_b128 s[4:7], s[0:1], 0x0
	s_load_b64 s[12:13], s[0:1], 0x10
	s_mov_b32 s8, -1
	s_mov_b32 s15, -1
	s_waitcnt lgkmcnt(0)
	s_cmp_eq_u64 s[6:7], 0
	s_cbranch_scc1 .LBB143_3
; %bb.2:
	v_ashrrev_i32_e32 v2, 31, v16
	v_add_co_u32 v1, vcc_lo, s6, v16
	s_delay_alu instid0(VALU_DEP_2) | instskip(SKIP_3) | instid1(VALU_DEP_1)
	v_add_co_ci_u32_e32 v2, vcc_lo, s7, v2, vcc_lo
	global_load_u8 v1, v[1:2], off
	s_waitcnt vmcnt(0)
	v_and_b32_e32 v1, 1, v1
	v_cmp_eq_u32_e32 vcc_lo, 1, v1
	s_xor_b32 s2, vcc_lo, -1
	s_delay_alu instid0(SALU_CYCLE_1)
	s_or_not1_b32 s15, s2, exec_lo
.LBB143_3:
	v_mbcnt_lo_u32_b32 v7, -1, 0
	v_lshlrev_b32_e32 v1, 8, v16
	v_and_b32_e32 v17, 31, v0
	s_load_b64 s[2:3], s[0:1], 0x40
	s_delay_alu instid0(VALU_DEP_3) | instskip(NEXT) | instid1(VALU_DEP_3)
	v_xor_b32_e32 v11, 8, v7
	v_ashrrev_i32_e32 v2, 31, v1
	s_delay_alu instid0(VALU_DEP_1) | instskip(SKIP_1) | instid1(VALU_DEP_2)
	v_lshlrev_b64 v[0:1], 1, v[1:2]
	v_lshlrev_b32_e32 v2, 4, v17
	v_add_co_u32 v0, vcc_lo, s4, v0
	s_delay_alu instid0(VALU_DEP_3) | instskip(NEXT) | instid1(VALU_DEP_2)
	v_add_co_ci_u32_e32 v1, vcc_lo, s5, v1, vcc_lo
	v_add_co_u32 v0, vcc_lo, v0, v2
	s_delay_alu instid0(VALU_DEP_2)
	v_add_co_ci_u32_e32 v1, vcc_lo, 0, v1, vcc_lo
	s_waitcnt lgkmcnt(0)
	s_cmp_eq_u64 s[2:3], 0
	global_load_b128 v[0:3], v[0:1], off
	s_waitcnt vmcnt(0)
	v_and_b32_e32 v4, 0xffff0000, v0
	v_lshlrev_b32_e32 v0, 16, v0
	v_lshlrev_b32_e32 v8, 16, v1
	v_lshlrev_b32_e32 v10, 16, v3
	v_and_b32_e32 v1, 0xffff0000, v1
	v_max_f32_e32 v5, v4, v4
	v_dual_max_f32 v6, v0, v0 :: v_dual_and_b32 v3, 0xffff0000, v3
	s_delay_alu instid0(VALU_DEP_1) | instskip(SKIP_1) | instid1(VALU_DEP_2)
	v_max_f32_e32 v5, v6, v5
	v_xor_b32_e32 v6, 16, v7
	v_max3_f32 v5, v5, v8, v1
	s_delay_alu instid0(VALU_DEP_2) | instskip(SKIP_4) | instid1(VALU_DEP_2)
	v_cmp_gt_i32_e32 vcc_lo, 32, v6
	v_cndmask_b32_e32 v6, v7, v6, vcc_lo
	v_cmp_gt_i32_e32 vcc_lo, 32, v11
	v_cndmask_b32_e32 v11, v7, v11, vcc_lo
	v_lshlrev_b32_e32 v9, 16, v2
	v_lshlrev_b32_e32 v19, 2, v11
	v_xor_b32_e32 v11, 4, v7
	s_delay_alu instid0(VALU_DEP_1) | instskip(SKIP_1) | instid1(VALU_DEP_1)
	v_cmp_gt_i32_e32 vcc_lo, 32, v11
	v_dual_cndmask_b32 v11, v7, v11 :: v_dual_and_b32 v2, 0xffff0000, v2
	v_max3_f32 v5, v5, v9, v2
	s_delay_alu instid0(VALU_DEP_2) | instskip(SKIP_1) | instid1(VALU_DEP_3)
	v_lshlrev_b32_e32 v20, 2, v11
	v_xor_b32_e32 v11, 2, v7
	v_max3_f32 v5, v5, v10, v3
	s_delay_alu instid0(VALU_DEP_2) | instskip(SKIP_4) | instid1(VALU_DEP_1)
	v_cmp_gt_i32_e32 vcc_lo, 32, v11
	v_dual_cndmask_b32 v11, v7, v11 :: v_dual_lshlrev_b32 v18, 2, v6
	ds_bpermute_b32 v6, v18, v5
	v_lshlrev_b32_e32 v21, 2, v11
	v_xor_b32_e32 v11, 1, v7
	v_cmp_gt_i32_e32 vcc_lo, 32, v11
	s_waitcnt lgkmcnt(0)
	v_dual_cndmask_b32 v7, v7, v11 :: v_dual_max_f32 v6, v6, v6
	s_delay_alu instid0(VALU_DEP_1) | instskip(SKIP_3) | instid1(VALU_DEP_1)
	v_max_f32_e32 v5, v5, v6
	ds_bpermute_b32 v6, v19, v5
	s_waitcnt lgkmcnt(0)
	v_max_f32_e32 v6, v6, v6
	v_max_f32_e32 v5, v5, v6
	ds_bpermute_b32 v6, v20, v5
	s_waitcnt lgkmcnt(0)
	v_max_f32_e32 v6, v6, v6
	s_delay_alu instid0(VALU_DEP_1) | instskip(SKIP_3) | instid1(VALU_DEP_1)
	v_max_f32_e32 v5, v5, v6
	ds_bpermute_b32 v6, v21, v5
	s_waitcnt lgkmcnt(0)
	v_max_f32_e32 v6, v6, v6
	v_dual_max_f32 v5, v5, v6 :: v_dual_lshlrev_b32 v22, 2, v7
	ds_bpermute_b32 v6, v22, v5
	s_waitcnt lgkmcnt(0)
	v_max_f32_e32 v6, v6, v6
	s_delay_alu instid0(VALU_DEP_1) | instskip(NEXT) | instid1(VALU_DEP_1)
	v_max_f32_e32 v5, v5, v6
	v_sub_f32_e32 v0, v0, v5
	v_sub_f32_e32 v7, v9, v5
	s_delay_alu instid0(VALU_DEP_2) | instskip(NEXT) | instid1(VALU_DEP_2)
	v_cmp_ngt_f32_e32 vcc_lo, 0xc2ce8ed0, v0
	v_dual_mul_f32 v12, 0x3fb8aa3b, v7 :: v_dual_sub_f32 v3, v3, v5
	v_sub_f32_e32 v4, v4, v5
	v_sub_f32_e32 v6, v8, v5
	;; [unrolled: 1-line block ×4, first 2 shown]
	v_dual_mul_f32 v15, 0x3fb8aa3b, v3 :: v_dual_sub_f32 v8, v10, v5
	v_mul_f32_e32 v5, 0x3fb8aa3b, v0
	s_delay_alu instid0(VALU_DEP_4)
	v_mul_f32_e32 v13, 0x3fb8aa3b, v2
	v_rndne_f32_e32 v32, v12
	v_mul_f32_e32 v9, 0x3fb8aa3b, v4
	v_mul_f32_e32 v14, 0x3fb8aa3b, v8
	v_fma_f32 v31, 0x3fb8aa3b, v7, -v12
	v_dual_mul_f32 v10, 0x3fb8aa3b, v6 :: v_dual_mul_f32 v11, 0x3fb8aa3b, v1
	v_sub_f32_e32 v12, v12, v32
	v_rndne_f32_e32 v24, v5
	s_delay_alu instid0(VALU_DEP_4) | instskip(SKIP_3) | instid1(VALU_DEP_4)
	v_fmac_f32_e32 v31, 0x32a5705f, v7
	v_fma_f32 v23, 0x3fb8aa3b, v0, -v5
	v_fma_f32 v27, 0x3fb8aa3b, v6, -v10
	v_rndne_f32_e32 v28, v10
	v_dual_sub_f32 v5, v5, v24 :: v_dual_add_f32 v12, v12, v31
	v_cvt_i32_f32_e32 v32, v32
	v_fma_f32 v25, 0x3fb8aa3b, v4, -v9
	v_rndne_f32_e32 v26, v9
	v_fma_f32 v35, 0x3fb8aa3b, v8, -v14
	v_exp_f32_e32 v12, v12
	v_rndne_f32_e32 v36, v14
	s_delay_alu instid0(VALU_DEP_3) | instskip(NEXT) | instid1(VALU_DEP_3)
	v_dual_sub_f32 v10, v10, v28 :: v_dual_sub_f32 v9, v9, v26
	v_fmac_f32_e32 v35, 0x32a5705f, v8
	v_cvt_i32_f32_e32 v24, v24
	s_delay_alu instid0(VALU_DEP_4) | instskip(SKIP_3) | instid1(TRANS32_DEP_1)
	v_sub_f32_e32 v14, v14, v36
	v_fmac_f32_e32 v25, 0x32a5705f, v4
	v_cvt_i32_f32_e32 v26, v26
	v_cvt_i32_f32_e32 v28, v28
	v_ldexp_f32 v12, v12, v32
	v_dual_add_f32 v14, v14, v35 :: v_dual_fmac_f32 v27, 0x32a5705f, v6
	v_fmac_f32_e32 v23, 0x32a5705f, v0
	v_add_f32_e32 v9, v9, v25
	v_fma_f32 v29, 0x3fb8aa3b, v1, -v11
	v_rndne_f32_e32 v30, v11
	v_add_f32_e32 v10, v10, v27
	v_add_f32_e32 v5, v5, v23
	v_exp_f32_e32 v9, v9
	v_fma_f32 v33, 0x3fb8aa3b, v2, -v13
	v_rndne_f32_e32 v34, v13
	v_exp_f32_e32 v10, v10
	v_exp_f32_e32 v5, v5
	;; [unrolled: 1-line block ×3, first 2 shown]
	v_cvt_i32_f32_e32 v23, v36
	v_fma_f32 v37, 0x3fb8aa3b, v3, -v15
	v_rndne_f32_e32 v38, v15
	v_ldexp_f32 v9, v9, v26
	s_delay_alu instid0(TRANS32_DEP_3) | instskip(NEXT) | instid1(TRANS32_DEP_2)
	v_ldexp_f32 v10, v10, v28
	v_ldexp_f32 v5, v5, v24
	s_delay_alu instid0(TRANS32_DEP_1) | instskip(SKIP_2) | instid1(VALU_DEP_4)
	v_ldexp_f32 v14, v14, v23
	v_cvt_i32_f32_e32 v25, v38
	v_lshlrev_b32_e32 v23, 3, v17
	v_cndmask_b32_e32 v5, 0, v5, vcc_lo
	v_cmp_ngt_f32_e32 vcc_lo, 0xc2ce8ed0, v4
	v_cndmask_b32_e32 v9, 0, v9, vcc_lo
	v_cmp_ngt_f32_e32 vcc_lo, 0xc2ce8ed0, v6
	v_dual_fmac_f32 v29, 0x32a5705f, v1 :: v_dual_cndmask_b32 v10, 0, v10
	v_cmp_nlt_f32_e32 vcc_lo, 0x42b17218, v0
	v_sub_f32_e32 v11, v11, v30
	v_cvt_i32_f32_e32 v30, v30
	v_cndmask_b32_e32 v0, 0x7f800000, v5, vcc_lo
	s_delay_alu instid0(VALU_DEP_3)
	v_add_f32_e32 v11, v11, v29
	v_cmp_nlt_f32_e32 vcc_lo, 0x42b17218, v4
	v_fmac_f32_e32 v33, 0x32a5705f, v2
	v_sub_f32_e32 v13, v13, v34
	v_cvt_i32_f32_e32 v34, v34
	v_exp_f32_e32 v11, v11
	v_cndmask_b32_e32 v4, 0x7f800000, v9, vcc_lo
	v_cmp_ngt_f32_e32 vcc_lo, 0xc2ce8ed0, v1
	v_add_f32_e32 v13, v13, v33
	v_fmac_f32_e32 v37, 0x32a5705f, v3
	s_delay_alu instid0(VALU_DEP_4) | instskip(NEXT) | instid1(VALU_DEP_3)
	v_add_f32_e32 v9, v0, v4
	v_exp_f32_e32 v13, v13
	s_delay_alu instid0(TRANS32_DEP_2) | instskip(NEXT) | instid1(VALU_DEP_1)
	v_ldexp_f32 v11, v11, v30
	v_cndmask_b32_e32 v5, 0, v11, vcc_lo
	v_cmp_nlt_f32_e32 vcc_lo, 0x42b17218, v6
	s_waitcnt_depctr 0xfff
	v_ldexp_f32 v13, v13, v34
	v_cndmask_b32_e32 v6, 0x7f800000, v10, vcc_lo
	v_cmp_ngt_f32_e32 vcc_lo, 0xc2ce8ed0, v7
	v_cndmask_b32_e32 v10, 0, v12, vcc_lo
	v_cmp_nlt_f32_e32 vcc_lo, 0x42b17218, v1
	v_cndmask_b32_e32 v1, 0x7f800000, v5, vcc_lo
	v_cmp_ngt_f32_e32 vcc_lo, 0xc2ce8ed0, v2
	v_add_f32_e32 v5, v9, v6
	v_cndmask_b32_e32 v9, 0, v13, vcc_lo
	v_cmp_nlt_f32_e32 vcc_lo, 0x42b17218, v7
	s_delay_alu instid0(VALU_DEP_3) | instskip(SKIP_2) | instid1(VALU_DEP_2)
	v_add_f32_e32 v5, v5, v1
	v_cndmask_b32_e32 v7, 0x7f800000, v10, vcc_lo
	v_cmp_ngt_f32_e32 vcc_lo, 0xc2ce8ed0, v8
	v_dual_add_f32 v5, v5, v7 :: v_dual_cndmask_b32 v10, 0, v14
	v_cmp_nlt_f32_e32 vcc_lo, 0x42b17218, v2
	v_dual_sub_f32 v15, v15, v38 :: v_dual_cndmask_b32 v2, 0x7f800000, v9
	s_delay_alu instid0(VALU_DEP_1) | instskip(SKIP_1) | instid1(VALU_DEP_3)
	v_add_f32_e32 v15, v15, v37
	v_cmp_ngt_f32_e32 vcc_lo, 0xc2ce8ed0, v3
	v_add_f32_e32 v5, v5, v2
	s_delay_alu instid0(VALU_DEP_3) | instskip(SKIP_2) | instid1(VALU_DEP_1)
	v_exp_f32_e32 v15, v15
	s_waitcnt_depctr 0xfff
	v_ldexp_f32 v15, v15, v25
	v_cndmask_b32_e32 v9, 0, v15, vcc_lo
	v_cmp_nlt_f32_e32 vcc_lo, 0x42b17218, v8
	v_cndmask_b32_e32 v8, 0x7f800000, v10, vcc_lo
	v_cmp_nlt_f32_e32 vcc_lo, 0x42b17218, v3
	s_delay_alu instid0(VALU_DEP_2) | instskip(SKIP_1) | instid1(VALU_DEP_1)
	v_add_f32_e32 v5, v5, v8
	v_cndmask_b32_e32 v3, 0x7f800000, v9, vcc_lo
	v_add_f32_e32 v5, v5, v3
	ds_bpermute_b32 v9, v18, v5
	s_waitcnt lgkmcnt(0)
	v_add_f32_e32 v5, v5, v9
	ds_bpermute_b32 v9, v19, v5
	s_waitcnt lgkmcnt(0)
	;; [unrolled: 3-line block ×5, first 2 shown]
	v_add_f32_e32 v5, v5, v9
	s_delay_alu instid0(VALU_DEP_1) | instskip(SKIP_1) | instid1(VALU_DEP_2)
	v_div_scale_f32 v9, null, v5, v5, 1.0
	v_div_scale_f32 v12, vcc_lo, 1.0, v5, 1.0
	v_rcp_f32_e32 v10, v9
	s_waitcnt_depctr 0xfff
	v_fma_f32 v11, -v9, v10, 1.0
	s_delay_alu instid0(VALU_DEP_1) | instskip(NEXT) | instid1(VALU_DEP_1)
	v_fmac_f32_e32 v10, v11, v10
	v_mul_f32_e32 v11, v12, v10
	s_delay_alu instid0(VALU_DEP_1) | instskip(NEXT) | instid1(VALU_DEP_1)
	v_fma_f32 v13, -v9, v11, v12
	v_fmac_f32_e32 v11, v13, v10
	s_delay_alu instid0(VALU_DEP_1) | instskip(NEXT) | instid1(VALU_DEP_1)
	v_fma_f32 v9, -v9, v11, v12
	v_div_fmas_f32 v9, v9, v10, v11
	s_delay_alu instid0(VALU_DEP_1) | instskip(NEXT) | instid1(VALU_DEP_1)
	v_div_fixup_f32 v5, v9, v5, 1.0
	v_mul_f32_e32 v10, v5, v2
	v_mul_f32_e32 v0, v5, v0
	;; [unrolled: 1-line block ×6, first 2 shown]
	v_cmp_class_f32_e64 vcc_lo, v0, 0x1f8
	v_mul_f32_e32 v11, v5, v3
	v_mul_f32_e32 v8, v5, v8
	v_cndmask_b32_e32 v0, 0, v0, vcc_lo
	v_cmp_class_f32_e64 vcc_lo, v4, 0x1f8
	v_cndmask_b32_e32 v1, 0, v4, vcc_lo
	v_cmp_class_f32_e64 vcc_lo, v6, 0x1f8
	v_cndmask_b32_e32 v2, 0, v6, vcc_lo
	v_cmp_class_f32_e64 vcc_lo, v9, 0x1f8
	v_cndmask_b32_e32 v3, 0, v9, vcc_lo
	v_cmp_class_f32_e64 vcc_lo, v7, 0x1f8
	v_cndmask_b32_e32 v4, 0, v7, vcc_lo
	v_cmp_class_f32_e64 vcc_lo, v10, 0x1f8
	v_cndmask_b32_e32 v5, 0, v10, vcc_lo
	v_cmp_class_f32_e64 vcc_lo, v8, 0x1f8
	v_cndmask_b32_e32 v6, 0, v8, vcc_lo
	v_cmp_class_f32_e64 vcc_lo, v11, 0x1f8
	v_cndmask_b32_e32 v7, 0, v11, vcc_lo
	s_cbranch_scc1 .LBB143_35
; %bb.4:
	v_lshlrev_b32_e32 v12, 2, v23
	s_clause 0x1
	global_load_b128 v[8:11], v12, s[2:3]
	global_load_b128 v[12:15], v12, s[2:3] offset:16
	s_waitcnt vmcnt(1)
	v_dual_add_f32 v9, v9, v1 :: v_dual_add_f32 v8, v8, v0
	v_dual_add_f32 v11, v11, v3 :: v_dual_add_f32 v10, v10, v2
	s_waitcnt vmcnt(0)
	v_dual_add_f32 v13, v13, v5 :: v_dual_add_f32 v12, v12, v4
	v_dual_add_f32 v15, v15, v7 :: v_dual_add_f32 v14, v14, v6
	s_cbranch_execnz .LBB143_6
.LBB143_5:
	v_dual_mov_b32 v15, v7 :: v_dual_mov_b32 v14, v6
	v_dual_mov_b32 v13, v5 :: v_dual_mov_b32 v12, v4
	v_dual_mov_b32 v11, v3 :: v_dual_mov_b32 v10, v2
	v_dual_mov_b32 v9, v1 :: v_dual_mov_b32 v8, v0
.LBB143_6:
	s_load_b128 s[4:7], s[0:1], 0x30
	v_cmp_eq_u32_e64 s2, 0, v17
	s_waitcnt lgkmcnt(0)
	s_bitcmp1_b32 s7, 0
	s_mov_b32 s7, 0
	s_cselect_b32 vcc_lo, -1, 0
	s_cmp_gt_i32 s4, 0
	s_cselect_b32 s3, -1, 0
	s_cmp_lt_i32 s4, 1
	s_cbranch_scc1 .LBB143_36
; %bb.7:
	s_load_b128 s[8:11], s[0:1], 0x20
	v_mul_lo_u32 v25, v16, s4
	v_mov_b32_e32 v24, 0
	v_mov_b32_e32 v26, v16
	s_branch .LBB143_10
.LBB143_8:                              ;   in Loop: Header=BB143_10 Depth=1
	s_or_b32 exec_lo, exec_lo, s1
.LBB143_9:                              ;   in Loop: Header=BB143_10 Depth=1
	v_add_nc_u32_e32 v26, s14, v26
	s_cmp_eq_u32 s4, s7
	s_cbranch_scc1 .LBB143_37
.LBB143_10:                             ; =>This Inner Loop Header: Depth=1
	v_cmp_gt_f32_e64 s0, v9, v8
	s_mov_b32 s17, exec_lo
	s_delay_alu instid0(VALU_DEP_1) | instskip(SKIP_2) | instid1(VALU_DEP_3)
	v_cndmask_b32_e64 v27, v8, v9, s0
	v_cndmask_b32_e64 v28, 0, 1, s0
	v_cndmask_b32_e64 v29, v0, v1, s0
	v_cmp_gt_f32_e64 s1, v10, v27
	s_delay_alu instid0(VALU_DEP_1) | instskip(NEXT) | instid1(VALU_DEP_4)
	v_cndmask_b32_e64 v27, v27, v10, s1
	v_cndmask_b32_e64 v28, v28, 2, s1
	s_delay_alu instid0(VALU_DEP_4) | instskip(NEXT) | instid1(VALU_DEP_3)
	v_cndmask_b32_e64 v29, v29, v2, s1
	v_cmp_gt_f32_e64 s0, v11, v27
	s_delay_alu instid0(VALU_DEP_1) | instskip(NEXT) | instid1(VALU_DEP_4)
	v_cndmask_b32_e64 v27, v27, v11, s0
	v_cndmask_b32_e64 v28, v28, 3, s0
	s_delay_alu instid0(VALU_DEP_4) | instskip(NEXT) | instid1(VALU_DEP_3)
	v_cndmask_b32_e64 v29, v29, v3, s0
	v_cmp_gt_f32_e64 s1, v12, v27
	s_delay_alu instid0(VALU_DEP_1) | instskip(NEXT) | instid1(VALU_DEP_4)
	v_cndmask_b32_e64 v27, v27, v12, s1
	v_cndmask_b32_e64 v28, v28, 4, s1
	s_delay_alu instid0(VALU_DEP_4) | instskip(NEXT) | instid1(VALU_DEP_3)
	v_cndmask_b32_e64 v29, v29, v4, s1
	v_cmp_gt_f32_e64 s0, v13, v27
	s_delay_alu instid0(VALU_DEP_1) | instskip(NEXT) | instid1(VALU_DEP_4)
	v_cndmask_b32_e64 v27, v27, v13, s0
	v_cndmask_b32_e64 v28, v28, 5, s0
	s_delay_alu instid0(VALU_DEP_4) | instskip(NEXT) | instid1(VALU_DEP_3)
	v_cndmask_b32_e64 v29, v29, v5, s0
	v_cmp_gt_f32_e64 s1, v14, v27
	s_delay_alu instid0(VALU_DEP_1) | instskip(NEXT) | instid1(VALU_DEP_4)
	v_cndmask_b32_e64 v27, v27, v14, s1
	v_cndmask_b32_e64 v28, v28, 6, s1
	s_waitcnt lgkmcnt(0)
	v_cndmask_b32_e64 v30, v29, v6, s1
	s_delay_alu instid0(VALU_DEP_3) | instskip(NEXT) | instid1(VALU_DEP_1)
	v_cmp_gt_f32_e64 s0, v15, v27
	v_cndmask_b32_e64 v29, v27, v15, s0
	v_cndmask_b32_e64 v27, v28, 7, s0
	s_delay_alu instid0(VALU_DEP_4)
	v_cndmask_b32_e64 v28, v30, v7, s0
	ds_bpermute_b32 v30, v18, v29
	v_or_b32_e32 v27, v23, v27
	ds_bpermute_b32 v32, v18, v28
	ds_bpermute_b32 v31, v18, v27
	s_waitcnt lgkmcnt(0)
	v_cmp_lt_f32_e64 s16, v29, v30
	v_cmpx_nlt_f32_e32 v29, v30
; %bb.11:                               ;   in Loop: Header=BB143_10 Depth=1
	v_cmp_eq_f32_e64 s0, v29, v30
	v_cmp_lt_i32_e64 s1, v31, v27
	s_delay_alu instid0(VALU_DEP_1) | instskip(SKIP_2) | instid1(SALU_CYCLE_1)
	s_and_b32 s0, s0, s1
	s_and_not1_b32 s1, s16, exec_lo
	s_and_b32 s0, s0, exec_lo
	s_or_b32 s16, s1, s0
; %bb.12:                               ;   in Loop: Header=BB143_10 Depth=1
	s_or_b32 exec_lo, exec_lo, s17
	s_and_saveexec_b32 s0, s16
; %bb.13:                               ;   in Loop: Header=BB143_10 Depth=1
	v_dual_mov_b32 v28, v32 :: v_dual_mov_b32 v29, v30
	v_mov_b32_e32 v27, v31
; %bb.14:                               ;   in Loop: Header=BB143_10 Depth=1
	s_or_b32 exec_lo, exec_lo, s0
	ds_bpermute_b32 v31, v19, v29
	ds_bpermute_b32 v32, v19, v28
	;; [unrolled: 1-line block ×3, first 2 shown]
	s_mov_b32 s17, exec_lo
	s_waitcnt lgkmcnt(2)
	v_cmp_lt_f32_e64 s16, v29, v31
	v_cmpx_nlt_f32_e32 v29, v31
	s_cbranch_execz .LBB143_16
; %bb.15:                               ;   in Loop: Header=BB143_10 Depth=1
	v_cmp_eq_f32_e64 s0, v29, v31
	s_waitcnt lgkmcnt(0)
	v_cmp_lt_i32_e64 s1, v30, v27
	s_delay_alu instid0(VALU_DEP_1) | instskip(SKIP_2) | instid1(SALU_CYCLE_1)
	s_and_b32 s0, s0, s1
	s_and_not1_b32 s1, s16, exec_lo
	s_and_b32 s0, s0, exec_lo
	s_or_b32 s16, s1, s0
.LBB143_16:                             ;   in Loop: Header=BB143_10 Depth=1
	s_or_b32 exec_lo, exec_lo, s17
	s_delay_alu instid0(VALU_DEP_2)
	s_and_saveexec_b32 s0, s16
	s_cbranch_execz .LBB143_18
; %bb.17:                               ;   in Loop: Header=BB143_10 Depth=1
	s_waitcnt lgkmcnt(1)
	v_dual_mov_b32 v28, v32 :: v_dual_mov_b32 v29, v31
	s_waitcnt lgkmcnt(0)
	v_mov_b32_e32 v27, v30
.LBB143_18:                             ;   in Loop: Header=BB143_10 Depth=1
	s_or_b32 exec_lo, exec_lo, s0
	ds_bpermute_b32 v31, v20, v29
	s_waitcnt lgkmcnt(2)
	ds_bpermute_b32 v32, v20, v28
	s_waitcnt lgkmcnt(2)
	ds_bpermute_b32 v30, v20, v27
	s_mov_b32 s17, exec_lo
	s_waitcnt lgkmcnt(2)
	v_cmp_lt_f32_e64 s16, v29, v31
	v_cmpx_nlt_f32_e32 v29, v31
	s_cbranch_execz .LBB143_20
; %bb.19:                               ;   in Loop: Header=BB143_10 Depth=1
	v_cmp_eq_f32_e64 s0, v29, v31
	s_waitcnt lgkmcnt(0)
	v_cmp_lt_i32_e64 s1, v30, v27
	s_delay_alu instid0(VALU_DEP_1) | instskip(SKIP_2) | instid1(SALU_CYCLE_1)
	s_and_b32 s0, s0, s1
	s_and_not1_b32 s1, s16, exec_lo
	s_and_b32 s0, s0, exec_lo
	s_or_b32 s16, s1, s0
.LBB143_20:                             ;   in Loop: Header=BB143_10 Depth=1
	s_or_b32 exec_lo, exec_lo, s17
	s_delay_alu instid0(VALU_DEP_2)
	s_and_saveexec_b32 s0, s16
	s_cbranch_execz .LBB143_22
; %bb.21:                               ;   in Loop: Header=BB143_10 Depth=1
	s_waitcnt lgkmcnt(1)
	v_dual_mov_b32 v28, v32 :: v_dual_mov_b32 v29, v31
	s_waitcnt lgkmcnt(0)
	v_mov_b32_e32 v27, v30
.LBB143_22:                             ;   in Loop: Header=BB143_10 Depth=1
	s_or_b32 exec_lo, exec_lo, s0
	ds_bpermute_b32 v31, v21, v29
	s_waitcnt lgkmcnt(2)
	ds_bpermute_b32 v32, v21, v28
	s_waitcnt lgkmcnt(2)
	ds_bpermute_b32 v30, v21, v27
	s_mov_b32 s17, exec_lo
	s_waitcnt lgkmcnt(2)
	v_cmp_lt_f32_e64 s16, v29, v31
	v_cmpx_nlt_f32_e32 v29, v31
	s_cbranch_execz .LBB143_24
; %bb.23:                               ;   in Loop: Header=BB143_10 Depth=1
	v_cmp_eq_f32_e64 s0, v29, v31
	s_waitcnt lgkmcnt(0)
	v_cmp_lt_i32_e64 s1, v30, v27
	s_delay_alu instid0(VALU_DEP_1) | instskip(SKIP_2) | instid1(SALU_CYCLE_1)
	s_and_b32 s0, s0, s1
	s_and_not1_b32 s1, s16, exec_lo
	s_and_b32 s0, s0, exec_lo
	s_or_b32 s16, s1, s0
.LBB143_24:                             ;   in Loop: Header=BB143_10 Depth=1
	s_or_b32 exec_lo, exec_lo, s17
	s_delay_alu instid0(VALU_DEP_2)
	s_and_saveexec_b32 s0, s16
	s_cbranch_execz .LBB143_26
; %bb.25:                               ;   in Loop: Header=BB143_10 Depth=1
	s_waitcnt lgkmcnt(1)
	v_dual_mov_b32 v28, v32 :: v_dual_mov_b32 v29, v31
	s_waitcnt lgkmcnt(0)
	v_mov_b32_e32 v27, v30
.LBB143_26:                             ;   in Loop: Header=BB143_10 Depth=1
	s_or_b32 exec_lo, exec_lo, s0
	s_waitcnt lgkmcnt(1)
	ds_bpermute_b32 v32, v22, v29
	ds_bpermute_b32 v31, v22, v28
	s_waitcnt lgkmcnt(2)
	ds_bpermute_b32 v30, v22, v27
	s_mov_b32 s17, exec_lo
	s_waitcnt lgkmcnt(2)
	v_cmp_lt_f32_e64 s16, v29, v32
	v_cmpx_nlt_f32_e32 v29, v32
	s_cbranch_execnz .LBB143_30
; %bb.27:                               ;   in Loop: Header=BB143_10 Depth=1
	s_or_b32 exec_lo, exec_lo, s17
	s_delay_alu instid0(VALU_DEP_2)
	s_and_saveexec_b32 s0, s16
	s_cbranch_execnz .LBB143_31
.LBB143_28:                             ;   in Loop: Header=BB143_10 Depth=1
	s_or_b32 exec_lo, exec_lo, s0
	s_and_saveexec_b32 s16, s2
	s_cbranch_execnz .LBB143_32
.LBB143_29:                             ;   in Loop: Header=BB143_10 Depth=1
	s_or_b32 exec_lo, exec_lo, s16
	s_add_i32 s7, s7, 1
	s_delay_alu instid0(SALU_CYCLE_1)
	s_cmp_ge_i32 s7, s4
	s_cbranch_scc1 .LBB143_9
	s_branch .LBB143_33
.LBB143_30:                             ;   in Loop: Header=BB143_10 Depth=1
	v_cmp_eq_f32_e64 s0, v29, v32
	s_waitcnt lgkmcnt(0)
	v_cmp_lt_i32_e64 s1, v30, v27
	s_delay_alu instid0(VALU_DEP_1) | instskip(SKIP_2) | instid1(SALU_CYCLE_1)
	s_and_b32 s0, s0, s1
	s_and_not1_b32 s1, s16, exec_lo
	s_and_b32 s0, s0, exec_lo
	s_or_b32 s16, s1, s0
	s_or_b32 exec_lo, exec_lo, s17
	s_and_saveexec_b32 s0, s16
	s_cbranch_execz .LBB143_28
.LBB143_31:                             ;   in Loop: Header=BB143_10 Depth=1
	s_waitcnt lgkmcnt(0)
	v_dual_mov_b32 v28, v31 :: v_dual_mov_b32 v27, v30
	s_or_b32 exec_lo, exec_lo, s0
	s_and_saveexec_b32 s16, s2
	s_cbranch_execz .LBB143_29
.LBB143_32:                             ;   in Loop: Header=BB143_10 Depth=1
	s_delay_alu instid0(VALU_DEP_1)
	v_dual_add_f32 v36, v24, v28 :: v_dual_add_nc_u32 v29, s7, v25
	v_cmp_le_i32_e64 s0, s5, v27
	v_cmp_gt_i32_e64 s1, s6, v27
	s_waitcnt lgkmcnt(1)
	v_subrev_nc_u32_e32 v31, s5, v27
	s_waitcnt lgkmcnt(0)
	v_ashrrev_i32_e32 v30, 31, v29
	v_cndmask_b32_e32 v24, v24, v36, vcc_lo
	s_and_b32 s0, s0, s1
	s_delay_alu instid0(SALU_CYCLE_1) | instskip(NEXT) | instid1(VALU_DEP_2)
	s_and_b32 s0, s15, s0
	v_lshlrev_b64 v[29:30], 2, v[29:30]
	v_cndmask_b32_e64 v35, 0x100, v31, s0
	s_delay_alu instid0(VALU_DEP_2) | instskip(NEXT) | instid1(VALU_DEP_1)
	v_add_co_u32 v31, s0, s12, v29
	v_add_co_ci_u32_e64 v32, s0, s13, v30, s0
	v_add_co_u32 v33, s0, s8, v29
	s_delay_alu instid0(VALU_DEP_1) | instskip(SKIP_1) | instid1(VALU_DEP_1)
	v_add_co_ci_u32_e64 v34, s0, s9, v30, s0
	v_add_co_u32 v29, s0, s10, v29
	v_add_co_ci_u32_e64 v30, s0, s11, v30, s0
	global_store_b32 v[31:32], v28, off
	global_store_b32 v[33:34], v35, off
	;; [unrolled: 1-line block ×3, first 2 shown]
	s_or_b32 exec_lo, exec_lo, s16
	s_add_i32 s7, s7, 1
	s_delay_alu instid0(SALU_CYCLE_1)
	s_cmp_ge_i32 s7, s4
	s_cbranch_scc1 .LBB143_9
.LBB143_33:                             ;   in Loop: Header=BB143_10 Depth=1
	v_ashrrev_i32_e32 v28, 31, v27
	s_mov_b32 s1, exec_lo
	s_delay_alu instid0(VALU_DEP_1) | instskip(NEXT) | instid1(VALU_DEP_1)
	v_lshrrev_b32_e32 v29, 29, v28
	v_add_nc_u32_e32 v29, v27, v29
	s_waitcnt lgkmcnt(0)
	s_delay_alu instid0(VALU_DEP_1) | instskip(SKIP_1) | instid1(VALU_DEP_2)
	v_ashrrev_i32_e32 v30, 31, v29
	v_ashrrev_i32_e32 v29, 3, v29
	v_lshrrev_b32_e32 v30, 27, v30
	s_delay_alu instid0(VALU_DEP_1) | instskip(NEXT) | instid1(VALU_DEP_1)
	v_add_nc_u32_e32 v30, v29, v30
	v_and_b32_e32 v30, 0xffffffe0, v30
	s_delay_alu instid0(VALU_DEP_1) | instskip(NEXT) | instid1(VALU_DEP_1)
	v_sub_nc_u32_e32 v30, v29, v30
	v_cmpx_eq_u32_e64 v17, v30
	s_cbranch_execz .LBB143_8
; %bb.34:                               ;   in Loop: Header=BB143_10 Depth=1
	v_lshrrev_b32_e32 v28, 24, v28
	v_lshlrev_b32_e32 v29, 3, v29
	s_delay_alu instid0(VALU_DEP_2) | instskip(NEXT) | instid1(VALU_DEP_2)
	v_add_nc_u32_e32 v28, v27, v28
	v_sub_nc_u32_e32 v27, v27, v29
	s_delay_alu instid0(VALU_DEP_2) | instskip(NEXT) | instid1(VALU_DEP_1)
	v_ashrrev_i32_e32 v28, 8, v28
	v_lshl_add_u32 v27, v28, 3, v27
	s_delay_alu instid0(VALU_DEP_1) | instskip(NEXT) | instid1(VALU_DEP_1)
	v_cmp_ne_u32_e64 s0, 7, v27
	v_cndmask_b32_e64 v15, 0xc61c4000, v15, s0
	v_cmp_ne_u32_e64 s0, 6, v27
	s_delay_alu instid0(VALU_DEP_1) | instskip(SKIP_1) | instid1(VALU_DEP_1)
	v_cndmask_b32_e64 v14, 0xc61c4000, v14, s0
	v_cmp_ne_u32_e64 s0, 5, v27
	v_cndmask_b32_e64 v13, 0xc61c4000, v13, s0
	v_cmp_ne_u32_e64 s0, 4, v27
	s_delay_alu instid0(VALU_DEP_1) | instskip(SKIP_1) | instid1(VALU_DEP_1)
	v_cndmask_b32_e64 v12, 0xc61c4000, v12, s0
	;; [unrolled: 5-line block ×3, first 2 shown]
	v_cmp_ne_u32_e64 s0, 1, v27
	v_cndmask_b32_e64 v9, 0xc61c4000, v9, s0
	v_cmp_ne_u32_e64 s0, 0, v27
	s_delay_alu instid0(VALU_DEP_1)
	v_cndmask_b32_e64 v8, 0xc61c4000, v8, s0
	s_branch .LBB143_8
.LBB143_35:
                                        ; implicit-def: $vgpr8_vgpr9_vgpr10_vgpr11_vgpr12_vgpr13_vgpr14_vgpr15
	s_and_not1_b32 vcc_lo, exec_lo, s8
	s_cbranch_vccz .LBB143_5
	s_branch .LBB143_6
.LBB143_36:
	v_mov_b32_e32 v24, 0
.LBB143_37:
	v_cmp_eq_u32_e64 s0, 0, v17
	s_delay_alu instid0(VALU_DEP_1) | instskip(NEXT) | instid1(SALU_CYCLE_1)
	s_and_b32 s0, s0, vcc_lo
	s_and_b32 exec_lo, exec_lo, s0
	s_cbranch_execz .LBB143_41
; %bb.38:
	s_and_not1_b32 vcc_lo, exec_lo, s3
	s_cbranch_vccnz .LBB143_41
; %bb.39:
	v_mul_lo_u32 v0, v16, s4
	v_cmp_lt_f32_e32 vcc_lo, 0, v24
	v_cndmask_b32_e32 v2, 1.0, v24, vcc_lo
	s_delay_alu instid0(VALU_DEP_3) | instskip(NEXT) | instid1(VALU_DEP_1)
	v_ashrrev_i32_e32 v1, 31, v0
	v_lshlrev_b64 v[0:1], 2, v[0:1]
	s_delay_alu instid0(VALU_DEP_1) | instskip(NEXT) | instid1(VALU_DEP_2)
	v_add_co_u32 v0, vcc_lo, s12, v0
	v_add_co_ci_u32_e32 v1, vcc_lo, s13, v1, vcc_lo
	.p2align	6
.LBB143_40:                             ; =>This Inner Loop Header: Depth=1
	global_load_b32 v3, v[0:1], off
	s_add_i32 s4, s4, -1
	s_delay_alu instid0(SALU_CYCLE_1) | instskip(SKIP_3) | instid1(VALU_DEP_2)
	s_cmp_lg_u32 s4, 0
	s_waitcnt vmcnt(0)
	v_div_scale_f32 v4, null, v2, v2, v3
	v_div_scale_f32 v7, vcc_lo, v3, v2, v3
	v_rcp_f32_e32 v5, v4
	s_waitcnt_depctr 0xfff
	v_fma_f32 v6, -v4, v5, 1.0
	s_delay_alu instid0(VALU_DEP_1) | instskip(NEXT) | instid1(VALU_DEP_1)
	v_fmac_f32_e32 v5, v6, v5
	v_mul_f32_e32 v6, v7, v5
	s_delay_alu instid0(VALU_DEP_1) | instskip(NEXT) | instid1(VALU_DEP_1)
	v_fma_f32 v8, -v4, v6, v7
	v_fmac_f32_e32 v6, v8, v5
	s_delay_alu instid0(VALU_DEP_1) | instskip(NEXT) | instid1(VALU_DEP_1)
	v_fma_f32 v4, -v4, v6, v7
	v_div_fmas_f32 v4, v4, v5, v6
	s_delay_alu instid0(VALU_DEP_1)
	v_div_fixup_f32 v3, v4, v2, v3
	global_store_b32 v[0:1], v3, off
	v_add_co_u32 v0, vcc_lo, v0, 4
	v_add_co_ci_u32_e32 v1, vcc_lo, 0, v1, vcc_lo
	s_cbranch_scc1 .LBB143_40
.LBB143_41:
	s_nop 0
	s_sendmsg sendmsg(MSG_DEALLOC_VGPRS)
	s_endpgm
	.section	.rodata,"a",@progbits
	.p2align	6, 0x0
	.amdhsa_kernel _ZN4vllm3moe10topkGatingILi8ELi256ELi4ELi16ELi64Ei14__hip_bfloat16LNS0_11ScoringFuncE0EEEvPKT5_PKbPfiPT4_PiiiibPKf
		.amdhsa_group_segment_fixed_size 0
		.amdhsa_private_segment_fixed_size 0
		.amdhsa_kernarg_size 72
		.amdhsa_user_sgpr_count 15
		.amdhsa_user_sgpr_dispatch_ptr 0
		.amdhsa_user_sgpr_queue_ptr 0
		.amdhsa_user_sgpr_kernarg_segment_ptr 1
		.amdhsa_user_sgpr_dispatch_id 0
		.amdhsa_user_sgpr_private_segment_size 0
		.amdhsa_wavefront_size32 1
		.amdhsa_uses_dynamic_stack 0
		.amdhsa_enable_private_segment 0
		.amdhsa_system_sgpr_workgroup_id_x 1
		.amdhsa_system_sgpr_workgroup_id_y 0
		.amdhsa_system_sgpr_workgroup_id_z 0
		.amdhsa_system_sgpr_workgroup_info 0
		.amdhsa_system_vgpr_workitem_id 1
		.amdhsa_next_free_vgpr 39
		.amdhsa_next_free_sgpr 18
		.amdhsa_reserve_vcc 1
		.amdhsa_float_round_mode_32 0
		.amdhsa_float_round_mode_16_64 0
		.amdhsa_float_denorm_mode_32 3
		.amdhsa_float_denorm_mode_16_64 3
		.amdhsa_dx10_clamp 1
		.amdhsa_ieee_mode 1
		.amdhsa_fp16_overflow 0
		.amdhsa_workgroup_processor_mode 1
		.amdhsa_memory_ordered 1
		.amdhsa_forward_progress 0
		.amdhsa_shared_vgpr_count 0
		.amdhsa_exception_fp_ieee_invalid_op 0
		.amdhsa_exception_fp_denorm_src 0
		.amdhsa_exception_fp_ieee_div_zero 0
		.amdhsa_exception_fp_ieee_overflow 0
		.amdhsa_exception_fp_ieee_underflow 0
		.amdhsa_exception_fp_ieee_inexact 0
		.amdhsa_exception_int_div_zero 0
	.end_amdhsa_kernel
	.section	.text._ZN4vllm3moe10topkGatingILi8ELi256ELi4ELi16ELi64Ei14__hip_bfloat16LNS0_11ScoringFuncE0EEEvPKT5_PKbPfiPT4_PiiiibPKf,"axG",@progbits,_ZN4vllm3moe10topkGatingILi8ELi256ELi4ELi16ELi64Ei14__hip_bfloat16LNS0_11ScoringFuncE0EEEvPKT5_PKbPfiPT4_PiiiibPKf,comdat
.Lfunc_end143:
	.size	_ZN4vllm3moe10topkGatingILi8ELi256ELi4ELi16ELi64Ei14__hip_bfloat16LNS0_11ScoringFuncE0EEEvPKT5_PKbPfiPT4_PiiiibPKf, .Lfunc_end143-_ZN4vllm3moe10topkGatingILi8ELi256ELi4ELi16ELi64Ei14__hip_bfloat16LNS0_11ScoringFuncE0EEEvPKT5_PKbPfiPT4_PiiiibPKf
                                        ; -- End function
	.section	.AMDGPU.csdata,"",@progbits
; Kernel info:
; codeLenInByte = 3580
; NumSgprs: 20
; NumVgprs: 39
; ScratchSize: 0
; MemoryBound: 0
; FloatMode: 240
; IeeeMode: 1
; LDSByteSize: 0 bytes/workgroup (compile time only)
; SGPRBlocks: 2
; VGPRBlocks: 4
; NumSGPRsForWavesPerEU: 20
; NumVGPRsForWavesPerEU: 39
; Occupancy: 16
; WaveLimiterHint : 0
; COMPUTE_PGM_RSRC2:SCRATCH_EN: 0
; COMPUTE_PGM_RSRC2:USER_SGPR: 15
; COMPUTE_PGM_RSRC2:TRAP_HANDLER: 0
; COMPUTE_PGM_RSRC2:TGID_X_EN: 1
; COMPUTE_PGM_RSRC2:TGID_Y_EN: 0
; COMPUTE_PGM_RSRC2:TGID_Z_EN: 0
; COMPUTE_PGM_RSRC2:TIDIG_COMP_CNT: 1
	.section	.text._ZN4vllm3moe10topkGatingILi8ELi256ELi4ELi16ELi32Ei14__hip_bfloat16LNS0_11ScoringFuncE0EEEvPKT5_PKbPfiPT4_PiiiibPKf,"axG",@progbits,_ZN4vllm3moe10topkGatingILi8ELi256ELi4ELi16ELi32Ei14__hip_bfloat16LNS0_11ScoringFuncE0EEEvPKT5_PKbPfiPT4_PiiiibPKf,comdat
	.protected	_ZN4vllm3moe10topkGatingILi8ELi256ELi4ELi16ELi32Ei14__hip_bfloat16LNS0_11ScoringFuncE0EEEvPKT5_PKbPfiPT4_PiiiibPKf ; -- Begin function _ZN4vllm3moe10topkGatingILi8ELi256ELi4ELi16ELi32Ei14__hip_bfloat16LNS0_11ScoringFuncE0EEEvPKT5_PKbPfiPT4_PiiiibPKf
	.globl	_ZN4vllm3moe10topkGatingILi8ELi256ELi4ELi16ELi32Ei14__hip_bfloat16LNS0_11ScoringFuncE0EEEvPKT5_PKbPfiPT4_PiiiibPKf
	.p2align	8
	.type	_ZN4vllm3moe10topkGatingILi8ELi256ELi4ELi16ELi32Ei14__hip_bfloat16LNS0_11ScoringFuncE0EEEvPKT5_PKbPfiPT4_PiiiibPKf,@function
_ZN4vllm3moe10topkGatingILi8ELi256ELi4ELi16ELi32Ei14__hip_bfloat16LNS0_11ScoringFuncE0EEEvPKT5_PKbPfiPT4_PiiiibPKf: ; @_ZN4vllm3moe10topkGatingILi8ELi256ELi4ELi16ELi32Ei14__hip_bfloat16LNS0_11ScoringFuncE0EEEvPKT5_PKbPfiPT4_PiiiibPKf
; %bb.0:
	s_load_b32 s14, s[0:1], 0x18
	v_and_b32_e32 v1, 0x3ff, v0
	v_bfe_u32 v0, v0, 10, 10
	s_lshl_b32 s2, s15, 2
	s_delay_alu instid0(VALU_DEP_2) | instskip(NEXT) | instid1(VALU_DEP_1)
	v_lshrrev_b32_e32 v2, 5, v1
	v_add3_u32 v16, s2, v0, v2
	s_mov_b32 s2, exec_lo
	s_waitcnt lgkmcnt(0)
	s_delay_alu instid0(VALU_DEP_1)
	v_cmpx_gt_i32_e64 s14, v16
	s_cbranch_execz .LBB144_41
; %bb.1:
	s_clause 0x1
	s_load_b128 s[4:7], s[0:1], 0x0
	s_load_b64 s[12:13], s[0:1], 0x10
	s_mov_b32 s8, -1
	s_mov_b32 s15, -1
	s_waitcnt lgkmcnt(0)
	s_cmp_eq_u64 s[6:7], 0
	s_cbranch_scc1 .LBB144_3
; %bb.2:
	v_ashrrev_i32_e32 v0, 31, v16
	v_add_co_u32 v2, vcc_lo, s6, v16
	s_delay_alu instid0(VALU_DEP_2) | instskip(SKIP_3) | instid1(VALU_DEP_1)
	v_add_co_ci_u32_e32 v3, vcc_lo, s7, v0, vcc_lo
	global_load_u8 v0, v[2:3], off
	s_waitcnt vmcnt(0)
	v_and_b32_e32 v0, 1, v0
	v_cmp_eq_u32_e32 vcc_lo, 1, v0
	s_xor_b32 s2, vcc_lo, -1
	s_delay_alu instid0(SALU_CYCLE_1)
	s_or_not1_b32 s15, s2, exec_lo
.LBB144_3:
	v_lshlrev_b32_e32 v2, 8, v16
	v_and_b32_e32 v17, 31, v1
	v_mbcnt_lo_u32_b32 v7, -1, 0
	s_load_b64 s[2:3], s[0:1], 0x40
	s_delay_alu instid0(VALU_DEP_3) | instskip(NEXT) | instid1(VALU_DEP_2)
	v_ashrrev_i32_e32 v3, 31, v2
	v_xor_b32_e32 v11, 8, v7
	s_delay_alu instid0(VALU_DEP_2) | instskip(SKIP_1) | instid1(VALU_DEP_2)
	v_lshlrev_b64 v[0:1], 1, v[2:3]
	v_lshlrev_b32_e32 v2, 4, v17
	v_add_co_u32 v0, vcc_lo, s4, v0
	s_delay_alu instid0(VALU_DEP_3) | instskip(NEXT) | instid1(VALU_DEP_2)
	v_add_co_ci_u32_e32 v1, vcc_lo, s5, v1, vcc_lo
	v_add_co_u32 v0, vcc_lo, v0, v2
	s_delay_alu instid0(VALU_DEP_2)
	v_add_co_ci_u32_e32 v1, vcc_lo, 0, v1, vcc_lo
	s_waitcnt lgkmcnt(0)
	s_cmp_eq_u64 s[2:3], 0
	global_load_b128 v[0:3], v[0:1], off
	s_waitcnt vmcnt(0)
	v_and_b32_e32 v4, 0xffff0000, v0
	v_lshlrev_b32_e32 v0, 16, v0
	v_lshlrev_b32_e32 v9, 16, v2
	;; [unrolled: 1-line block ×3, first 2 shown]
	v_and_b32_e32 v3, 0xffff0000, v3
	v_max_f32_e32 v5, v4, v4
	v_max_f32_e32 v6, v0, v0
	s_delay_alu instid0(VALU_DEP_1) | instskip(SKIP_1) | instid1(VALU_DEP_1)
	v_max_f32_e32 v5, v6, v5
	v_xor_b32_e32 v6, 16, v7
	v_cmp_gt_i32_e32 vcc_lo, 32, v6
	v_cndmask_b32_e32 v6, v7, v6, vcc_lo
	v_cmp_gt_i32_e32 vcc_lo, 32, v11
	v_cndmask_b32_e32 v11, v7, v11, vcc_lo
	s_delay_alu instid0(VALU_DEP_1) | instskip(SKIP_1) | instid1(VALU_DEP_1)
	v_lshlrev_b32_e32 v19, 2, v11
	v_xor_b32_e32 v11, 4, v7
	v_cmp_gt_i32_e32 vcc_lo, 32, v11
	v_lshlrev_b32_e32 v8, 16, v1
	v_and_b32_e32 v1, 0xffff0000, v1
	v_cndmask_b32_e32 v11, v7, v11, vcc_lo
	s_delay_alu instid0(VALU_DEP_2) | instskip(NEXT) | instid1(VALU_DEP_2)
	v_max3_f32 v5, v5, v8, v1
	v_lshlrev_b32_e32 v20, 2, v11
	v_xor_b32_e32 v11, 2, v7
	s_delay_alu instid0(VALU_DEP_1) | instskip(SKIP_1) | instid1(VALU_DEP_1)
	v_cmp_gt_i32_e32 vcc_lo, 32, v11
	v_dual_cndmask_b32 v11, v7, v11 :: v_dual_and_b32 v2, 0xffff0000, v2
	v_max3_f32 v5, v5, v9, v2
	s_delay_alu instid0(VALU_DEP_2) | instskip(SKIP_1) | instid1(VALU_DEP_3)
	v_lshlrev_b32_e32 v21, 2, v11
	v_xor_b32_e32 v11, 1, v7
	v_max3_f32 v5, v5, v10, v3
	s_delay_alu instid0(VALU_DEP_2) | instskip(SKIP_4) | instid1(VALU_DEP_1)
	v_cmp_gt_i32_e32 vcc_lo, 32, v11
	v_dual_cndmask_b32 v7, v7, v11 :: v_dual_lshlrev_b32 v18, 2, v6
	ds_bpermute_b32 v6, v18, v5
	s_waitcnt lgkmcnt(0)
	v_max_f32_e32 v6, v6, v6
	v_max_f32_e32 v5, v5, v6
	ds_bpermute_b32 v6, v19, v5
	s_waitcnt lgkmcnt(0)
	v_max_f32_e32 v6, v6, v6
	s_delay_alu instid0(VALU_DEP_1) | instskip(SKIP_3) | instid1(VALU_DEP_1)
	v_max_f32_e32 v5, v5, v6
	ds_bpermute_b32 v6, v20, v5
	s_waitcnt lgkmcnt(0)
	v_max_f32_e32 v6, v6, v6
	v_max_f32_e32 v5, v5, v6
	ds_bpermute_b32 v6, v21, v5
	s_waitcnt lgkmcnt(0)
	v_max_f32_e32 v6, v6, v6
	s_delay_alu instid0(VALU_DEP_1) | instskip(SKIP_3) | instid1(VALU_DEP_1)
	v_dual_max_f32 v5, v5, v6 :: v_dual_lshlrev_b32 v22, 2, v7
	ds_bpermute_b32 v6, v22, v5
	s_waitcnt lgkmcnt(0)
	v_max_f32_e32 v6, v6, v6
	v_max_f32_e32 v5, v5, v6
	s_delay_alu instid0(VALU_DEP_1) | instskip(SKIP_1) | instid1(VALU_DEP_2)
	v_sub_f32_e32 v0, v0, v5
	v_sub_f32_e32 v7, v9, v5
	v_cmp_ngt_f32_e32 vcc_lo, 0xc2ce8ed0, v0
	s_delay_alu instid0(VALU_DEP_2)
	v_mul_f32_e32 v12, 0x3fb8aa3b, v7
	v_sub_f32_e32 v4, v4, v5
	v_sub_f32_e32 v6, v8, v5
	;; [unrolled: 1-line block ×5, first 2 shown]
	v_rndne_f32_e32 v32, v12
	v_fma_f32 v31, 0x3fb8aa3b, v7, -v12
	v_dual_mul_f32 v15, 0x3fb8aa3b, v3 :: v_dual_sub_f32 v8, v10, v5
	s_delay_alu instid0(VALU_DEP_4) | instskip(SKIP_4) | instid1(VALU_DEP_3)
	v_mul_f32_e32 v13, 0x3fb8aa3b, v2
	v_mul_f32_e32 v5, 0x3fb8aa3b, v0
	v_dual_mul_f32 v9, 0x3fb8aa3b, v4 :: v_dual_mul_f32 v10, 0x3fb8aa3b, v6
	v_dual_sub_f32 v12, v12, v32 :: v_dual_mul_f32 v11, 0x3fb8aa3b, v1
	v_mul_f32_e32 v14, 0x3fb8aa3b, v8
	v_rndne_f32_e32 v26, v9
	s_delay_alu instid0(VALU_DEP_4) | instskip(SKIP_4) | instid1(VALU_DEP_4)
	v_fma_f32 v27, 0x3fb8aa3b, v6, -v10
	v_rndne_f32_e32 v28, v10
	v_fma_f32 v23, 0x3fb8aa3b, v0, -v5
	v_fma_f32 v25, 0x3fb8aa3b, v4, -v9
	v_sub_f32_e32 v9, v9, v26
	v_dual_fmac_f32 v27, 0x32a5705f, v6 :: v_dual_sub_f32 v10, v10, v28
	s_delay_alu instid0(VALU_DEP_4)
	v_fmac_f32_e32 v23, 0x32a5705f, v0
	v_rndne_f32_e32 v24, v5
	v_cvt_i32_f32_e32 v28, v28
	v_fma_f32 v29, 0x3fb8aa3b, v1, -v11
	v_add_f32_e32 v10, v10, v27
	v_fma_f32 v35, 0x3fb8aa3b, v8, -v14
	v_rndne_f32_e32 v36, v14
	v_cvt_i32_f32_e32 v26, v26
	v_fmac_f32_e32 v29, 0x32a5705f, v1
	v_exp_f32_e32 v10, v10
	v_fmac_f32_e32 v35, 0x32a5705f, v8
	v_sub_f32_e32 v14, v14, v36
	v_fmac_f32_e32 v25, 0x32a5705f, v4
	v_rndne_f32_e32 v30, v11
	v_rndne_f32_e32 v34, v13
	v_fma_f32 v33, 0x3fb8aa3b, v2, -v13
	s_delay_alu instid0(VALU_DEP_4) | instskip(SKIP_1) | instid1(TRANS32_DEP_1)
	v_dual_add_f32 v14, v14, v35 :: v_dual_add_f32 v9, v9, v25
	v_cvt_i32_f32_e32 v32, v32
	v_ldexp_f32 v10, v10, v28
	v_fmac_f32_e32 v31, 0x32a5705f, v7
	v_sub_f32_e32 v5, v5, v24
	v_cvt_i32_f32_e32 v24, v24
	v_exp_f32_e32 v9, v9
	v_exp_f32_e32 v14, v14
	v_add_f32_e32 v12, v12, v31
	v_add_f32_e32 v5, v5, v23
	v_cvt_i32_f32_e32 v23, v36
	v_fma_f32 v37, 0x3fb8aa3b, v3, -v15
	v_rndne_f32_e32 v38, v15
	v_exp_f32_e32 v12, v12
	v_exp_f32_e32 v5, v5
	v_ldexp_f32 v9, v9, v26
	s_delay_alu instid0(TRANS32_DEP_3) | instskip(SKIP_3) | instid1(TRANS32_DEP_2)
	v_ldexp_f32 v14, v14, v23
	v_fmac_f32_e32 v37, 0x32a5705f, v3
	v_cvt_i32_f32_e32 v25, v38
	v_lshlrev_b32_e32 v23, 3, v17
	v_ldexp_f32 v12, v12, v32
	s_delay_alu instid0(TRANS32_DEP_1) | instskip(NEXT) | instid1(VALU_DEP_1)
	v_ldexp_f32 v5, v5, v24
	v_cndmask_b32_e32 v5, 0, v5, vcc_lo
	v_cmp_ngt_f32_e32 vcc_lo, 0xc2ce8ed0, v4
	v_cndmask_b32_e32 v9, 0, v9, vcc_lo
	v_cmp_ngt_f32_e32 vcc_lo, 0xc2ce8ed0, v6
	v_cndmask_b32_e32 v10, 0, v10, vcc_lo
	v_cmp_nlt_f32_e32 vcc_lo, 0x42b17218, v0
	v_sub_f32_e32 v11, v11, v30
	v_cvt_i32_f32_e32 v30, v30
	v_cndmask_b32_e32 v0, 0x7f800000, v5, vcc_lo
	s_delay_alu instid0(VALU_DEP_3) | instskip(SKIP_3) | instid1(VALU_DEP_4)
	v_add_f32_e32 v11, v11, v29
	v_cmp_nlt_f32_e32 vcc_lo, 0x42b17218, v4
	v_sub_f32_e32 v13, v13, v34
	v_cvt_i32_f32_e32 v34, v34
	v_exp_f32_e32 v11, v11
	v_cndmask_b32_e32 v4, 0x7f800000, v9, vcc_lo
	v_cmp_ngt_f32_e32 vcc_lo, 0xc2ce8ed0, v1
	s_delay_alu instid0(VALU_DEP_2) | instskip(SKIP_2) | instid1(VALU_DEP_1)
	v_add_f32_e32 v9, v0, v4
	s_waitcnt_depctr 0xfff
	v_ldexp_f32 v11, v11, v30
	v_cndmask_b32_e32 v5, 0, v11, vcc_lo
	v_cmp_nlt_f32_e32 vcc_lo, 0x42b17218, v6
	v_cndmask_b32_e32 v6, 0x7f800000, v10, vcc_lo
	v_cmp_ngt_f32_e32 vcc_lo, 0xc2ce8ed0, v7
	v_dual_fmac_f32 v33, 0x32a5705f, v2 :: v_dual_cndmask_b32 v10, 0, v12
	s_delay_alu instid0(VALU_DEP_1) | instskip(SKIP_1) | instid1(VALU_DEP_2)
	v_add_f32_e32 v13, v13, v33
	v_cmp_nlt_f32_e32 vcc_lo, 0x42b17218, v1
	v_exp_f32_e32 v13, v13
	v_cndmask_b32_e32 v1, 0x7f800000, v5, vcc_lo
	v_cmp_ngt_f32_e32 vcc_lo, 0xc2ce8ed0, v2
	v_add_f32_e32 v5, v9, v6
	s_delay_alu instid0(VALU_DEP_1) | instskip(SKIP_2) | instid1(VALU_DEP_1)
	v_add_f32_e32 v5, v5, v1
	s_waitcnt_depctr 0xfff
	v_ldexp_f32 v13, v13, v34
	v_cndmask_b32_e32 v9, 0, v13, vcc_lo
	v_cmp_nlt_f32_e32 vcc_lo, 0x42b17218, v7
	v_cndmask_b32_e32 v7, 0x7f800000, v10, vcc_lo
	v_cmp_ngt_f32_e32 vcc_lo, 0xc2ce8ed0, v8
	s_delay_alu instid0(VALU_DEP_2) | instskip(SKIP_2) | instid1(VALU_DEP_1)
	v_dual_add_f32 v5, v5, v7 :: v_dual_cndmask_b32 v10, 0, v14
	v_cmp_nlt_f32_e32 vcc_lo, 0x42b17218, v2
	v_dual_sub_f32 v15, v15, v38 :: v_dual_cndmask_b32 v2, 0x7f800000, v9
	v_add_f32_e32 v15, v15, v37
	v_cmp_ngt_f32_e32 vcc_lo, 0xc2ce8ed0, v3
	s_delay_alu instid0(VALU_DEP_3) | instskip(NEXT) | instid1(VALU_DEP_3)
	v_add_f32_e32 v5, v5, v2
	v_exp_f32_e32 v15, v15
	s_waitcnt_depctr 0xfff
	v_ldexp_f32 v15, v15, v25
	s_delay_alu instid0(VALU_DEP_1) | instskip(SKIP_3) | instid1(VALU_DEP_2)
	v_cndmask_b32_e32 v9, 0, v15, vcc_lo
	v_cmp_nlt_f32_e32 vcc_lo, 0x42b17218, v8
	v_cndmask_b32_e32 v8, 0x7f800000, v10, vcc_lo
	v_cmp_nlt_f32_e32 vcc_lo, 0x42b17218, v3
	v_add_f32_e32 v5, v5, v8
	v_cndmask_b32_e32 v3, 0x7f800000, v9, vcc_lo
	s_delay_alu instid0(VALU_DEP_1)
	v_add_f32_e32 v5, v5, v3
	ds_bpermute_b32 v9, v18, v5
	s_waitcnt lgkmcnt(0)
	v_add_f32_e32 v5, v5, v9
	ds_bpermute_b32 v9, v19, v5
	s_waitcnt lgkmcnt(0)
	;; [unrolled: 3-line block ×5, first 2 shown]
	v_add_f32_e32 v5, v5, v9
	s_delay_alu instid0(VALU_DEP_1) | instskip(SKIP_1) | instid1(VALU_DEP_2)
	v_div_scale_f32 v9, null, v5, v5, 1.0
	v_div_scale_f32 v12, vcc_lo, 1.0, v5, 1.0
	v_rcp_f32_e32 v10, v9
	s_waitcnt_depctr 0xfff
	v_fma_f32 v11, -v9, v10, 1.0
	s_delay_alu instid0(VALU_DEP_1) | instskip(NEXT) | instid1(VALU_DEP_1)
	v_fmac_f32_e32 v10, v11, v10
	v_mul_f32_e32 v11, v12, v10
	s_delay_alu instid0(VALU_DEP_1) | instskip(NEXT) | instid1(VALU_DEP_1)
	v_fma_f32 v13, -v9, v11, v12
	v_fmac_f32_e32 v11, v13, v10
	s_delay_alu instid0(VALU_DEP_1) | instskip(NEXT) | instid1(VALU_DEP_1)
	v_fma_f32 v9, -v9, v11, v12
	v_div_fmas_f32 v9, v9, v10, v11
	s_delay_alu instid0(VALU_DEP_1) | instskip(NEXT) | instid1(VALU_DEP_1)
	v_div_fixup_f32 v5, v9, v5, 1.0
	v_mul_f32_e32 v4, v5, v4
	v_mul_f32_e32 v0, v5, v0
	;; [unrolled: 1-line block ×6, first 2 shown]
	v_cmp_class_f32_e64 vcc_lo, v0, 0x1f8
	v_mul_f32_e32 v10, v5, v2
	v_dual_mul_f32 v11, v5, v3 :: v_dual_cndmask_b32 v0, 0, v0
	v_cmp_class_f32_e64 vcc_lo, v4, 0x1f8
	v_cndmask_b32_e32 v1, 0, v4, vcc_lo
	v_cmp_class_f32_e64 vcc_lo, v6, 0x1f8
	v_cndmask_b32_e32 v2, 0, v6, vcc_lo
	;; [unrolled: 2-line block ×7, first 2 shown]
	s_cbranch_scc1 .LBB144_35
; %bb.4:
	v_lshlrev_b32_e32 v12, 2, v23
	s_clause 0x1
	global_load_b128 v[8:11], v12, s[2:3]
	global_load_b128 v[12:15], v12, s[2:3] offset:16
	s_waitcnt vmcnt(1)
	v_dual_add_f32 v9, v9, v1 :: v_dual_add_f32 v8, v8, v0
	v_dual_add_f32 v11, v11, v3 :: v_dual_add_f32 v10, v10, v2
	s_waitcnt vmcnt(0)
	v_dual_add_f32 v13, v13, v5 :: v_dual_add_f32 v12, v12, v4
	v_dual_add_f32 v15, v15, v7 :: v_dual_add_f32 v14, v14, v6
	s_cbranch_execnz .LBB144_6
.LBB144_5:
	v_dual_mov_b32 v15, v7 :: v_dual_mov_b32 v14, v6
	v_dual_mov_b32 v13, v5 :: v_dual_mov_b32 v12, v4
	v_dual_mov_b32 v11, v3 :: v_dual_mov_b32 v10, v2
	v_dual_mov_b32 v9, v1 :: v_dual_mov_b32 v8, v0
.LBB144_6:
	s_load_b128 s[4:7], s[0:1], 0x30
	v_cmp_eq_u32_e64 s2, 0, v17
	s_waitcnt lgkmcnt(0)
	s_bitcmp1_b32 s7, 0
	s_mov_b32 s7, 0
	s_cselect_b32 vcc_lo, -1, 0
	s_cmp_gt_i32 s4, 0
	s_cselect_b32 s3, -1, 0
	s_cmp_lt_i32 s4, 1
	s_cbranch_scc1 .LBB144_36
; %bb.7:
	s_load_b128 s[8:11], s[0:1], 0x20
	v_mul_lo_u32 v25, v16, s4
	v_mov_b32_e32 v24, 0
	v_mov_b32_e32 v26, v16
	s_branch .LBB144_10
.LBB144_8:                              ;   in Loop: Header=BB144_10 Depth=1
	s_or_b32 exec_lo, exec_lo, s1
.LBB144_9:                              ;   in Loop: Header=BB144_10 Depth=1
	v_add_nc_u32_e32 v26, s14, v26
	s_cmp_eq_u32 s4, s7
	s_cbranch_scc1 .LBB144_37
.LBB144_10:                             ; =>This Inner Loop Header: Depth=1
	v_cmp_gt_f32_e64 s0, v9, v8
	s_mov_b32 s17, exec_lo
	s_delay_alu instid0(VALU_DEP_1) | instskip(SKIP_2) | instid1(VALU_DEP_3)
	v_cndmask_b32_e64 v27, v8, v9, s0
	v_cndmask_b32_e64 v28, 0, 1, s0
	;; [unrolled: 1-line block ×3, first 2 shown]
	v_cmp_gt_f32_e64 s1, v10, v27
	s_delay_alu instid0(VALU_DEP_1) | instskip(NEXT) | instid1(VALU_DEP_4)
	v_cndmask_b32_e64 v27, v27, v10, s1
	v_cndmask_b32_e64 v28, v28, 2, s1
	s_delay_alu instid0(VALU_DEP_4) | instskip(NEXT) | instid1(VALU_DEP_3)
	v_cndmask_b32_e64 v29, v29, v2, s1
	v_cmp_gt_f32_e64 s0, v11, v27
	s_delay_alu instid0(VALU_DEP_1) | instskip(NEXT) | instid1(VALU_DEP_4)
	v_cndmask_b32_e64 v27, v27, v11, s0
	v_cndmask_b32_e64 v28, v28, 3, s0
	s_delay_alu instid0(VALU_DEP_4) | instskip(NEXT) | instid1(VALU_DEP_3)
	v_cndmask_b32_e64 v29, v29, v3, s0
	v_cmp_gt_f32_e64 s1, v12, v27
	s_delay_alu instid0(VALU_DEP_1) | instskip(NEXT) | instid1(VALU_DEP_4)
	v_cndmask_b32_e64 v27, v27, v12, s1
	v_cndmask_b32_e64 v28, v28, 4, s1
	s_delay_alu instid0(VALU_DEP_4) | instskip(NEXT) | instid1(VALU_DEP_3)
	v_cndmask_b32_e64 v29, v29, v4, s1
	v_cmp_gt_f32_e64 s0, v13, v27
	s_delay_alu instid0(VALU_DEP_1) | instskip(NEXT) | instid1(VALU_DEP_4)
	v_cndmask_b32_e64 v27, v27, v13, s0
	v_cndmask_b32_e64 v28, v28, 5, s0
	s_delay_alu instid0(VALU_DEP_4) | instskip(NEXT) | instid1(VALU_DEP_3)
	v_cndmask_b32_e64 v29, v29, v5, s0
	v_cmp_gt_f32_e64 s1, v14, v27
	s_delay_alu instid0(VALU_DEP_1) | instskip(NEXT) | instid1(VALU_DEP_4)
	v_cndmask_b32_e64 v27, v27, v14, s1
	v_cndmask_b32_e64 v28, v28, 6, s1
	s_waitcnt lgkmcnt(0)
	v_cndmask_b32_e64 v30, v29, v6, s1
	s_delay_alu instid0(VALU_DEP_3) | instskip(NEXT) | instid1(VALU_DEP_1)
	v_cmp_gt_f32_e64 s0, v15, v27
	v_cndmask_b32_e64 v29, v27, v15, s0
	v_cndmask_b32_e64 v27, v28, 7, s0
	s_delay_alu instid0(VALU_DEP_4)
	v_cndmask_b32_e64 v28, v30, v7, s0
	ds_bpermute_b32 v30, v18, v29
	v_or_b32_e32 v27, v23, v27
	ds_bpermute_b32 v32, v18, v28
	ds_bpermute_b32 v31, v18, v27
	s_waitcnt lgkmcnt(0)
	v_cmp_lt_f32_e64 s16, v29, v30
	v_cmpx_nlt_f32_e32 v29, v30
; %bb.11:                               ;   in Loop: Header=BB144_10 Depth=1
	v_cmp_eq_f32_e64 s0, v29, v30
	v_cmp_lt_i32_e64 s1, v31, v27
	s_delay_alu instid0(VALU_DEP_1) | instskip(SKIP_2) | instid1(SALU_CYCLE_1)
	s_and_b32 s0, s0, s1
	s_and_not1_b32 s1, s16, exec_lo
	s_and_b32 s0, s0, exec_lo
	s_or_b32 s16, s1, s0
; %bb.12:                               ;   in Loop: Header=BB144_10 Depth=1
	s_or_b32 exec_lo, exec_lo, s17
	s_and_saveexec_b32 s0, s16
; %bb.13:                               ;   in Loop: Header=BB144_10 Depth=1
	v_dual_mov_b32 v28, v32 :: v_dual_mov_b32 v29, v30
	v_mov_b32_e32 v27, v31
; %bb.14:                               ;   in Loop: Header=BB144_10 Depth=1
	s_or_b32 exec_lo, exec_lo, s0
	ds_bpermute_b32 v31, v19, v29
	ds_bpermute_b32 v32, v19, v28
	;; [unrolled: 1-line block ×3, first 2 shown]
	s_mov_b32 s17, exec_lo
	s_waitcnt lgkmcnt(2)
	v_cmp_lt_f32_e64 s16, v29, v31
	v_cmpx_nlt_f32_e32 v29, v31
	s_cbranch_execz .LBB144_16
; %bb.15:                               ;   in Loop: Header=BB144_10 Depth=1
	v_cmp_eq_f32_e64 s0, v29, v31
	s_waitcnt lgkmcnt(0)
	v_cmp_lt_i32_e64 s1, v30, v27
	s_delay_alu instid0(VALU_DEP_1) | instskip(SKIP_2) | instid1(SALU_CYCLE_1)
	s_and_b32 s0, s0, s1
	s_and_not1_b32 s1, s16, exec_lo
	s_and_b32 s0, s0, exec_lo
	s_or_b32 s16, s1, s0
.LBB144_16:                             ;   in Loop: Header=BB144_10 Depth=1
	s_or_b32 exec_lo, exec_lo, s17
	s_delay_alu instid0(VALU_DEP_2)
	s_and_saveexec_b32 s0, s16
	s_cbranch_execz .LBB144_18
; %bb.17:                               ;   in Loop: Header=BB144_10 Depth=1
	s_waitcnt lgkmcnt(1)
	v_dual_mov_b32 v28, v32 :: v_dual_mov_b32 v29, v31
	s_waitcnt lgkmcnt(0)
	v_mov_b32_e32 v27, v30
.LBB144_18:                             ;   in Loop: Header=BB144_10 Depth=1
	s_or_b32 exec_lo, exec_lo, s0
	ds_bpermute_b32 v31, v20, v29
	s_waitcnt lgkmcnt(2)
	ds_bpermute_b32 v32, v20, v28
	s_waitcnt lgkmcnt(2)
	ds_bpermute_b32 v30, v20, v27
	s_mov_b32 s17, exec_lo
	s_waitcnt lgkmcnt(2)
	v_cmp_lt_f32_e64 s16, v29, v31
	v_cmpx_nlt_f32_e32 v29, v31
	s_cbranch_execz .LBB144_20
; %bb.19:                               ;   in Loop: Header=BB144_10 Depth=1
	v_cmp_eq_f32_e64 s0, v29, v31
	s_waitcnt lgkmcnt(0)
	v_cmp_lt_i32_e64 s1, v30, v27
	s_delay_alu instid0(VALU_DEP_1) | instskip(SKIP_2) | instid1(SALU_CYCLE_1)
	s_and_b32 s0, s0, s1
	s_and_not1_b32 s1, s16, exec_lo
	s_and_b32 s0, s0, exec_lo
	s_or_b32 s16, s1, s0
.LBB144_20:                             ;   in Loop: Header=BB144_10 Depth=1
	s_or_b32 exec_lo, exec_lo, s17
	s_delay_alu instid0(VALU_DEP_2)
	s_and_saveexec_b32 s0, s16
	s_cbranch_execz .LBB144_22
; %bb.21:                               ;   in Loop: Header=BB144_10 Depth=1
	s_waitcnt lgkmcnt(1)
	v_dual_mov_b32 v28, v32 :: v_dual_mov_b32 v29, v31
	s_waitcnt lgkmcnt(0)
	v_mov_b32_e32 v27, v30
.LBB144_22:                             ;   in Loop: Header=BB144_10 Depth=1
	s_or_b32 exec_lo, exec_lo, s0
	ds_bpermute_b32 v31, v21, v29
	s_waitcnt lgkmcnt(2)
	ds_bpermute_b32 v32, v21, v28
	s_waitcnt lgkmcnt(2)
	ds_bpermute_b32 v30, v21, v27
	s_mov_b32 s17, exec_lo
	s_waitcnt lgkmcnt(2)
	v_cmp_lt_f32_e64 s16, v29, v31
	v_cmpx_nlt_f32_e32 v29, v31
	s_cbranch_execz .LBB144_24
; %bb.23:                               ;   in Loop: Header=BB144_10 Depth=1
	v_cmp_eq_f32_e64 s0, v29, v31
	s_waitcnt lgkmcnt(0)
	v_cmp_lt_i32_e64 s1, v30, v27
	s_delay_alu instid0(VALU_DEP_1) | instskip(SKIP_2) | instid1(SALU_CYCLE_1)
	s_and_b32 s0, s0, s1
	s_and_not1_b32 s1, s16, exec_lo
	s_and_b32 s0, s0, exec_lo
	s_or_b32 s16, s1, s0
.LBB144_24:                             ;   in Loop: Header=BB144_10 Depth=1
	s_or_b32 exec_lo, exec_lo, s17
	s_delay_alu instid0(VALU_DEP_2)
	s_and_saveexec_b32 s0, s16
	s_cbranch_execz .LBB144_26
; %bb.25:                               ;   in Loop: Header=BB144_10 Depth=1
	s_waitcnt lgkmcnt(1)
	v_dual_mov_b32 v28, v32 :: v_dual_mov_b32 v29, v31
	s_waitcnt lgkmcnt(0)
	v_mov_b32_e32 v27, v30
.LBB144_26:                             ;   in Loop: Header=BB144_10 Depth=1
	s_or_b32 exec_lo, exec_lo, s0
	s_waitcnt lgkmcnt(1)
	ds_bpermute_b32 v32, v22, v29
	ds_bpermute_b32 v31, v22, v28
	s_waitcnt lgkmcnt(2)
	ds_bpermute_b32 v30, v22, v27
	s_mov_b32 s17, exec_lo
	s_waitcnt lgkmcnt(2)
	v_cmp_lt_f32_e64 s16, v29, v32
	v_cmpx_nlt_f32_e32 v29, v32
	s_cbranch_execnz .LBB144_30
; %bb.27:                               ;   in Loop: Header=BB144_10 Depth=1
	s_or_b32 exec_lo, exec_lo, s17
	s_delay_alu instid0(VALU_DEP_2)
	s_and_saveexec_b32 s0, s16
	s_cbranch_execnz .LBB144_31
.LBB144_28:                             ;   in Loop: Header=BB144_10 Depth=1
	s_or_b32 exec_lo, exec_lo, s0
	s_and_saveexec_b32 s16, s2
	s_cbranch_execnz .LBB144_32
.LBB144_29:                             ;   in Loop: Header=BB144_10 Depth=1
	s_or_b32 exec_lo, exec_lo, s16
	s_add_i32 s7, s7, 1
	s_delay_alu instid0(SALU_CYCLE_1)
	s_cmp_ge_i32 s7, s4
	s_cbranch_scc1 .LBB144_9
	s_branch .LBB144_33
.LBB144_30:                             ;   in Loop: Header=BB144_10 Depth=1
	v_cmp_eq_f32_e64 s0, v29, v32
	s_waitcnt lgkmcnt(0)
	v_cmp_lt_i32_e64 s1, v30, v27
	s_delay_alu instid0(VALU_DEP_1) | instskip(SKIP_2) | instid1(SALU_CYCLE_1)
	s_and_b32 s0, s0, s1
	s_and_not1_b32 s1, s16, exec_lo
	s_and_b32 s0, s0, exec_lo
	s_or_b32 s16, s1, s0
	s_or_b32 exec_lo, exec_lo, s17
	s_and_saveexec_b32 s0, s16
	s_cbranch_execz .LBB144_28
.LBB144_31:                             ;   in Loop: Header=BB144_10 Depth=1
	s_waitcnt lgkmcnt(0)
	v_dual_mov_b32 v28, v31 :: v_dual_mov_b32 v27, v30
	s_or_b32 exec_lo, exec_lo, s0
	s_and_saveexec_b32 s16, s2
	s_cbranch_execz .LBB144_29
.LBB144_32:                             ;   in Loop: Header=BB144_10 Depth=1
	s_delay_alu instid0(VALU_DEP_1)
	v_dual_add_f32 v36, v24, v28 :: v_dual_add_nc_u32 v29, s7, v25
	v_cmp_le_i32_e64 s0, s5, v27
	v_cmp_gt_i32_e64 s1, s6, v27
	s_waitcnt lgkmcnt(1)
	v_subrev_nc_u32_e32 v31, s5, v27
	s_waitcnt lgkmcnt(0)
	v_ashrrev_i32_e32 v30, 31, v29
	v_cndmask_b32_e32 v24, v24, v36, vcc_lo
	s_and_b32 s0, s0, s1
	s_delay_alu instid0(SALU_CYCLE_1) | instskip(NEXT) | instid1(VALU_DEP_2)
	s_and_b32 s0, s15, s0
	v_lshlrev_b64 v[29:30], 2, v[29:30]
	v_cndmask_b32_e64 v35, 0x100, v31, s0
	s_delay_alu instid0(VALU_DEP_2) | instskip(NEXT) | instid1(VALU_DEP_1)
	v_add_co_u32 v31, s0, s12, v29
	v_add_co_ci_u32_e64 v32, s0, s13, v30, s0
	v_add_co_u32 v33, s0, s8, v29
	s_delay_alu instid0(VALU_DEP_1) | instskip(SKIP_1) | instid1(VALU_DEP_1)
	v_add_co_ci_u32_e64 v34, s0, s9, v30, s0
	v_add_co_u32 v29, s0, s10, v29
	v_add_co_ci_u32_e64 v30, s0, s11, v30, s0
	global_store_b32 v[31:32], v28, off
	global_store_b32 v[33:34], v35, off
	;; [unrolled: 1-line block ×3, first 2 shown]
	s_or_b32 exec_lo, exec_lo, s16
	s_add_i32 s7, s7, 1
	s_delay_alu instid0(SALU_CYCLE_1)
	s_cmp_ge_i32 s7, s4
	s_cbranch_scc1 .LBB144_9
.LBB144_33:                             ;   in Loop: Header=BB144_10 Depth=1
	v_ashrrev_i32_e32 v28, 31, v27
	s_mov_b32 s1, exec_lo
	s_delay_alu instid0(VALU_DEP_1) | instskip(NEXT) | instid1(VALU_DEP_1)
	v_lshrrev_b32_e32 v29, 29, v28
	v_add_nc_u32_e32 v29, v27, v29
	s_waitcnt lgkmcnt(0)
	s_delay_alu instid0(VALU_DEP_1) | instskip(SKIP_1) | instid1(VALU_DEP_2)
	v_ashrrev_i32_e32 v30, 31, v29
	v_ashrrev_i32_e32 v29, 3, v29
	v_lshrrev_b32_e32 v30, 27, v30
	s_delay_alu instid0(VALU_DEP_1) | instskip(NEXT) | instid1(VALU_DEP_1)
	v_add_nc_u32_e32 v30, v29, v30
	v_and_b32_e32 v30, 0xffffffe0, v30
	s_delay_alu instid0(VALU_DEP_1) | instskip(NEXT) | instid1(VALU_DEP_1)
	v_sub_nc_u32_e32 v30, v29, v30
	v_cmpx_eq_u32_e64 v17, v30
	s_cbranch_execz .LBB144_8
; %bb.34:                               ;   in Loop: Header=BB144_10 Depth=1
	v_lshrrev_b32_e32 v28, 24, v28
	v_lshlrev_b32_e32 v29, 3, v29
	s_delay_alu instid0(VALU_DEP_2) | instskip(NEXT) | instid1(VALU_DEP_2)
	v_add_nc_u32_e32 v28, v27, v28
	v_sub_nc_u32_e32 v27, v27, v29
	s_delay_alu instid0(VALU_DEP_2) | instskip(NEXT) | instid1(VALU_DEP_1)
	v_ashrrev_i32_e32 v28, 8, v28
	v_lshl_add_u32 v27, v28, 3, v27
	s_delay_alu instid0(VALU_DEP_1) | instskip(NEXT) | instid1(VALU_DEP_1)
	v_cmp_ne_u32_e64 s0, 7, v27
	v_cndmask_b32_e64 v15, 0xc61c4000, v15, s0
	v_cmp_ne_u32_e64 s0, 6, v27
	s_delay_alu instid0(VALU_DEP_1) | instskip(SKIP_1) | instid1(VALU_DEP_1)
	v_cndmask_b32_e64 v14, 0xc61c4000, v14, s0
	v_cmp_ne_u32_e64 s0, 5, v27
	v_cndmask_b32_e64 v13, 0xc61c4000, v13, s0
	v_cmp_ne_u32_e64 s0, 4, v27
	s_delay_alu instid0(VALU_DEP_1) | instskip(SKIP_1) | instid1(VALU_DEP_1)
	v_cndmask_b32_e64 v12, 0xc61c4000, v12, s0
	;; [unrolled: 5-line block ×3, first 2 shown]
	v_cmp_ne_u32_e64 s0, 1, v27
	v_cndmask_b32_e64 v9, 0xc61c4000, v9, s0
	v_cmp_ne_u32_e64 s0, 0, v27
	s_delay_alu instid0(VALU_DEP_1)
	v_cndmask_b32_e64 v8, 0xc61c4000, v8, s0
	s_branch .LBB144_8
.LBB144_35:
                                        ; implicit-def: $vgpr8_vgpr9_vgpr10_vgpr11_vgpr12_vgpr13_vgpr14_vgpr15
	s_and_not1_b32 vcc_lo, exec_lo, s8
	s_cbranch_vccz .LBB144_5
	s_branch .LBB144_6
.LBB144_36:
	v_mov_b32_e32 v24, 0
.LBB144_37:
	v_cmp_eq_u32_e64 s0, 0, v17
	s_delay_alu instid0(VALU_DEP_1) | instskip(NEXT) | instid1(SALU_CYCLE_1)
	s_and_b32 s0, s0, vcc_lo
	s_and_b32 exec_lo, exec_lo, s0
	s_cbranch_execz .LBB144_41
; %bb.38:
	s_and_not1_b32 vcc_lo, exec_lo, s3
	s_cbranch_vccnz .LBB144_41
; %bb.39:
	v_mul_lo_u32 v0, v16, s4
	v_cmp_lt_f32_e32 vcc_lo, 0, v24
	v_cndmask_b32_e32 v2, 1.0, v24, vcc_lo
	s_delay_alu instid0(VALU_DEP_3) | instskip(NEXT) | instid1(VALU_DEP_1)
	v_ashrrev_i32_e32 v1, 31, v0
	v_lshlrev_b64 v[0:1], 2, v[0:1]
	s_delay_alu instid0(VALU_DEP_1) | instskip(NEXT) | instid1(VALU_DEP_2)
	v_add_co_u32 v0, vcc_lo, s12, v0
	v_add_co_ci_u32_e32 v1, vcc_lo, s13, v1, vcc_lo
	.p2align	6
.LBB144_40:                             ; =>This Inner Loop Header: Depth=1
	global_load_b32 v3, v[0:1], off
	s_add_i32 s4, s4, -1
	s_delay_alu instid0(SALU_CYCLE_1) | instskip(SKIP_3) | instid1(VALU_DEP_2)
	s_cmp_lg_u32 s4, 0
	s_waitcnt vmcnt(0)
	v_div_scale_f32 v4, null, v2, v2, v3
	v_div_scale_f32 v7, vcc_lo, v3, v2, v3
	v_rcp_f32_e32 v5, v4
	s_waitcnt_depctr 0xfff
	v_fma_f32 v6, -v4, v5, 1.0
	s_delay_alu instid0(VALU_DEP_1) | instskip(NEXT) | instid1(VALU_DEP_1)
	v_fmac_f32_e32 v5, v6, v5
	v_mul_f32_e32 v6, v7, v5
	s_delay_alu instid0(VALU_DEP_1) | instskip(NEXT) | instid1(VALU_DEP_1)
	v_fma_f32 v8, -v4, v6, v7
	v_fmac_f32_e32 v6, v8, v5
	s_delay_alu instid0(VALU_DEP_1) | instskip(NEXT) | instid1(VALU_DEP_1)
	v_fma_f32 v4, -v4, v6, v7
	v_div_fmas_f32 v4, v4, v5, v6
	s_delay_alu instid0(VALU_DEP_1)
	v_div_fixup_f32 v3, v4, v2, v3
	global_store_b32 v[0:1], v3, off
	v_add_co_u32 v0, vcc_lo, v0, 4
	v_add_co_ci_u32_e32 v1, vcc_lo, 0, v1, vcc_lo
	s_cbranch_scc1 .LBB144_40
.LBB144_41:
	s_nop 0
	s_sendmsg sendmsg(MSG_DEALLOC_VGPRS)
	s_endpgm
	.section	.rodata,"a",@progbits
	.p2align	6, 0x0
	.amdhsa_kernel _ZN4vllm3moe10topkGatingILi8ELi256ELi4ELi16ELi32Ei14__hip_bfloat16LNS0_11ScoringFuncE0EEEvPKT5_PKbPfiPT4_PiiiibPKf
		.amdhsa_group_segment_fixed_size 0
		.amdhsa_private_segment_fixed_size 0
		.amdhsa_kernarg_size 72
		.amdhsa_user_sgpr_count 15
		.amdhsa_user_sgpr_dispatch_ptr 0
		.amdhsa_user_sgpr_queue_ptr 0
		.amdhsa_user_sgpr_kernarg_segment_ptr 1
		.amdhsa_user_sgpr_dispatch_id 0
		.amdhsa_user_sgpr_private_segment_size 0
		.amdhsa_wavefront_size32 1
		.amdhsa_uses_dynamic_stack 0
		.amdhsa_enable_private_segment 0
		.amdhsa_system_sgpr_workgroup_id_x 1
		.amdhsa_system_sgpr_workgroup_id_y 0
		.amdhsa_system_sgpr_workgroup_id_z 0
		.amdhsa_system_sgpr_workgroup_info 0
		.amdhsa_system_vgpr_workitem_id 1
		.amdhsa_next_free_vgpr 39
		.amdhsa_next_free_sgpr 18
		.amdhsa_reserve_vcc 1
		.amdhsa_float_round_mode_32 0
		.amdhsa_float_round_mode_16_64 0
		.amdhsa_float_denorm_mode_32 3
		.amdhsa_float_denorm_mode_16_64 3
		.amdhsa_dx10_clamp 1
		.amdhsa_ieee_mode 1
		.amdhsa_fp16_overflow 0
		.amdhsa_workgroup_processor_mode 1
		.amdhsa_memory_ordered 1
		.amdhsa_forward_progress 0
		.amdhsa_shared_vgpr_count 0
		.amdhsa_exception_fp_ieee_invalid_op 0
		.amdhsa_exception_fp_denorm_src 0
		.amdhsa_exception_fp_ieee_div_zero 0
		.amdhsa_exception_fp_ieee_overflow 0
		.amdhsa_exception_fp_ieee_underflow 0
		.amdhsa_exception_fp_ieee_inexact 0
		.amdhsa_exception_int_div_zero 0
	.end_amdhsa_kernel
	.section	.text._ZN4vllm3moe10topkGatingILi8ELi256ELi4ELi16ELi32Ei14__hip_bfloat16LNS0_11ScoringFuncE0EEEvPKT5_PKbPfiPT4_PiiiibPKf,"axG",@progbits,_ZN4vllm3moe10topkGatingILi8ELi256ELi4ELi16ELi32Ei14__hip_bfloat16LNS0_11ScoringFuncE0EEEvPKT5_PKbPfiPT4_PiiiibPKf,comdat
.Lfunc_end144:
	.size	_ZN4vllm3moe10topkGatingILi8ELi256ELi4ELi16ELi32Ei14__hip_bfloat16LNS0_11ScoringFuncE0EEEvPKT5_PKbPfiPT4_PiiiibPKf, .Lfunc_end144-_ZN4vllm3moe10topkGatingILi8ELi256ELi4ELi16ELi32Ei14__hip_bfloat16LNS0_11ScoringFuncE0EEEvPKT5_PKbPfiPT4_PiiiibPKf
                                        ; -- End function
	.section	.AMDGPU.csdata,"",@progbits
; Kernel info:
; codeLenInByte = 3588
; NumSgprs: 20
; NumVgprs: 39
; ScratchSize: 0
; MemoryBound: 0
; FloatMode: 240
; IeeeMode: 1
; LDSByteSize: 0 bytes/workgroup (compile time only)
; SGPRBlocks: 2
; VGPRBlocks: 4
; NumSGPRsForWavesPerEU: 20
; NumVGPRsForWavesPerEU: 39
; Occupancy: 16
; WaveLimiterHint : 0
; COMPUTE_PGM_RSRC2:SCRATCH_EN: 0
; COMPUTE_PGM_RSRC2:USER_SGPR: 15
; COMPUTE_PGM_RSRC2:TRAP_HANDLER: 0
; COMPUTE_PGM_RSRC2:TGID_X_EN: 1
; COMPUTE_PGM_RSRC2:TGID_Y_EN: 0
; COMPUTE_PGM_RSRC2:TGID_Z_EN: 0
; COMPUTE_PGM_RSRC2:TIDIG_COMP_CNT: 1
	.section	.text._ZN4vllm3moe10topkGatingILi8ELi512ELi4ELi16ELi64Ei14__hip_bfloat16LNS0_11ScoringFuncE0EEEvPKT5_PKbPfiPT4_PiiiibPKf,"axG",@progbits,_ZN4vllm3moe10topkGatingILi8ELi512ELi4ELi16ELi64Ei14__hip_bfloat16LNS0_11ScoringFuncE0EEEvPKT5_PKbPfiPT4_PiiiibPKf,comdat
	.protected	_ZN4vllm3moe10topkGatingILi8ELi512ELi4ELi16ELi64Ei14__hip_bfloat16LNS0_11ScoringFuncE0EEEvPKT5_PKbPfiPT4_PiiiibPKf ; -- Begin function _ZN4vllm3moe10topkGatingILi8ELi512ELi4ELi16ELi64Ei14__hip_bfloat16LNS0_11ScoringFuncE0EEEvPKT5_PKbPfiPT4_PiiiibPKf
	.globl	_ZN4vllm3moe10topkGatingILi8ELi512ELi4ELi16ELi64Ei14__hip_bfloat16LNS0_11ScoringFuncE0EEEvPKT5_PKbPfiPT4_PiiiibPKf
	.p2align	8
	.type	_ZN4vllm3moe10topkGatingILi8ELi512ELi4ELi16ELi64Ei14__hip_bfloat16LNS0_11ScoringFuncE0EEEvPKT5_PKbPfiPT4_PiiiibPKf,@function
_ZN4vllm3moe10topkGatingILi8ELi512ELi4ELi16ELi64Ei14__hip_bfloat16LNS0_11ScoringFuncE0EEEvPKT5_PKbPfiPT4_PiiiibPKf: ; @_ZN4vllm3moe10topkGatingILi8ELi512ELi4ELi16ELi64Ei14__hip_bfloat16LNS0_11ScoringFuncE0EEEvPKT5_PKbPfiPT4_PiiiibPKf
; %bb.0:
	s_load_b32 s14, s[0:1], 0x18
	v_and_b32_e32 v1, 0x3ff, v0
	v_bfe_u32 v0, v0, 10, 10
	s_lshl_b32 s2, s15, 2
	s_delay_alu instid0(VALU_DEP_2) | instskip(NEXT) | instid1(VALU_DEP_1)
	v_lshrrev_b32_e32 v2, 6, v1
	v_add3_u32 v16, s2, v0, v2
	s_mov_b32 s2, exec_lo
	s_waitcnt lgkmcnt(0)
	s_delay_alu instid0(VALU_DEP_1)
	v_cmpx_gt_i32_e64 s14, v16
	s_cbranch_execz .LBB145_45
; %bb.1:
	s_clause 0x1
	s_load_b128 s[4:7], s[0:1], 0x0
	s_load_b64 s[12:13], s[0:1], 0x10
	s_mov_b32 s8, -1
	s_mov_b32 s15, -1
	s_waitcnt lgkmcnt(0)
	s_cmp_eq_u64 s[6:7], 0
	s_cbranch_scc1 .LBB145_3
; %bb.2:
	v_ashrrev_i32_e32 v0, 31, v16
	v_add_co_u32 v2, vcc_lo, s6, v16
	s_delay_alu instid0(VALU_DEP_2) | instskip(SKIP_3) | instid1(VALU_DEP_1)
	v_add_co_ci_u32_e32 v3, vcc_lo, s7, v0, vcc_lo
	global_load_u8 v0, v[2:3], off
	s_waitcnt vmcnt(0)
	v_and_b32_e32 v0, 1, v0
	v_cmp_eq_u32_e32 vcc_lo, 1, v0
	s_xor_b32 s2, vcc_lo, -1
	s_delay_alu instid0(SALU_CYCLE_1)
	s_or_not1_b32 s15, s2, exec_lo
.LBB145_3:
	v_lshlrev_b32_e32 v2, 9, v16
	v_and_b32_e32 v17, 63, v1
	v_mbcnt_lo_u32_b32 v7, -1, 0
	s_load_b64 s[2:3], s[0:1], 0x40
	s_delay_alu instid0(VALU_DEP_3) | instskip(NEXT) | instid1(VALU_DEP_2)
	v_ashrrev_i32_e32 v3, 31, v2
	v_xor_b32_e32 v11, 16, v7
	s_delay_alu instid0(VALU_DEP_2) | instskip(SKIP_1) | instid1(VALU_DEP_2)
	v_lshlrev_b64 v[0:1], 1, v[2:3]
	v_lshlrev_b32_e32 v2, 4, v17
	v_add_co_u32 v0, vcc_lo, s4, v0
	s_delay_alu instid0(VALU_DEP_3) | instskip(NEXT) | instid1(VALU_DEP_2)
	v_add_co_ci_u32_e32 v1, vcc_lo, s5, v1, vcc_lo
	v_add_co_u32 v0, vcc_lo, v0, v2
	s_delay_alu instid0(VALU_DEP_2)
	v_add_co_ci_u32_e32 v1, vcc_lo, 0, v1, vcc_lo
	s_waitcnt lgkmcnt(0)
	s_cmp_eq_u64 s[2:3], 0
	global_load_b128 v[0:3], v[0:1], off
	s_waitcnt vmcnt(0)
	v_and_b32_e32 v4, 0xffff0000, v0
	v_lshlrev_b32_e32 v0, 16, v0
	v_lshlrev_b32_e32 v9, 16, v2
	v_lshlrev_b32_e32 v10, 16, v3
	v_and_b32_e32 v3, 0xffff0000, v3
	v_max_f32_e32 v5, v4, v4
	v_max_f32_e32 v6, v0, v0
	s_delay_alu instid0(VALU_DEP_1) | instskip(SKIP_1) | instid1(VALU_DEP_1)
	v_max_f32_e32 v5, v6, v5
	v_or_b32_e32 v6, 32, v7
	v_cmp_gt_i32_e32 vcc_lo, 64, v6
	v_cndmask_b32_e32 v6, v7, v6, vcc_lo
	v_cmp_gt_i32_e32 vcc_lo, 64, v11
	v_cndmask_b32_e32 v11, v7, v11, vcc_lo
	s_delay_alu instid0(VALU_DEP_1) | instskip(SKIP_1) | instid1(VALU_DEP_1)
	v_lshlrev_b32_e32 v19, 2, v11
	v_xor_b32_e32 v11, 8, v7
	v_cmp_gt_i32_e32 vcc_lo, 64, v11
	v_lshlrev_b32_e32 v8, 16, v1
	v_and_b32_e32 v1, 0xffff0000, v1
	v_cndmask_b32_e32 v11, v7, v11, vcc_lo
	s_delay_alu instid0(VALU_DEP_2) | instskip(NEXT) | instid1(VALU_DEP_2)
	v_max3_f32 v5, v5, v8, v1
	v_lshlrev_b32_e32 v20, 2, v11
	v_xor_b32_e32 v11, 4, v7
	s_delay_alu instid0(VALU_DEP_1) | instskip(SKIP_1) | instid1(VALU_DEP_1)
	v_cmp_gt_i32_e32 vcc_lo, 64, v11
	v_dual_cndmask_b32 v11, v7, v11 :: v_dual_and_b32 v2, 0xffff0000, v2
	v_max3_f32 v5, v5, v9, v2
	s_delay_alu instid0(VALU_DEP_2) | instskip(SKIP_1) | instid1(VALU_DEP_3)
	v_lshlrev_b32_e32 v21, 2, v11
	v_xor_b32_e32 v11, 2, v7
	v_max3_f32 v5, v5, v10, v3
	s_delay_alu instid0(VALU_DEP_2) | instskip(SKIP_4) | instid1(VALU_DEP_1)
	v_cmp_gt_i32_e32 vcc_lo, 64, v11
	v_dual_cndmask_b32 v11, v7, v11 :: v_dual_lshlrev_b32 v18, 2, v6
	ds_bpermute_b32 v6, v18, v5
	v_lshlrev_b32_e32 v22, 2, v11
	v_xor_b32_e32 v11, 1, v7
	v_cmp_gt_i32_e32 vcc_lo, 64, v11
	s_waitcnt lgkmcnt(0)
	v_dual_cndmask_b32 v7, v7, v11 :: v_dual_max_f32 v6, v6, v6
	s_delay_alu instid0(VALU_DEP_1) | instskip(NEXT) | instid1(VALU_DEP_2)
	v_lshlrev_b32_e32 v23, 2, v7
	v_max_f32_e32 v5, v5, v6
	ds_bpermute_b32 v6, v19, v5
	s_waitcnt lgkmcnt(0)
	v_max_f32_e32 v6, v6, v6
	s_delay_alu instid0(VALU_DEP_1) | instskip(SKIP_3) | instid1(VALU_DEP_1)
	v_max_f32_e32 v5, v5, v6
	ds_bpermute_b32 v6, v20, v5
	s_waitcnt lgkmcnt(0)
	v_max_f32_e32 v6, v6, v6
	v_max_f32_e32 v5, v5, v6
	ds_bpermute_b32 v6, v21, v5
	s_waitcnt lgkmcnt(0)
	v_max_f32_e32 v6, v6, v6
	s_delay_alu instid0(VALU_DEP_1) | instskip(SKIP_3) | instid1(VALU_DEP_1)
	v_max_f32_e32 v5, v5, v6
	ds_bpermute_b32 v6, v22, v5
	s_waitcnt lgkmcnt(0)
	v_max_f32_e32 v6, v6, v6
	v_max_f32_e32 v5, v5, v6
	ds_bpermute_b32 v6, v23, v5
	s_waitcnt lgkmcnt(0)
	v_max_f32_e32 v6, v6, v6
	s_delay_alu instid0(VALU_DEP_1) | instskip(NEXT) | instid1(VALU_DEP_1)
	v_max_f32_e32 v5, v5, v6
	v_sub_f32_e32 v6, v8, v5
	v_sub_f32_e32 v8, v10, v5
	s_delay_alu instid0(VALU_DEP_1)
	v_mul_f32_e32 v14, 0x3fb8aa3b, v8
	v_sub_f32_e32 v0, v0, v5
	v_sub_f32_e32 v4, v4, v5
	;; [unrolled: 1-line block ×5, first 2 shown]
	v_dual_sub_f32 v2, v2, v5 :: v_dual_mul_f32 v5, 0x3fb8aa3b, v0
	v_dual_mul_f32 v9, 0x3fb8aa3b, v4 :: v_dual_mul_f32 v10, 0x3fb8aa3b, v6
	s_delay_alu instid0(VALU_DEP_4) | instskip(SKIP_1) | instid1(VALU_DEP_4)
	v_mul_f32_e32 v12, 0x3fb8aa3b, v7
	v_rndne_f32_e32 v37, v14
	v_fma_f32 v24, 0x3fb8aa3b, v0, -v5
	v_rndne_f32_e32 v25, v5
	v_fma_f32 v26, 0x3fb8aa3b, v4, -v9
	;; [unrolled: 2-line block ×4, first 2 shown]
	v_fmac_f32_e32 v24, 0x32a5705f, v0
	v_mul_f32_e32 v15, 0x3fb8aa3b, v3
	v_dual_sub_f32 v5, v5, v25 :: v_dual_fmac_f32 v26, 0x32a5705f, v4
	v_mul_f32_e32 v13, 0x3fb8aa3b, v2
	v_fma_f32 v36, 0x3fb8aa3b, v8, -v14
	v_dual_sub_f32 v9, v9, v27 :: v_dual_fmac_f32 v28, 0x32a5705f, v6
	v_sub_f32_e32 v10, v10, v29
	v_mul_f32_e32 v11, 0x3fb8aa3b, v1
	v_dual_fmac_f32 v32, 0x32a5705f, v7 :: v_dual_add_f32 v5, v5, v24
	s_delay_alu instid0(VALU_DEP_4) | instskip(NEXT) | instid1(VALU_DEP_4)
	v_dual_fmac_f32 v36, 0x32a5705f, v8 :: v_dual_add_f32 v9, v9, v26
	v_add_f32_e32 v10, v10, v28
	s_delay_alu instid0(VALU_DEP_4) | instskip(SKIP_4) | instid1(VALU_DEP_3)
	v_fma_f32 v30, 0x3fb8aa3b, v1, -v11
	v_rndne_f32_e32 v31, v11
	v_exp_f32_e32 v5, v5
	v_rndne_f32_e32 v35, v13
	v_cvt_i32_f32_e32 v25, v25
	v_dual_fmac_f32 v30, 0x32a5705f, v1 :: v_dual_sub_f32 v11, v11, v31
	v_exp_f32_e32 v9, v9
	v_fma_f32 v34, 0x3fb8aa3b, v2, -v13
	v_sub_f32_e32 v13, v13, v35
	v_cvt_i32_f32_e32 v27, v27
	v_dual_sub_f32 v14, v14, v37 :: v_dual_add_f32 v11, v11, v30
	v_exp_f32_e32 v10, v10
	v_ldexp_f32 v5, v5, v25
	v_cmp_ngt_f32_e32 vcc_lo, 0xc2ce8ed0, v0
	v_cvt_i32_f32_e32 v29, v29
	v_fmac_f32_e32 v34, 0x32a5705f, v2
	v_exp_f32_e32 v11, v11
	v_ldexp_f32 v9, v9, v27
	v_cndmask_b32_e32 v5, 0, v5, vcc_lo
	v_cmp_ngt_f32_e32 vcc_lo, 0xc2ce8ed0, v4
	v_rndne_f32_e32 v33, v12
	v_cvt_i32_f32_e32 v31, v31
	v_add_f32_e32 v14, v14, v36
	v_ldexp_f32 v10, v10, v29
	v_cndmask_b32_e32 v9, 0, v9, vcc_lo
	v_cmp_ngt_f32_e32 vcc_lo, 0xc2ce8ed0, v6
	v_fma_f32 v38, 0x3fb8aa3b, v3, -v15
	v_rndne_f32_e32 v39, v15
	v_sub_f32_e32 v12, v12, v33
	v_ldexp_f32 v11, v11, v31
	v_cndmask_b32_e32 v10, 0, v10, vcc_lo
	v_cmp_nlt_f32_e32 vcc_lo, 0x42b17218, v0
	v_dual_fmac_f32 v38, 0x32a5705f, v3 :: v_dual_add_f32 v13, v13, v34
	v_dual_sub_f32 v15, v15, v39 :: v_dual_add_f32 v12, v12, v32
	v_cndmask_b32_e32 v0, 0x7f800000, v5, vcc_lo
	v_cmp_nlt_f32_e32 vcc_lo, 0x42b17218, v4
	v_cvt_i32_f32_e32 v33, v33
	s_delay_alu instid0(VALU_DEP_4)
	v_add_f32_e32 v15, v15, v38
	v_exp_f32_e32 v12, v12
	v_exp_f32_e32 v13, v13
	v_cndmask_b32_e32 v4, 0x7f800000, v9, vcc_lo
	v_cmp_ngt_f32_e32 vcc_lo, 0xc2ce8ed0, v1
	v_cvt_i32_f32_e32 v35, v35
	v_exp_f32_e32 v14, v14
	v_cvt_i32_f32_e32 v24, v37
	v_add_f32_e32 v9, v0, v4
	v_cndmask_b32_e32 v5, 0, v11, vcc_lo
	v_cmp_nlt_f32_e32 vcc_lo, 0x42b17218, v6
	v_ldexp_f32 v12, v12, v33
	v_ldexp_f32 v13, v13, v35
	v_exp_f32_e32 v15, v15
	v_cvt_i32_f32_e32 v26, v39
	v_cndmask_b32_e32 v6, 0x7f800000, v10, vcc_lo
	v_cmp_ngt_f32_e32 vcc_lo, 0xc2ce8ed0, v7
	v_ldexp_f32 v14, v14, v24
	v_lshlrev_b32_e32 v24, 3, v17
	v_cndmask_b32_e32 v10, 0, v12, vcc_lo
	v_cmp_nlt_f32_e32 vcc_lo, 0x42b17218, v1
	s_delay_alu instid0(TRANS32_DEP_1)
	v_ldexp_f32 v15, v15, v26
	v_cndmask_b32_e32 v1, 0x7f800000, v5, vcc_lo
	v_cmp_ngt_f32_e32 vcc_lo, 0xc2ce8ed0, v2
	v_add_f32_e32 v5, v9, v6
	v_cndmask_b32_e32 v9, 0, v13, vcc_lo
	v_cmp_nlt_f32_e32 vcc_lo, 0x42b17218, v7
	v_cndmask_b32_e32 v7, 0x7f800000, v10, vcc_lo
	v_cmp_ngt_f32_e32 vcc_lo, 0xc2ce8ed0, v8
	v_dual_add_f32 v5, v5, v1 :: v_dual_cndmask_b32 v10, 0, v14
	v_cmp_nlt_f32_e32 vcc_lo, 0x42b17218, v2
	s_delay_alu instid0(VALU_DEP_2) | instskip(SKIP_1) | instid1(VALU_DEP_2)
	v_dual_add_f32 v5, v5, v7 :: v_dual_cndmask_b32 v2, 0x7f800000, v9
	v_cmp_ngt_f32_e32 vcc_lo, 0xc2ce8ed0, v3
	v_add_f32_e32 v5, v5, v2
	v_cndmask_b32_e32 v9, 0, v15, vcc_lo
	v_cmp_nlt_f32_e32 vcc_lo, 0x42b17218, v8
	v_cndmask_b32_e32 v8, 0x7f800000, v10, vcc_lo
	v_cmp_nlt_f32_e32 vcc_lo, 0x42b17218, v3
	s_delay_alu instid0(VALU_DEP_2) | instskip(SKIP_1) | instid1(VALU_DEP_1)
	v_add_f32_e32 v5, v5, v8
	v_cndmask_b32_e32 v3, 0x7f800000, v9, vcc_lo
	v_add_f32_e32 v5, v5, v3
	ds_bpermute_b32 v9, v18, v5
	s_waitcnt lgkmcnt(0)
	v_add_f32_e32 v5, v5, v9
	ds_bpermute_b32 v9, v19, v5
	s_waitcnt lgkmcnt(0)
	;; [unrolled: 3-line block ×6, first 2 shown]
	v_add_f32_e32 v5, v5, v9
	s_delay_alu instid0(VALU_DEP_1) | instskip(SKIP_1) | instid1(VALU_DEP_2)
	v_div_scale_f32 v9, null, v5, v5, 1.0
	v_div_scale_f32 v12, vcc_lo, 1.0, v5, 1.0
	v_rcp_f32_e32 v10, v9
	s_waitcnt_depctr 0xfff
	v_fma_f32 v11, -v9, v10, 1.0
	s_delay_alu instid0(VALU_DEP_1) | instskip(NEXT) | instid1(VALU_DEP_1)
	v_fmac_f32_e32 v10, v11, v10
	v_mul_f32_e32 v11, v12, v10
	s_delay_alu instid0(VALU_DEP_1) | instskip(NEXT) | instid1(VALU_DEP_1)
	v_fma_f32 v13, -v9, v11, v12
	v_fmac_f32_e32 v11, v13, v10
	s_delay_alu instid0(VALU_DEP_1) | instskip(NEXT) | instid1(VALU_DEP_1)
	v_fma_f32 v9, -v9, v11, v12
	v_div_fmas_f32 v9, v9, v10, v11
	s_delay_alu instid0(VALU_DEP_1) | instskip(NEXT) | instid1(VALU_DEP_1)
	v_div_fixup_f32 v5, v9, v5, 1.0
	v_mul_f32_e32 v8, v5, v8
	v_mul_f32_e32 v0, v5, v0
	;; [unrolled: 1-line block ×6, first 2 shown]
	v_cmp_class_f32_e64 vcc_lo, v0, 0x1f8
	v_dual_mul_f32 v11, v5, v3 :: v_dual_cndmask_b32 v0, 0, v0
	v_cmp_class_f32_e64 vcc_lo, v4, 0x1f8
	v_dual_mul_f32 v6, v5, v6 :: v_dual_cndmask_b32 v1, 0, v4
	s_delay_alu instid0(VALU_DEP_1)
	v_cmp_class_f32_e64 vcc_lo, v6, 0x1f8
	v_cndmask_b32_e32 v2, 0, v6, vcc_lo
	v_cmp_class_f32_e64 vcc_lo, v9, 0x1f8
	v_cndmask_b32_e32 v3, 0, v9, vcc_lo
	;; [unrolled: 2-line block ×6, first 2 shown]
	s_cbranch_scc1 .LBB145_39
; %bb.4:
	v_lshlrev_b32_e32 v12, 2, v24
	s_clause 0x1
	global_load_b128 v[8:11], v12, s[2:3]
	global_load_b128 v[12:15], v12, s[2:3] offset:16
	s_waitcnt vmcnt(1)
	v_dual_add_f32 v9, v9, v1 :: v_dual_add_f32 v8, v8, v0
	v_dual_add_f32 v11, v11, v3 :: v_dual_add_f32 v10, v10, v2
	s_waitcnt vmcnt(0)
	v_dual_add_f32 v13, v13, v5 :: v_dual_add_f32 v12, v12, v4
	v_dual_add_f32 v15, v15, v7 :: v_dual_add_f32 v14, v14, v6
	s_cbranch_execnz .LBB145_6
.LBB145_5:
	v_dual_mov_b32 v15, v7 :: v_dual_mov_b32 v14, v6
	v_dual_mov_b32 v13, v5 :: v_dual_mov_b32 v12, v4
	;; [unrolled: 1-line block ×4, first 2 shown]
.LBB145_6:
	s_load_b128 s[4:7], s[0:1], 0x30
	v_cmp_eq_u32_e64 s2, 0, v17
	s_waitcnt lgkmcnt(0)
	s_bitcmp1_b32 s7, 0
	s_mov_b32 s7, 0
	s_cselect_b32 vcc_lo, -1, 0
	s_cmp_gt_i32 s4, 0
	s_cselect_b32 s3, -1, 0
	s_cmp_lt_i32 s4, 1
	s_cbranch_scc1 .LBB145_40
; %bb.7:
	s_load_b128 s[8:11], s[0:1], 0x20
	v_mul_lo_u32 v26, v16, s4
	v_mov_b32_e32 v25, 0
	v_mov_b32_e32 v27, v16
	s_branch .LBB145_10
.LBB145_8:                              ;   in Loop: Header=BB145_10 Depth=1
	s_or_b32 exec_lo, exec_lo, s1
.LBB145_9:                              ;   in Loop: Header=BB145_10 Depth=1
	v_add_nc_u32_e32 v27, s14, v27
	s_cmp_eq_u32 s4, s7
	s_cbranch_scc1 .LBB145_41
.LBB145_10:                             ; =>This Inner Loop Header: Depth=1
	v_cmp_gt_f32_e64 s0, v9, v8
	s_mov_b32 s17, exec_lo
	s_delay_alu instid0(VALU_DEP_1) | instskip(SKIP_2) | instid1(VALU_DEP_3)
	v_cndmask_b32_e64 v28, v8, v9, s0
	v_cndmask_b32_e64 v29, 0, 1, s0
	;; [unrolled: 1-line block ×3, first 2 shown]
	v_cmp_gt_f32_e64 s1, v10, v28
	s_delay_alu instid0(VALU_DEP_1) | instskip(NEXT) | instid1(VALU_DEP_4)
	v_cndmask_b32_e64 v28, v28, v10, s1
	v_cndmask_b32_e64 v29, v29, 2, s1
	s_delay_alu instid0(VALU_DEP_4) | instskip(NEXT) | instid1(VALU_DEP_3)
	v_cndmask_b32_e64 v30, v30, v2, s1
	v_cmp_gt_f32_e64 s0, v11, v28
	s_delay_alu instid0(VALU_DEP_1) | instskip(NEXT) | instid1(VALU_DEP_4)
	v_cndmask_b32_e64 v28, v28, v11, s0
	v_cndmask_b32_e64 v29, v29, 3, s0
	s_delay_alu instid0(VALU_DEP_4) | instskip(NEXT) | instid1(VALU_DEP_3)
	v_cndmask_b32_e64 v30, v30, v3, s0
	;; [unrolled: 6-line block ×4, first 2 shown]
	v_cmp_gt_f32_e64 s1, v14, v28
	s_delay_alu instid0(VALU_DEP_1) | instskip(NEXT) | instid1(VALU_DEP_4)
	v_cndmask_b32_e64 v28, v28, v14, s1
	v_cndmask_b32_e64 v29, v29, 6, s1
	s_waitcnt lgkmcnt(0)
	v_cndmask_b32_e64 v31, v30, v6, s1
	s_delay_alu instid0(VALU_DEP_3) | instskip(NEXT) | instid1(VALU_DEP_1)
	v_cmp_gt_f32_e64 s0, v15, v28
	v_cndmask_b32_e64 v30, v28, v15, s0
	v_cndmask_b32_e64 v28, v29, 7, s0
	s_delay_alu instid0(VALU_DEP_4)
	v_cndmask_b32_e64 v29, v31, v7, s0
	ds_bpermute_b32 v31, v18, v30
	v_or_b32_e32 v28, v24, v28
	ds_bpermute_b32 v33, v18, v29
	ds_bpermute_b32 v32, v18, v28
	s_waitcnt lgkmcnt(0)
	v_cmp_lt_f32_e64 s16, v30, v31
	v_cmpx_nlt_f32_e32 v30, v31
; %bb.11:                               ;   in Loop: Header=BB145_10 Depth=1
	v_cmp_eq_f32_e64 s0, v30, v31
	v_cmp_lt_i32_e64 s1, v32, v28
	s_delay_alu instid0(VALU_DEP_1) | instskip(SKIP_2) | instid1(SALU_CYCLE_1)
	s_and_b32 s0, s0, s1
	s_and_not1_b32 s1, s16, exec_lo
	s_and_b32 s0, s0, exec_lo
	s_or_b32 s16, s1, s0
; %bb.12:                               ;   in Loop: Header=BB145_10 Depth=1
	s_or_b32 exec_lo, exec_lo, s17
	s_and_saveexec_b32 s0, s16
; %bb.13:                               ;   in Loop: Header=BB145_10 Depth=1
	v_dual_mov_b32 v29, v33 :: v_dual_mov_b32 v30, v31
	v_mov_b32_e32 v28, v32
; %bb.14:                               ;   in Loop: Header=BB145_10 Depth=1
	s_or_b32 exec_lo, exec_lo, s0
	ds_bpermute_b32 v32, v19, v30
	ds_bpermute_b32 v33, v19, v29
	;; [unrolled: 1-line block ×3, first 2 shown]
	s_mov_b32 s17, exec_lo
	s_waitcnt lgkmcnt(2)
	v_cmp_lt_f32_e64 s16, v30, v32
	v_cmpx_nlt_f32_e32 v30, v32
	s_cbranch_execz .LBB145_16
; %bb.15:                               ;   in Loop: Header=BB145_10 Depth=1
	v_cmp_eq_f32_e64 s0, v30, v32
	s_waitcnt lgkmcnt(0)
	v_cmp_lt_i32_e64 s1, v31, v28
	s_delay_alu instid0(VALU_DEP_1) | instskip(SKIP_2) | instid1(SALU_CYCLE_1)
	s_and_b32 s0, s0, s1
	s_and_not1_b32 s1, s16, exec_lo
	s_and_b32 s0, s0, exec_lo
	s_or_b32 s16, s1, s0
.LBB145_16:                             ;   in Loop: Header=BB145_10 Depth=1
	s_or_b32 exec_lo, exec_lo, s17
	s_delay_alu instid0(VALU_DEP_2)
	s_and_saveexec_b32 s0, s16
	s_cbranch_execz .LBB145_18
; %bb.17:                               ;   in Loop: Header=BB145_10 Depth=1
	s_waitcnt lgkmcnt(1)
	v_dual_mov_b32 v29, v33 :: v_dual_mov_b32 v30, v32
	s_waitcnt lgkmcnt(0)
	v_mov_b32_e32 v28, v31
.LBB145_18:                             ;   in Loop: Header=BB145_10 Depth=1
	s_or_b32 exec_lo, exec_lo, s0
	ds_bpermute_b32 v32, v20, v30
	s_waitcnt lgkmcnt(2)
	ds_bpermute_b32 v33, v20, v29
	s_waitcnt lgkmcnt(2)
	ds_bpermute_b32 v31, v20, v28
	s_mov_b32 s17, exec_lo
	s_waitcnt lgkmcnt(2)
	v_cmp_lt_f32_e64 s16, v30, v32
	v_cmpx_nlt_f32_e32 v30, v32
	s_cbranch_execz .LBB145_20
; %bb.19:                               ;   in Loop: Header=BB145_10 Depth=1
	v_cmp_eq_f32_e64 s0, v30, v32
	s_waitcnt lgkmcnt(0)
	v_cmp_lt_i32_e64 s1, v31, v28
	s_delay_alu instid0(VALU_DEP_1) | instskip(SKIP_2) | instid1(SALU_CYCLE_1)
	s_and_b32 s0, s0, s1
	s_and_not1_b32 s1, s16, exec_lo
	s_and_b32 s0, s0, exec_lo
	s_or_b32 s16, s1, s0
.LBB145_20:                             ;   in Loop: Header=BB145_10 Depth=1
	s_or_b32 exec_lo, exec_lo, s17
	s_delay_alu instid0(VALU_DEP_2)
	s_and_saveexec_b32 s0, s16
	s_cbranch_execz .LBB145_22
; %bb.21:                               ;   in Loop: Header=BB145_10 Depth=1
	s_waitcnt lgkmcnt(1)
	v_dual_mov_b32 v29, v33 :: v_dual_mov_b32 v30, v32
	s_waitcnt lgkmcnt(0)
	v_mov_b32_e32 v28, v31
.LBB145_22:                             ;   in Loop: Header=BB145_10 Depth=1
	s_or_b32 exec_lo, exec_lo, s0
	ds_bpermute_b32 v32, v21, v30
	s_waitcnt lgkmcnt(2)
	ds_bpermute_b32 v33, v21, v29
	s_waitcnt lgkmcnt(2)
	ds_bpermute_b32 v31, v21, v28
	;; [unrolled: 31-line block ×3, first 2 shown]
	s_mov_b32 s17, exec_lo
	s_waitcnt lgkmcnt(2)
	v_cmp_lt_f32_e64 s16, v30, v32
	v_cmpx_nlt_f32_e32 v30, v32
	s_cbranch_execz .LBB145_28
; %bb.27:                               ;   in Loop: Header=BB145_10 Depth=1
	v_cmp_eq_f32_e64 s0, v30, v32
	s_waitcnt lgkmcnt(0)
	v_cmp_lt_i32_e64 s1, v31, v28
	s_delay_alu instid0(VALU_DEP_1) | instskip(SKIP_2) | instid1(SALU_CYCLE_1)
	s_and_b32 s0, s0, s1
	s_and_not1_b32 s1, s16, exec_lo
	s_and_b32 s0, s0, exec_lo
	s_or_b32 s16, s1, s0
.LBB145_28:                             ;   in Loop: Header=BB145_10 Depth=1
	s_or_b32 exec_lo, exec_lo, s17
	s_delay_alu instid0(VALU_DEP_2)
	s_and_saveexec_b32 s0, s16
	s_cbranch_execz .LBB145_30
; %bb.29:                               ;   in Loop: Header=BB145_10 Depth=1
	s_waitcnt lgkmcnt(1)
	v_dual_mov_b32 v29, v33 :: v_dual_mov_b32 v30, v32
	s_waitcnt lgkmcnt(0)
	v_mov_b32_e32 v28, v31
.LBB145_30:                             ;   in Loop: Header=BB145_10 Depth=1
	s_or_b32 exec_lo, exec_lo, s0
	s_waitcnt lgkmcnt(1)
	ds_bpermute_b32 v33, v23, v30
	ds_bpermute_b32 v32, v23, v29
	s_waitcnt lgkmcnt(2)
	ds_bpermute_b32 v31, v23, v28
	s_mov_b32 s17, exec_lo
	s_waitcnt lgkmcnt(2)
	v_cmp_lt_f32_e64 s16, v30, v33
	v_cmpx_nlt_f32_e32 v30, v33
	s_cbranch_execnz .LBB145_34
; %bb.31:                               ;   in Loop: Header=BB145_10 Depth=1
	s_or_b32 exec_lo, exec_lo, s17
	s_delay_alu instid0(VALU_DEP_2)
	s_and_saveexec_b32 s0, s16
	s_cbranch_execnz .LBB145_35
.LBB145_32:                             ;   in Loop: Header=BB145_10 Depth=1
	s_or_b32 exec_lo, exec_lo, s0
	s_and_saveexec_b32 s16, s2
	s_cbranch_execnz .LBB145_36
.LBB145_33:                             ;   in Loop: Header=BB145_10 Depth=1
	s_or_b32 exec_lo, exec_lo, s16
	s_add_i32 s7, s7, 1
	s_delay_alu instid0(SALU_CYCLE_1)
	s_cmp_ge_i32 s7, s4
	s_cbranch_scc1 .LBB145_9
	s_branch .LBB145_37
.LBB145_34:                             ;   in Loop: Header=BB145_10 Depth=1
	v_cmp_eq_f32_e64 s0, v30, v33
	s_waitcnt lgkmcnt(0)
	v_cmp_lt_i32_e64 s1, v31, v28
	s_delay_alu instid0(VALU_DEP_1) | instskip(SKIP_2) | instid1(SALU_CYCLE_1)
	s_and_b32 s0, s0, s1
	s_and_not1_b32 s1, s16, exec_lo
	s_and_b32 s0, s0, exec_lo
	s_or_b32 s16, s1, s0
	s_or_b32 exec_lo, exec_lo, s17
	s_and_saveexec_b32 s0, s16
	s_cbranch_execz .LBB145_32
.LBB145_35:                             ;   in Loop: Header=BB145_10 Depth=1
	s_waitcnt lgkmcnt(0)
	v_dual_mov_b32 v29, v32 :: v_dual_mov_b32 v28, v31
	s_or_b32 exec_lo, exec_lo, s0
	s_and_saveexec_b32 s16, s2
	s_cbranch_execz .LBB145_33
.LBB145_36:                             ;   in Loop: Header=BB145_10 Depth=1
	s_delay_alu instid0(VALU_DEP_1)
	v_dual_add_f32 v37, v25, v29 :: v_dual_add_nc_u32 v30, s7, v26
	v_cmp_le_i32_e64 s0, s5, v28
	v_cmp_gt_i32_e64 s1, s6, v28
	s_waitcnt lgkmcnt(1)
	v_subrev_nc_u32_e32 v32, s5, v28
	s_waitcnt lgkmcnt(0)
	v_ashrrev_i32_e32 v31, 31, v30
	v_cndmask_b32_e32 v25, v25, v37, vcc_lo
	s_and_b32 s0, s0, s1
	s_delay_alu instid0(SALU_CYCLE_1) | instskip(NEXT) | instid1(VALU_DEP_2)
	s_and_b32 s0, s15, s0
	v_lshlrev_b64 v[30:31], 2, v[30:31]
	v_cndmask_b32_e64 v36, 0x200, v32, s0
	s_delay_alu instid0(VALU_DEP_2) | instskip(NEXT) | instid1(VALU_DEP_1)
	v_add_co_u32 v32, s0, s12, v30
	v_add_co_ci_u32_e64 v33, s0, s13, v31, s0
	v_add_co_u32 v34, s0, s8, v30
	s_delay_alu instid0(VALU_DEP_1) | instskip(SKIP_1) | instid1(VALU_DEP_1)
	v_add_co_ci_u32_e64 v35, s0, s9, v31, s0
	v_add_co_u32 v30, s0, s10, v30
	v_add_co_ci_u32_e64 v31, s0, s11, v31, s0
	global_store_b32 v[32:33], v29, off
	global_store_b32 v[34:35], v36, off
	;; [unrolled: 1-line block ×3, first 2 shown]
	s_or_b32 exec_lo, exec_lo, s16
	s_add_i32 s7, s7, 1
	s_delay_alu instid0(SALU_CYCLE_1)
	s_cmp_ge_i32 s7, s4
	s_cbranch_scc1 .LBB145_9
.LBB145_37:                             ;   in Loop: Header=BB145_10 Depth=1
	v_ashrrev_i32_e32 v29, 31, v28
	s_mov_b32 s1, exec_lo
	s_delay_alu instid0(VALU_DEP_1) | instskip(NEXT) | instid1(VALU_DEP_1)
	v_lshrrev_b32_e32 v30, 29, v29
	v_add_nc_u32_e32 v30, v28, v30
	s_waitcnt lgkmcnt(0)
	s_delay_alu instid0(VALU_DEP_1) | instskip(SKIP_1) | instid1(VALU_DEP_2)
	v_ashrrev_i32_e32 v31, 31, v30
	v_ashrrev_i32_e32 v30, 3, v30
	v_lshrrev_b32_e32 v31, 26, v31
	s_delay_alu instid0(VALU_DEP_1) | instskip(NEXT) | instid1(VALU_DEP_1)
	v_add_nc_u32_e32 v31, v30, v31
	v_and_b32_e32 v31, 0xffffffc0, v31
	s_delay_alu instid0(VALU_DEP_1) | instskip(NEXT) | instid1(VALU_DEP_1)
	v_sub_nc_u32_e32 v31, v30, v31
	v_cmpx_eq_u32_e64 v17, v31
	s_cbranch_execz .LBB145_8
; %bb.38:                               ;   in Loop: Header=BB145_10 Depth=1
	v_lshrrev_b32_e32 v29, 23, v29
	v_lshlrev_b32_e32 v30, 3, v30
	s_delay_alu instid0(VALU_DEP_2) | instskip(NEXT) | instid1(VALU_DEP_2)
	v_add_nc_u32_e32 v29, v28, v29
	v_sub_nc_u32_e32 v28, v28, v30
	s_delay_alu instid0(VALU_DEP_2) | instskip(NEXT) | instid1(VALU_DEP_1)
	v_ashrrev_i32_e32 v29, 9, v29
	v_lshl_add_u32 v28, v29, 3, v28
	s_delay_alu instid0(VALU_DEP_1) | instskip(NEXT) | instid1(VALU_DEP_1)
	v_cmp_ne_u32_e64 s0, 7, v28
	v_cndmask_b32_e64 v15, 0xc61c4000, v15, s0
	v_cmp_ne_u32_e64 s0, 6, v28
	s_delay_alu instid0(VALU_DEP_1) | instskip(SKIP_1) | instid1(VALU_DEP_1)
	v_cndmask_b32_e64 v14, 0xc61c4000, v14, s0
	v_cmp_ne_u32_e64 s0, 5, v28
	v_cndmask_b32_e64 v13, 0xc61c4000, v13, s0
	v_cmp_ne_u32_e64 s0, 4, v28
	s_delay_alu instid0(VALU_DEP_1) | instskip(SKIP_1) | instid1(VALU_DEP_1)
	v_cndmask_b32_e64 v12, 0xc61c4000, v12, s0
	v_cmp_ne_u32_e64 s0, 3, v28
	v_cndmask_b32_e64 v11, 0xc61c4000, v11, s0
	v_cmp_ne_u32_e64 s0, 2, v28
	s_delay_alu instid0(VALU_DEP_1) | instskip(SKIP_1) | instid1(VALU_DEP_1)
	v_cndmask_b32_e64 v10, 0xc61c4000, v10, s0
	v_cmp_ne_u32_e64 s0, 1, v28
	v_cndmask_b32_e64 v9, 0xc61c4000, v9, s0
	v_cmp_ne_u32_e64 s0, 0, v28
	s_delay_alu instid0(VALU_DEP_1)
	v_cndmask_b32_e64 v8, 0xc61c4000, v8, s0
	s_branch .LBB145_8
.LBB145_39:
                                        ; implicit-def: $vgpr8_vgpr9_vgpr10_vgpr11_vgpr12_vgpr13_vgpr14_vgpr15
	s_and_not1_b32 vcc_lo, exec_lo, s8
	s_cbranch_vccz .LBB145_5
	s_branch .LBB145_6
.LBB145_40:
	v_mov_b32_e32 v25, 0
.LBB145_41:
	v_cmp_eq_u32_e64 s0, 0, v17
	s_delay_alu instid0(VALU_DEP_1) | instskip(NEXT) | instid1(SALU_CYCLE_1)
	s_and_b32 s0, s0, vcc_lo
	s_and_b32 exec_lo, exec_lo, s0
	s_cbranch_execz .LBB145_45
; %bb.42:
	s_and_not1_b32 vcc_lo, exec_lo, s3
	s_cbranch_vccnz .LBB145_45
; %bb.43:
	v_mul_lo_u32 v0, v16, s4
	v_cmp_lt_f32_e32 vcc_lo, 0, v25
	v_cndmask_b32_e32 v2, 1.0, v25, vcc_lo
	s_delay_alu instid0(VALU_DEP_3) | instskip(NEXT) | instid1(VALU_DEP_1)
	v_ashrrev_i32_e32 v1, 31, v0
	v_lshlrev_b64 v[0:1], 2, v[0:1]
	s_delay_alu instid0(VALU_DEP_1) | instskip(NEXT) | instid1(VALU_DEP_2)
	v_add_co_u32 v0, vcc_lo, s12, v0
	v_add_co_ci_u32_e32 v1, vcc_lo, s13, v1, vcc_lo
	.p2align	6
.LBB145_44:                             ; =>This Inner Loop Header: Depth=1
	global_load_b32 v3, v[0:1], off
	s_add_i32 s4, s4, -1
	s_delay_alu instid0(SALU_CYCLE_1) | instskip(SKIP_3) | instid1(VALU_DEP_2)
	s_cmp_lg_u32 s4, 0
	s_waitcnt vmcnt(0)
	v_div_scale_f32 v4, null, v2, v2, v3
	v_div_scale_f32 v7, vcc_lo, v3, v2, v3
	v_rcp_f32_e32 v5, v4
	s_waitcnt_depctr 0xfff
	v_fma_f32 v6, -v4, v5, 1.0
	s_delay_alu instid0(VALU_DEP_1) | instskip(NEXT) | instid1(VALU_DEP_1)
	v_fmac_f32_e32 v5, v6, v5
	v_mul_f32_e32 v6, v7, v5
	s_delay_alu instid0(VALU_DEP_1) | instskip(NEXT) | instid1(VALU_DEP_1)
	v_fma_f32 v8, -v4, v6, v7
	v_fmac_f32_e32 v6, v8, v5
	s_delay_alu instid0(VALU_DEP_1) | instskip(NEXT) | instid1(VALU_DEP_1)
	v_fma_f32 v4, -v4, v6, v7
	v_div_fmas_f32 v4, v4, v5, v6
	s_delay_alu instid0(VALU_DEP_1)
	v_div_fixup_f32 v3, v4, v2, v3
	global_store_b32 v[0:1], v3, off
	v_add_co_u32 v0, vcc_lo, v0, 4
	v_add_co_ci_u32_e32 v1, vcc_lo, 0, v1, vcc_lo
	s_cbranch_scc1 .LBB145_44
.LBB145_45:
	s_nop 0
	s_sendmsg sendmsg(MSG_DEALLOC_VGPRS)
	s_endpgm
	.section	.rodata,"a",@progbits
	.p2align	6, 0x0
	.amdhsa_kernel _ZN4vllm3moe10topkGatingILi8ELi512ELi4ELi16ELi64Ei14__hip_bfloat16LNS0_11ScoringFuncE0EEEvPKT5_PKbPfiPT4_PiiiibPKf
		.amdhsa_group_segment_fixed_size 0
		.amdhsa_private_segment_fixed_size 0
		.amdhsa_kernarg_size 72
		.amdhsa_user_sgpr_count 15
		.amdhsa_user_sgpr_dispatch_ptr 0
		.amdhsa_user_sgpr_queue_ptr 0
		.amdhsa_user_sgpr_kernarg_segment_ptr 1
		.amdhsa_user_sgpr_dispatch_id 0
		.amdhsa_user_sgpr_private_segment_size 0
		.amdhsa_wavefront_size32 1
		.amdhsa_uses_dynamic_stack 0
		.amdhsa_enable_private_segment 0
		.amdhsa_system_sgpr_workgroup_id_x 1
		.amdhsa_system_sgpr_workgroup_id_y 0
		.amdhsa_system_sgpr_workgroup_id_z 0
		.amdhsa_system_sgpr_workgroup_info 0
		.amdhsa_system_vgpr_workitem_id 1
		.amdhsa_next_free_vgpr 40
		.amdhsa_next_free_sgpr 18
		.amdhsa_reserve_vcc 1
		.amdhsa_float_round_mode_32 0
		.amdhsa_float_round_mode_16_64 0
		.amdhsa_float_denorm_mode_32 3
		.amdhsa_float_denorm_mode_16_64 3
		.amdhsa_dx10_clamp 1
		.amdhsa_ieee_mode 1
		.amdhsa_fp16_overflow 0
		.amdhsa_workgroup_processor_mode 1
		.amdhsa_memory_ordered 1
		.amdhsa_forward_progress 0
		.amdhsa_shared_vgpr_count 0
		.amdhsa_exception_fp_ieee_invalid_op 0
		.amdhsa_exception_fp_denorm_src 0
		.amdhsa_exception_fp_ieee_div_zero 0
		.amdhsa_exception_fp_ieee_overflow 0
		.amdhsa_exception_fp_ieee_underflow 0
		.amdhsa_exception_fp_ieee_inexact 0
		.amdhsa_exception_int_div_zero 0
	.end_amdhsa_kernel
	.section	.text._ZN4vllm3moe10topkGatingILi8ELi512ELi4ELi16ELi64Ei14__hip_bfloat16LNS0_11ScoringFuncE0EEEvPKT5_PKbPfiPT4_PiiiibPKf,"axG",@progbits,_ZN4vllm3moe10topkGatingILi8ELi512ELi4ELi16ELi64Ei14__hip_bfloat16LNS0_11ScoringFuncE0EEEvPKT5_PKbPfiPT4_PiiiibPKf,comdat
.Lfunc_end145:
	.size	_ZN4vllm3moe10topkGatingILi8ELi512ELi4ELi16ELi64Ei14__hip_bfloat16LNS0_11ScoringFuncE0EEEvPKT5_PKbPfiPT4_PiiiibPKf, .Lfunc_end145-_ZN4vllm3moe10topkGatingILi8ELi512ELi4ELi16ELi64Ei14__hip_bfloat16LNS0_11ScoringFuncE0EEEvPKT5_PKbPfiPT4_PiiiibPKf
                                        ; -- End function
	.section	.AMDGPU.csdata,"",@progbits
; Kernel info:
; codeLenInByte = 3744
; NumSgprs: 20
; NumVgprs: 40
; ScratchSize: 0
; MemoryBound: 0
; FloatMode: 240
; IeeeMode: 1
; LDSByteSize: 0 bytes/workgroup (compile time only)
; SGPRBlocks: 2
; VGPRBlocks: 4
; NumSGPRsForWavesPerEU: 20
; NumVGPRsForWavesPerEU: 40
; Occupancy: 16
; WaveLimiterHint : 0
; COMPUTE_PGM_RSRC2:SCRATCH_EN: 0
; COMPUTE_PGM_RSRC2:USER_SGPR: 15
; COMPUTE_PGM_RSRC2:TRAP_HANDLER: 0
; COMPUTE_PGM_RSRC2:TGID_X_EN: 1
; COMPUTE_PGM_RSRC2:TGID_Y_EN: 0
; COMPUTE_PGM_RSRC2:TGID_Z_EN: 0
; COMPUTE_PGM_RSRC2:TIDIG_COMP_CNT: 1
	.section	.text._ZN4vllm3moe10topkGatingILi16ELi512ELi4ELi16ELi32Ei14__hip_bfloat16LNS0_11ScoringFuncE0EEEvPKT5_PKbPfiPT4_PiiiibPKf,"axG",@progbits,_ZN4vllm3moe10topkGatingILi16ELi512ELi4ELi16ELi32Ei14__hip_bfloat16LNS0_11ScoringFuncE0EEEvPKT5_PKbPfiPT4_PiiiibPKf,comdat
	.protected	_ZN4vllm3moe10topkGatingILi16ELi512ELi4ELi16ELi32Ei14__hip_bfloat16LNS0_11ScoringFuncE0EEEvPKT5_PKbPfiPT4_PiiiibPKf ; -- Begin function _ZN4vllm3moe10topkGatingILi16ELi512ELi4ELi16ELi32Ei14__hip_bfloat16LNS0_11ScoringFuncE0EEEvPKT5_PKbPfiPT4_PiiiibPKf
	.globl	_ZN4vllm3moe10topkGatingILi16ELi512ELi4ELi16ELi32Ei14__hip_bfloat16LNS0_11ScoringFuncE0EEEvPKT5_PKbPfiPT4_PiiiibPKf
	.p2align	8
	.type	_ZN4vllm3moe10topkGatingILi16ELi512ELi4ELi16ELi32Ei14__hip_bfloat16LNS0_11ScoringFuncE0EEEvPKT5_PKbPfiPT4_PiiiibPKf,@function
_ZN4vllm3moe10topkGatingILi16ELi512ELi4ELi16ELi32Ei14__hip_bfloat16LNS0_11ScoringFuncE0EEEvPKT5_PKbPfiPT4_PiiiibPKf: ; @_ZN4vllm3moe10topkGatingILi16ELi512ELi4ELi16ELi32Ei14__hip_bfloat16LNS0_11ScoringFuncE0EEEvPKT5_PKbPfiPT4_PiiiibPKf
; %bb.0:
	s_load_b32 s14, s[0:1], 0x18
	v_and_b32_e32 v1, 0x3ff, v0
	v_bfe_u32 v0, v0, 10, 10
	s_lshl_b32 s2, s15, 2
	s_delay_alu instid0(VALU_DEP_2) | instskip(NEXT) | instid1(VALU_DEP_1)
	v_lshrrev_b32_e32 v2, 5, v1
	v_add3_u32 v32, s2, v0, v2
	s_mov_b32 s2, exec_lo
	s_waitcnt lgkmcnt(0)
	s_delay_alu instid0(VALU_DEP_1)
	v_cmpx_gt_i32_e64 s14, v32
	s_cbranch_execz .LBB146_41
; %bb.1:
	s_clause 0x1
	s_load_b128 s[4:7], s[0:1], 0x0
	s_load_b64 s[12:13], s[0:1], 0x10
	s_mov_b32 s8, -1
	s_mov_b32 s15, -1
	s_waitcnt lgkmcnt(0)
	s_cmp_eq_u64 s[6:7], 0
	s_cbranch_scc1 .LBB146_3
; %bb.2:
	v_ashrrev_i32_e32 v0, 31, v32
	v_add_co_u32 v2, vcc_lo, s6, v32
	s_delay_alu instid0(VALU_DEP_2) | instskip(SKIP_3) | instid1(VALU_DEP_1)
	v_add_co_ci_u32_e32 v3, vcc_lo, s7, v0, vcc_lo
	global_load_u8 v0, v[2:3], off
	s_waitcnt vmcnt(0)
	v_and_b32_e32 v0, 1, v0
	v_cmp_eq_u32_e32 vcc_lo, 1, v0
	s_xor_b32 s2, vcc_lo, -1
	s_delay_alu instid0(SALU_CYCLE_1)
	s_or_not1_b32 s15, s2, exec_lo
.LBB146_3:
	v_lshlrev_b32_e32 v2, 9, v32
	v_and_b32_e32 v33, 31, v1
	v_mbcnt_lo_u32_b32 v14, -1, 0
	s_load_b64 s[2:3], s[0:1], 0x40
	s_delay_alu instid0(VALU_DEP_3) | instskip(NEXT) | instid1(VALU_DEP_2)
	v_ashrrev_i32_e32 v3, 31, v2
	v_xor_b32_e32 v16, 16, v14
	v_xor_b32_e32 v19, 8, v14
	s_delay_alu instid0(VALU_DEP_3) | instskip(SKIP_1) | instid1(VALU_DEP_2)
	v_lshlrev_b64 v[0:1], 1, v[2:3]
	v_lshlrev_b32_e32 v2, 4, v33
	v_add_co_u32 v0, vcc_lo, s4, v0
	s_delay_alu instid0(VALU_DEP_3) | instskip(NEXT) | instid1(VALU_DEP_2)
	v_add_co_ci_u32_e32 v1, vcc_lo, s5, v1, vcc_lo
	v_add_co_u32 v4, vcc_lo, v0, v2
	s_delay_alu instid0(VALU_DEP_2)
	v_add_co_ci_u32_e32 v5, vcc_lo, 0, v1, vcc_lo
	v_cmp_gt_i32_e32 vcc_lo, 32, v16
	s_waitcnt lgkmcnt(0)
	s_cmp_eq_u64 s[2:3], 0
	s_clause 0x1
	global_load_b128 v[0:3], v[4:5], off
	global_load_b128 v[4:7], v[4:5], off offset:512
	v_cndmask_b32_e32 v16, v14, v16, vcc_lo
	v_cmp_gt_i32_e32 vcc_lo, 32, v19
	v_cndmask_b32_e32 v19, v14, v19, vcc_lo
	s_waitcnt vmcnt(1)
	v_lshlrev_b32_e32 v11, 16, v1
	v_and_b32_e32 v8, 0xffff0000, v0
	v_and_b32_e32 v1, 0xffff0000, v1
	v_lshlrev_b32_e32 v12, 16, v3
	v_and_b32_e32 v3, 0xffff0000, v3
	s_waitcnt vmcnt(0)
	v_lshlrev_b32_e32 v15, 16, v5
	v_max_f32_e32 v9, v8, v8
	v_and_b32_e32 v5, 0xffff0000, v5
	v_lshlrev_b32_e32 v18, 16, v7
	v_and_b32_e32 v7, 0xffff0000, v7
	v_lshlrev_b32_e32 v35, 2, v19
	v_xor_b32_e32 v19, 4, v14
	v_lshlrev_b32_e32 v34, 2, v16
	s_delay_alu instid0(VALU_DEP_2) | instskip(SKIP_1) | instid1(VALU_DEP_1)
	v_cmp_gt_i32_e32 vcc_lo, 32, v19
	v_dual_cndmask_b32 v19, v14, v19 :: v_dual_lshlrev_b32 v0, 16, v0
	v_dual_max_f32 v10, v0, v0 :: v_dual_lshlrev_b32 v17, 16, v6
	s_delay_alu instid0(VALU_DEP_2) | instskip(SKIP_1) | instid1(VALU_DEP_3)
	v_lshlrev_b32_e32 v36, 2, v19
	v_xor_b32_e32 v19, 2, v14
	v_dual_max_f32 v9, v10, v9 :: v_dual_lshlrev_b32 v10, 16, v2
	v_and_b32_e32 v2, 0xffff0000, v2
	s_delay_alu instid0(VALU_DEP_3) | instskip(NEXT) | instid1(VALU_DEP_3)
	v_cmp_gt_i32_e32 vcc_lo, 32, v19
	v_max3_f32 v9, v9, v11, v1
	v_dual_cndmask_b32 v19, v14, v19 :: v_dual_and_b32 v6, 0xffff0000, v6
	s_delay_alu instid0(VALU_DEP_2) | instskip(NEXT) | instid1(VALU_DEP_2)
	v_max3_f32 v9, v9, v10, v2
	v_lshlrev_b32_e32 v37, 2, v19
	v_xor_b32_e32 v19, 1, v14
	s_delay_alu instid0(VALU_DEP_3) | instskip(NEXT) | instid1(VALU_DEP_2)
	v_max3_f32 v9, v9, v12, v3
	v_cmp_gt_i32_e32 vcc_lo, 32, v19
	v_lshlrev_b32_e32 v13, 16, v4
	v_and_b32_e32 v4, 0xffff0000, v4
	v_cndmask_b32_e32 v14, v14, v19, vcc_lo
	s_delay_alu instid0(VALU_DEP_2) | instskip(NEXT) | instid1(VALU_DEP_1)
	v_max3_f32 v9, v9, v13, v4
	v_max3_f32 v9, v9, v15, v5
	s_delay_alu instid0(VALU_DEP_1) | instskip(NEXT) | instid1(VALU_DEP_1)
	v_max3_f32 v9, v9, v17, v6
	v_max3_f32 v9, v9, v18, v7
	ds_bpermute_b32 v16, v34, v9
	s_waitcnt lgkmcnt(0)
	v_max_f32_e32 v16, v16, v16
	s_delay_alu instid0(VALU_DEP_1) | instskip(SKIP_3) | instid1(VALU_DEP_1)
	v_max_f32_e32 v9, v9, v16
	ds_bpermute_b32 v16, v35, v9
	s_waitcnt lgkmcnt(0)
	v_max_f32_e32 v16, v16, v16
	v_dual_max_f32 v9, v9, v16 :: v_dual_lshlrev_b32 v38, 2, v14
	ds_bpermute_b32 v16, v36, v9
	s_waitcnt lgkmcnt(0)
	v_max_f32_e32 v16, v16, v16
	s_delay_alu instid0(VALU_DEP_1) | instskip(SKIP_3) | instid1(VALU_DEP_1)
	v_max_f32_e32 v9, v9, v16
	ds_bpermute_b32 v16, v37, v9
	s_waitcnt lgkmcnt(0)
	v_max_f32_e32 v16, v16, v16
	v_max_f32_e32 v9, v9, v16
	ds_bpermute_b32 v14, v38, v9
	s_waitcnt lgkmcnt(0)
	v_max_f32_e32 v14, v14, v14
	s_delay_alu instid0(VALU_DEP_1) | instskip(NEXT) | instid1(VALU_DEP_1)
	v_max_f32_e32 v9, v9, v14
	v_sub_f32_e32 v3, v3, v9
	v_sub_f32_e32 v0, v0, v9
	;; [unrolled: 1-line block ×9, first 2 shown]
	v_dual_sub_f32 v14, v15, v9 :: v_dual_mul_f32 v23, 0x3fb8aa3b, v3
	v_sub_f32_e32 v15, v17, v9
	v_sub_f32_e32 v4, v4, v9
	v_dual_sub_f32 v5, v5, v9 :: v_dual_mul_f32 v20, 0x3fb8aa3b, v10
	v_sub_f32_e32 v6, v6, v9
	v_sub_f32_e32 v16, v18, v9
	v_dual_sub_f32 v7, v7, v9 :: v_dual_mul_f32 v26, 0x3fb8aa3b, v14
	v_mul_f32_e32 v9, 0x3fb8aa3b, v0
	v_dual_mul_f32 v17, 0x3fb8aa3b, v8 :: v_dual_mul_f32 v18, 0x3fb8aa3b, v11
	v_dual_mul_f32 v21, 0x3fb8aa3b, v2 :: v_dual_mul_f32 v22, 0x3fb8aa3b, v12
	;; [unrolled: 1-line block ×4, first 2 shown]
	v_fma_f32 v39, 0x3fb8aa3b, v0, -v9
	v_rndne_f32_e32 v40, v9
	v_rndne_f32_e32 v42, v17
	v_fma_f32 v43, 0x3fb8aa3b, v11, -v18
	v_rndne_f32_e32 v44, v18
	v_rndne_f32_e32 v46, v19
	v_fma_f32 v47, 0x3fb8aa3b, v10, -v20
	v_rndne_f32_e32 v48, v20
	v_fma_f32 v49, 0x3fb8aa3b, v2, -v21
	v_fma_f32 v55, 0x3fb8aa3b, v13, -v24
	v_rndne_f32_e32 v56, v24
	v_rndne_f32_e32 v60, v26
	v_fma_f32 v63, 0x3fb8aa3b, v15, -v28
	v_rndne_f32_e32 v64, v28
	v_fma_f32 v41, 0x3fb8aa3b, v8, -v17
	v_fma_f32 v45, 0x3fb8aa3b, v1, -v19
	;; [unrolled: 1-line block ×3, first 2 shown]
	v_rndne_f32_e32 v52, v22
	v_fma_f32 v59, 0x3fb8aa3b, v14, -v26
	v_dual_sub_f32 v17, v17, v42 :: v_dual_sub_f32 v18, v18, v44
	v_dual_fmac_f32 v43, 0x32a5705f, v11 :: v_dual_sub_f32 v20, v20, v48
	v_fmac_f32_e32 v39, 0x32a5705f, v0
	v_dual_sub_f32 v19, v19, v46 :: v_dual_sub_f32 v24, v24, v56
	v_dual_fmac_f32 v47, 0x32a5705f, v10 :: v_dual_sub_f32 v26, v26, v60
	v_sub_f32_e32 v9, v9, v40
	v_dual_fmac_f32 v49, 0x32a5705f, v2 :: v_dual_sub_f32 v28, v28, v64
	v_fmac_f32_e32 v63, 0x32a5705f, v15
	v_fmac_f32_e32 v55, 0x32a5705f, v13
	v_dual_fmac_f32 v45, 0x32a5705f, v1 :: v_dual_sub_f32 v22, v22, v52
	v_add_f32_e32 v18, v18, v43
	v_add_f32_e32 v20, v20, v47
	;; [unrolled: 1-line block ×3, first 2 shown]
	v_dual_add_f32 v28, v28, v63 :: v_dual_fmac_f32 v51, 0x32a5705f, v12
	v_dual_add_f32 v24, v24, v55 :: v_dual_fmac_f32 v41, 0x32a5705f, v8
	s_delay_alu instid0(VALU_DEP_3) | instskip(SKIP_1) | instid1(VALU_DEP_3)
	v_exp_f32_e32 v9, v9
	v_cvt_i32_f32_e32 v40, v40
	v_add_f32_e32 v22, v22, v51
	v_cvt_i32_f32_e32 v42, v42
	v_add_f32_e32 v17, v17, v41
	v_exp_f32_e32 v18, v18
	v_cmp_ngt_f32_e32 vcc_lo, 0xc2ce8ed0, v0
	v_cvt_i32_f32_e32 v44, v44
	v_mul_f32_e32 v25, 0x3fb8aa3b, v4
	v_exp_f32_e32 v17, v17
	v_ldexp_f32 v9, v9, v40
	v_fma_f32 v53, 0x3fb8aa3b, v3, -v23
	v_add_f32_e32 v19, v19, v45
	v_mul_f32_e32 v29, 0x3fb8aa3b, v6
	v_dual_mul_f32 v27, 0x3fb8aa3b, v5 :: v_dual_mul_f32 v30, 0x3fb8aa3b, v16
	v_cndmask_b32_e32 v9, 0, v9, vcc_lo
	v_cmp_ngt_f32_e32 vcc_lo, 0xc2ce8ed0, v8
	v_ldexp_f32 v18, v18, v44
	s_delay_alu instid0(TRANS32_DEP_1)
	v_ldexp_f32 v17, v17, v42
	v_rndne_f32_e32 v58, v25
	v_exp_f32_e32 v19, v19
	v_rndne_f32_e32 v50, v21
	v_fma_f32 v57, 0x3fb8aa3b, v4, -v25
	v_cndmask_b32_e32 v17, 0, v17, vcc_lo
	v_cmp_ngt_f32_e32 vcc_lo, 0xc2ce8ed0, v11
	v_fmac_f32_e32 v53, 0x32a5705f, v3
	v_rndne_f32_e32 v62, v27
	v_cvt_i32_f32_e32 v46, v46
	v_fma_f32 v61, 0x3fb8aa3b, v5, -v27
	v_cndmask_b32_e32 v18, 0, v18, vcc_lo
	v_cmp_nlt_f32_e32 vcc_lo, 0x42b17218, v0
	v_sub_f32_e32 v25, v25, v58
	v_rndne_f32_e32 v68, v30
	v_sub_f32_e32 v21, v21, v50
	v_exp_f32_e32 v20, v20
	v_cndmask_b32_e32 v0, 0x7f800000, v9, vcc_lo
	v_cmp_nlt_f32_e32 vcc_lo, 0x42b17218, v8
	v_sub_f32_e32 v27, v27, v62
	v_ldexp_f32 v19, v19, v46
	v_fma_f32 v67, 0x3fb8aa3b, v16, -v30
	v_cvt_i32_f32_e32 v48, v48
	v_cndmask_b32_e32 v8, 0x7f800000, v17, vcc_lo
	v_cmp_ngt_f32_e32 vcc_lo, 0xc2ce8ed0, v1
	v_dual_sub_f32 v30, v30, v68 :: v_dual_add_f32 v21, v21, v49
	s_delay_alu instid0(VALU_DEP_4)
	v_ldexp_f32 v20, v20, v48
	v_rndne_f32_e32 v54, v23
	v_cndmask_b32_e32 v9, 0, v19, vcc_lo
	v_cmp_nlt_f32_e32 vcc_lo, 0x42b17218, v11
	v_exp_f32_e32 v21, v21
	v_cvt_i32_f32_e32 v50, v50
	v_exp_f32_e32 v22, v22
	v_add_f32_e32 v17, v0, v8
	v_cndmask_b32_e32 v11, 0x7f800000, v18, vcc_lo
	v_cmp_ngt_f32_e32 vcc_lo, 0xc2ce8ed0, v10
	v_fmac_f32_e32 v59, 0x32a5705f, v14
	v_cvt_i32_f32_e32 v52, v52
	v_rndne_f32_e32 v66, v29
	v_cvt_i32_f32_e32 v60, v60
	v_cndmask_b32_e32 v18, 0, v20, vcc_lo
	v_cmp_nlt_f32_e32 vcc_lo, 0x42b17218, v1
	v_dual_sub_f32 v23, v23, v54 :: v_dual_add_f32 v26, v26, v59
	v_ldexp_f32 v21, v21, v50
	v_ldexp_f32 v22, v22, v52
	v_cndmask_b32_e32 v1, 0x7f800000, v9, vcc_lo
	v_cmp_ngt_f32_e32 vcc_lo, 0xc2ce8ed0, v2
	v_add_f32_e32 v23, v23, v53
	v_add_f32_e32 v9, v17, v11
	v_exp_f32_e32 v26, v26
	v_cvt_i32_f32_e32 v54, v54
	v_cndmask_b32_e32 v17, 0, v21, vcc_lo
	v_cmp_nlt_f32_e32 vcc_lo, 0x42b17218, v10
	v_exp_f32_e32 v23, v23
	v_fma_f32 v65, 0x3fb8aa3b, v6, -v29
	v_exp_f32_e32 v24, v24
	v_cvt_i32_f32_e32 v56, v56
	v_cndmask_b32_e32 v10, 0x7f800000, v18, vcc_lo
	v_cmp_ngt_f32_e32 vcc_lo, 0xc2ce8ed0, v12
	v_fmac_f32_e32 v61, 0x32a5705f, v5
	v_ldexp_f32 v26, v26, v60
	v_fmac_f32_e32 v67, 0x32a5705f, v16
	v_dual_fmac_f32 v57, 0x32a5705f, v4 :: v_dual_cndmask_b32 v18, 0, v22
	v_cmp_nlt_f32_e32 vcc_lo, 0x42b17218, v2
	v_sub_f32_e32 v29, v29, v66
	v_ldexp_f32 v23, v23, v54
	s_delay_alu instid0(VALU_DEP_4)
	v_dual_add_f32 v30, v30, v67 :: v_dual_add_f32 v25, v25, v57
	v_cndmask_b32_e32 v2, 0x7f800000, v17, vcc_lo
	v_cmp_ngt_f32_e32 vcc_lo, 0xc2ce8ed0, v3
	v_ldexp_f32 v24, v24, v56
	v_cvt_i32_f32_e32 v58, v58
	v_exp_f32_e32 v25, v25
	v_add_f32_e32 v27, v27, v61
	v_cndmask_b32_e32 v17, 0, v23, vcc_lo
	v_cmp_nlt_f32_e32 vcc_lo, 0x42b17218, v12
	v_rndne_f32_e32 v70, v31
	v_cvt_i32_f32_e32 v62, v62
	v_exp_f32_e32 v27, v27
	v_fma_f32 v69, 0x3fb8aa3b, v7, -v31
	v_cndmask_b32_e32 v12, 0x7f800000, v18, vcc_lo
	v_cmp_ngt_f32_e32 vcc_lo, 0xc2ce8ed0, v13
	v_ldexp_f32 v25, v25, v58
	v_exp_f32_e32 v28, v28
	v_cvt_i32_f32_e32 v64, v64
	v_cvt_i32_f32_e32 v66, v66
	v_cndmask_b32_e32 v18, 0, v24, vcc_lo
	v_cmp_nlt_f32_e32 vcc_lo, 0x42b17218, v3
	v_ldexp_f32 v27, v27, v62
	v_exp_f32_e32 v30, v30
	v_cvt_i32_f32_e32 v68, v68
	v_lshlrev_b32_e32 v39, 3, v33
	v_cndmask_b32_e32 v3, 0x7f800000, v17, vcc_lo
	v_cmp_ngt_f32_e32 vcc_lo, 0xc2ce8ed0, v4
	v_ldexp_f32 v28, v28, v64
	v_cndmask_b32_e32 v17, 0, v25, vcc_lo
	v_cmp_nlt_f32_e32 vcc_lo, 0x42b17218, v13
	s_delay_alu instid0(TRANS32_DEP_1)
	v_ldexp_f32 v30, v30, v68
	v_cndmask_b32_e32 v13, 0x7f800000, v18, vcc_lo
	v_cmp_ngt_f32_e32 vcc_lo, 0xc2ce8ed0, v14
	v_cndmask_b32_e32 v18, 0, v26, vcc_lo
	v_cmp_nlt_f32_e32 vcc_lo, 0x42b17218, v4
	v_sub_f32_e32 v31, v31, v70
	v_cvt_i32_f32_e32 v70, v70
	v_cndmask_b32_e32 v4, 0x7f800000, v17, vcc_lo
	v_cmp_ngt_f32_e32 vcc_lo, 0xc2ce8ed0, v5
	v_cndmask_b32_e32 v17, 0, v27, vcc_lo
	v_cmp_nlt_f32_e32 vcc_lo, 0x42b17218, v14
	v_cndmask_b32_e32 v14, 0x7f800000, v18, vcc_lo
	v_cmp_ngt_f32_e32 vcc_lo, 0xc2ce8ed0, v15
	v_dual_fmac_f32 v65, 0x32a5705f, v6 :: v_dual_cndmask_b32 v18, 0, v28
	s_delay_alu instid0(VALU_DEP_1) | instskip(SKIP_1) | instid1(VALU_DEP_2)
	v_add_f32_e32 v29, v29, v65
	v_cmp_nlt_f32_e32 vcc_lo, 0x42b17218, v5
	v_exp_f32_e32 v29, v29
	v_cndmask_b32_e32 v5, 0x7f800000, v17, vcc_lo
	v_cmp_ngt_f32_e32 vcc_lo, 0xc2ce8ed0, v6
	s_waitcnt_depctr 0xfff
	v_ldexp_f32 v29, v29, v66
	s_delay_alu instid0(VALU_DEP_1)
	v_cndmask_b32_e32 v17, 0, v29, vcc_lo
	v_cmp_nlt_f32_e32 vcc_lo, 0x42b17218, v15
	v_cndmask_b32_e32 v15, 0x7f800000, v18, vcc_lo
	v_cmp_ngt_f32_e32 vcc_lo, 0xc2ce8ed0, v16
	v_dual_fmac_f32 v69, 0x32a5705f, v7 :: v_dual_cndmask_b32 v18, 0, v30
	v_cmp_nlt_f32_e32 vcc_lo, 0x42b17218, v6
	s_delay_alu instid0(VALU_DEP_2) | instskip(SKIP_2) | instid1(VALU_DEP_3)
	v_add_f32_e32 v31, v31, v69
	v_cndmask_b32_e32 v6, 0x7f800000, v17, vcc_lo
	v_add_f32_e32 v9, v9, v1
	v_exp_f32_e32 v31, v31
	v_cmp_ngt_f32_e32 vcc_lo, 0xc2ce8ed0, v7
	s_delay_alu instid0(VALU_DEP_2) | instskip(NEXT) | instid1(VALU_DEP_1)
	v_add_f32_e32 v9, v9, v10
	v_add_f32_e32 v9, v9, v2
	s_waitcnt_depctr 0xfff
	v_ldexp_f32 v31, v31, v70
	v_add_f32_e32 v9, v9, v12
	s_delay_alu instid0(VALU_DEP_2) | instskip(SKIP_1) | instid1(VALU_DEP_3)
	v_cndmask_b32_e32 v17, 0, v31, vcc_lo
	v_cmp_nlt_f32_e32 vcc_lo, 0x42b17218, v16
	v_dual_add_f32 v9, v9, v3 :: v_dual_cndmask_b32 v16, 0x7f800000, v18
	v_cmp_nlt_f32_e32 vcc_lo, 0x42b17218, v7
	s_delay_alu instid0(VALU_DEP_2) | instskip(SKIP_1) | instid1(VALU_DEP_2)
	v_add_f32_e32 v9, v9, v13
	v_cndmask_b32_e32 v7, 0x7f800000, v17, vcc_lo
	v_add_f32_e32 v9, v9, v4
	s_delay_alu instid0(VALU_DEP_1) | instskip(NEXT) | instid1(VALU_DEP_1)
	v_add_f32_e32 v9, v9, v14
	v_add_f32_e32 v9, v9, v5
	s_delay_alu instid0(VALU_DEP_1) | instskip(NEXT) | instid1(VALU_DEP_1)
	v_add_f32_e32 v9, v9, v15
	;; [unrolled: 3-line block ×3, first 2 shown]
	v_add_f32_e32 v9, v9, v7
	ds_bpermute_b32 v17, v34, v9
	s_waitcnt lgkmcnt(0)
	v_add_f32_e32 v9, v9, v17
	ds_bpermute_b32 v17, v35, v9
	s_waitcnt lgkmcnt(0)
	;; [unrolled: 3-line block ×5, first 2 shown]
	v_add_f32_e32 v9, v9, v17
	s_delay_alu instid0(VALU_DEP_1) | instskip(SKIP_1) | instid1(VALU_DEP_2)
	v_div_scale_f32 v17, null, v9, v9, 1.0
	v_div_scale_f32 v20, vcc_lo, 1.0, v9, 1.0
	v_rcp_f32_e32 v18, v17
	s_waitcnt_depctr 0xfff
	v_fma_f32 v19, -v17, v18, 1.0
	s_delay_alu instid0(VALU_DEP_1) | instskip(NEXT) | instid1(VALU_DEP_1)
	v_fmac_f32_e32 v18, v19, v18
	v_mul_f32_e32 v19, v20, v18
	s_delay_alu instid0(VALU_DEP_1) | instskip(NEXT) | instid1(VALU_DEP_1)
	v_fma_f32 v21, -v17, v19, v20
	v_fmac_f32_e32 v19, v21, v18
	s_delay_alu instid0(VALU_DEP_1) | instskip(NEXT) | instid1(VALU_DEP_1)
	v_fma_f32 v17, -v17, v19, v20
	v_div_fmas_f32 v17, v17, v18, v19
	s_delay_alu instid0(VALU_DEP_1) | instskip(NEXT) | instid1(VALU_DEP_1)
	v_div_fixup_f32 v9, v17, v9, 1.0
	v_mul_f32_e32 v0, v9, v0
	v_mul_f32_e32 v8, v9, v8
	;; [unrolled: 1-line block ×5, first 2 shown]
	v_cmp_class_f32_e64 vcc_lo, v0, 0x1f8
	v_mul_f32_e32 v17, v9, v1
	v_mul_f32_e32 v10, v9, v10
	;; [unrolled: 1-line block ×3, first 2 shown]
	v_dual_mul_f32 v19, v9, v3 :: v_dual_cndmask_b32 v0, 0, v0
	v_cmp_class_f32_e64 vcc_lo, v8, 0x1f8
	v_mul_f32_e32 v21, v9, v5
	v_mul_f32_e32 v13, v9, v13
	;; [unrolled: 1-line block ×4, first 2 shown]
	v_cndmask_b32_e32 v1, 0, v8, vcc_lo
	v_cmp_class_f32_e64 vcc_lo, v11, 0x1f8
	v_mul_f32_e32 v14, v9, v14
	v_mul_f32_e32 v15, v9, v15
	v_mul_f32_e32 v16, v9, v16
	v_cndmask_b32_e32 v2, 0, v11, vcc_lo
	v_cmp_class_f32_e64 vcc_lo, v17, 0x1f8
	v_cndmask_b32_e32 v3, 0, v17, vcc_lo
	v_cmp_class_f32_e64 vcc_lo, v10, 0x1f8
	;; [unrolled: 2-line block ×13, first 2 shown]
	v_cndmask_b32_e32 v15, 0, v23, vcc_lo
	s_cbranch_scc1 .LBB146_35
; %bb.4:
	v_lshlrev_b32_e32 v28, 2, v39
	s_clause 0x3
	global_load_b128 v[16:19], v28, s[2:3]
	global_load_b128 v[20:23], v28, s[2:3] offset:16
	global_load_b128 v[24:27], v28, s[2:3] offset:1024
	;; [unrolled: 1-line block ×3, first 2 shown]
	s_waitcnt vmcnt(3)
	v_dual_add_f32 v17, v17, v1 :: v_dual_add_f32 v16, v16, v0
	v_dual_add_f32 v19, v19, v3 :: v_dual_add_f32 v18, v18, v2
	s_waitcnt vmcnt(2)
	v_dual_add_f32 v21, v21, v5 :: v_dual_add_f32 v20, v20, v4
	v_dual_add_f32 v23, v23, v7 :: v_dual_add_f32 v22, v22, v6
	;; [unrolled: 3-line block ×4, first 2 shown]
	s_cbranch_execnz .LBB146_6
.LBB146_5:
	v_dual_mov_b32 v31, v15 :: v_dual_mov_b32 v30, v14
	v_dual_mov_b32 v29, v13 :: v_dual_mov_b32 v28, v12
	;; [unrolled: 1-line block ×8, first 2 shown]
.LBB146_6:
	s_load_b128 s[4:7], s[0:1], 0x30
	v_cmp_eq_u32_e64 s2, 0, v33
	s_waitcnt lgkmcnt(0)
	s_bitcmp1_b32 s7, 0
	s_mov_b32 s7, 0
	s_cselect_b32 vcc_lo, -1, 0
	s_cmp_gt_i32 s4, 0
	s_cselect_b32 s3, -1, 0
	s_cmp_lt_i32 s4, 1
	s_cbranch_scc1 .LBB146_36
; %bb.7:
	s_load_b128 s[8:11], s[0:1], 0x20
	v_mul_lo_u32 v41, v32, s4
	v_mov_b32_e32 v40, 0
	v_mov_b32_e32 v42, v32
	s_branch .LBB146_10
.LBB146_8:                              ;   in Loop: Header=BB146_10 Depth=1
	s_or_b32 exec_lo, exec_lo, s1
.LBB146_9:                              ;   in Loop: Header=BB146_10 Depth=1
	v_add_nc_u32_e32 v42, s14, v42
	s_cmp_eq_u32 s4, s7
	s_cbranch_scc1 .LBB146_37
.LBB146_10:                             ; =>This Inner Loop Header: Depth=1
	v_cmp_gt_f32_e64 s0, v17, v16
	s_mov_b32 s17, exec_lo
	s_delay_alu instid0(VALU_DEP_1) | instskip(SKIP_2) | instid1(VALU_DEP_3)
	v_cndmask_b32_e64 v43, v16, v17, s0
	v_cndmask_b32_e64 v44, 0, 1, s0
	;; [unrolled: 1-line block ×3, first 2 shown]
	v_cmp_gt_f32_e64 s1, v18, v43
	s_delay_alu instid0(VALU_DEP_1) | instskip(NEXT) | instid1(VALU_DEP_4)
	v_cndmask_b32_e64 v43, v43, v18, s1
	v_cndmask_b32_e64 v44, v44, 2, s1
	s_delay_alu instid0(VALU_DEP_4) | instskip(NEXT) | instid1(VALU_DEP_3)
	v_cndmask_b32_e64 v45, v45, v2, s1
	v_cmp_gt_f32_e64 s0, v19, v43
	s_delay_alu instid0(VALU_DEP_1) | instskip(NEXT) | instid1(VALU_DEP_4)
	v_cndmask_b32_e64 v43, v43, v19, s0
	v_cndmask_b32_e64 v44, v44, 3, s0
	s_delay_alu instid0(VALU_DEP_4) | instskip(NEXT) | instid1(VALU_DEP_3)
	v_cndmask_b32_e64 v45, v45, v3, s0
	;; [unrolled: 6-line block ×12, first 2 shown]
	v_cmp_gt_f32_e64 s1, v30, v43
	s_delay_alu instid0(VALU_DEP_1) | instskip(NEXT) | instid1(VALU_DEP_4)
	v_cndmask_b32_e64 v43, v43, v30, s1
	v_cndmask_b32_e64 v44, v44, 0x106, s1
	s_waitcnt lgkmcnt(0)
	v_cndmask_b32_e64 v46, v45, v14, s1
	s_delay_alu instid0(VALU_DEP_3) | instskip(NEXT) | instid1(VALU_DEP_1)
	v_cmp_gt_f32_e64 s0, v31, v43
	v_cndmask_b32_e64 v45, v43, v31, s0
	v_cndmask_b32_e64 v43, v44, 0x107, s0
	s_delay_alu instid0(VALU_DEP_4)
	v_cndmask_b32_e64 v44, v46, v15, s0
	ds_bpermute_b32 v46, v34, v45
	v_or_b32_e32 v43, v39, v43
	ds_bpermute_b32 v48, v34, v44
	ds_bpermute_b32 v47, v34, v43
	s_waitcnt lgkmcnt(0)
	v_cmp_lt_f32_e64 s16, v45, v46
	v_cmpx_nlt_f32_e32 v45, v46
; %bb.11:                               ;   in Loop: Header=BB146_10 Depth=1
	v_cmp_eq_f32_e64 s0, v45, v46
	v_cmp_lt_i32_e64 s1, v47, v43
	s_delay_alu instid0(VALU_DEP_1) | instskip(SKIP_2) | instid1(SALU_CYCLE_1)
	s_and_b32 s0, s0, s1
	s_and_not1_b32 s1, s16, exec_lo
	s_and_b32 s0, s0, exec_lo
	s_or_b32 s16, s1, s0
; %bb.12:                               ;   in Loop: Header=BB146_10 Depth=1
	s_or_b32 exec_lo, exec_lo, s17
	s_and_saveexec_b32 s0, s16
; %bb.13:                               ;   in Loop: Header=BB146_10 Depth=1
	v_dual_mov_b32 v44, v48 :: v_dual_mov_b32 v45, v46
	v_mov_b32_e32 v43, v47
; %bb.14:                               ;   in Loop: Header=BB146_10 Depth=1
	s_or_b32 exec_lo, exec_lo, s0
	ds_bpermute_b32 v47, v35, v45
	ds_bpermute_b32 v48, v35, v44
	;; [unrolled: 1-line block ×3, first 2 shown]
	s_mov_b32 s17, exec_lo
	s_waitcnt lgkmcnt(2)
	v_cmp_lt_f32_e64 s16, v45, v47
	v_cmpx_nlt_f32_e32 v45, v47
	s_cbranch_execz .LBB146_16
; %bb.15:                               ;   in Loop: Header=BB146_10 Depth=1
	v_cmp_eq_f32_e64 s0, v45, v47
	s_waitcnt lgkmcnt(0)
	v_cmp_lt_i32_e64 s1, v46, v43
	s_delay_alu instid0(VALU_DEP_1) | instskip(SKIP_2) | instid1(SALU_CYCLE_1)
	s_and_b32 s0, s0, s1
	s_and_not1_b32 s1, s16, exec_lo
	s_and_b32 s0, s0, exec_lo
	s_or_b32 s16, s1, s0
.LBB146_16:                             ;   in Loop: Header=BB146_10 Depth=1
	s_or_b32 exec_lo, exec_lo, s17
	s_delay_alu instid0(VALU_DEP_2)
	s_and_saveexec_b32 s0, s16
	s_cbranch_execz .LBB146_18
; %bb.17:                               ;   in Loop: Header=BB146_10 Depth=1
	s_waitcnt lgkmcnt(1)
	v_dual_mov_b32 v44, v48 :: v_dual_mov_b32 v45, v47
	s_waitcnt lgkmcnt(0)
	v_mov_b32_e32 v43, v46
.LBB146_18:                             ;   in Loop: Header=BB146_10 Depth=1
	s_or_b32 exec_lo, exec_lo, s0
	ds_bpermute_b32 v47, v36, v45
	s_waitcnt lgkmcnt(2)
	ds_bpermute_b32 v48, v36, v44
	s_waitcnt lgkmcnt(2)
	ds_bpermute_b32 v46, v36, v43
	s_mov_b32 s17, exec_lo
	s_waitcnt lgkmcnt(2)
	v_cmp_lt_f32_e64 s16, v45, v47
	v_cmpx_nlt_f32_e32 v45, v47
	s_cbranch_execz .LBB146_20
; %bb.19:                               ;   in Loop: Header=BB146_10 Depth=1
	v_cmp_eq_f32_e64 s0, v45, v47
	s_waitcnt lgkmcnt(0)
	v_cmp_lt_i32_e64 s1, v46, v43
	s_delay_alu instid0(VALU_DEP_1) | instskip(SKIP_2) | instid1(SALU_CYCLE_1)
	s_and_b32 s0, s0, s1
	s_and_not1_b32 s1, s16, exec_lo
	s_and_b32 s0, s0, exec_lo
	s_or_b32 s16, s1, s0
.LBB146_20:                             ;   in Loop: Header=BB146_10 Depth=1
	s_or_b32 exec_lo, exec_lo, s17
	s_delay_alu instid0(VALU_DEP_2)
	s_and_saveexec_b32 s0, s16
	s_cbranch_execz .LBB146_22
; %bb.21:                               ;   in Loop: Header=BB146_10 Depth=1
	s_waitcnt lgkmcnt(1)
	v_dual_mov_b32 v44, v48 :: v_dual_mov_b32 v45, v47
	s_waitcnt lgkmcnt(0)
	v_mov_b32_e32 v43, v46
.LBB146_22:                             ;   in Loop: Header=BB146_10 Depth=1
	s_or_b32 exec_lo, exec_lo, s0
	ds_bpermute_b32 v47, v37, v45
	s_waitcnt lgkmcnt(2)
	ds_bpermute_b32 v48, v37, v44
	s_waitcnt lgkmcnt(2)
	ds_bpermute_b32 v46, v37, v43
	s_mov_b32 s17, exec_lo
	s_waitcnt lgkmcnt(2)
	v_cmp_lt_f32_e64 s16, v45, v47
	v_cmpx_nlt_f32_e32 v45, v47
	s_cbranch_execz .LBB146_24
; %bb.23:                               ;   in Loop: Header=BB146_10 Depth=1
	v_cmp_eq_f32_e64 s0, v45, v47
	s_waitcnt lgkmcnt(0)
	v_cmp_lt_i32_e64 s1, v46, v43
	s_delay_alu instid0(VALU_DEP_1) | instskip(SKIP_2) | instid1(SALU_CYCLE_1)
	s_and_b32 s0, s0, s1
	s_and_not1_b32 s1, s16, exec_lo
	s_and_b32 s0, s0, exec_lo
	s_or_b32 s16, s1, s0
.LBB146_24:                             ;   in Loop: Header=BB146_10 Depth=1
	s_or_b32 exec_lo, exec_lo, s17
	s_delay_alu instid0(VALU_DEP_2)
	s_and_saveexec_b32 s0, s16
	s_cbranch_execz .LBB146_26
; %bb.25:                               ;   in Loop: Header=BB146_10 Depth=1
	s_waitcnt lgkmcnt(1)
	v_dual_mov_b32 v44, v48 :: v_dual_mov_b32 v45, v47
	s_waitcnt lgkmcnt(0)
	v_mov_b32_e32 v43, v46
.LBB146_26:                             ;   in Loop: Header=BB146_10 Depth=1
	s_or_b32 exec_lo, exec_lo, s0
	s_waitcnt lgkmcnt(1)
	ds_bpermute_b32 v48, v38, v45
	ds_bpermute_b32 v47, v38, v44
	s_waitcnt lgkmcnt(2)
	ds_bpermute_b32 v46, v38, v43
	s_mov_b32 s17, exec_lo
	s_waitcnt lgkmcnt(2)
	v_cmp_lt_f32_e64 s16, v45, v48
	v_cmpx_nlt_f32_e32 v45, v48
	s_cbranch_execnz .LBB146_30
; %bb.27:                               ;   in Loop: Header=BB146_10 Depth=1
	s_or_b32 exec_lo, exec_lo, s17
	s_delay_alu instid0(VALU_DEP_2)
	s_and_saveexec_b32 s0, s16
	s_cbranch_execnz .LBB146_31
.LBB146_28:                             ;   in Loop: Header=BB146_10 Depth=1
	s_or_b32 exec_lo, exec_lo, s0
	s_and_saveexec_b32 s16, s2
	s_cbranch_execnz .LBB146_32
.LBB146_29:                             ;   in Loop: Header=BB146_10 Depth=1
	s_or_b32 exec_lo, exec_lo, s16
	s_add_i32 s7, s7, 1
	s_delay_alu instid0(SALU_CYCLE_1)
	s_cmp_ge_i32 s7, s4
	s_cbranch_scc1 .LBB146_9
	s_branch .LBB146_33
.LBB146_30:                             ;   in Loop: Header=BB146_10 Depth=1
	v_cmp_eq_f32_e64 s0, v45, v48
	s_waitcnt lgkmcnt(0)
	v_cmp_lt_i32_e64 s1, v46, v43
	s_delay_alu instid0(VALU_DEP_1) | instskip(SKIP_2) | instid1(SALU_CYCLE_1)
	s_and_b32 s0, s0, s1
	s_and_not1_b32 s1, s16, exec_lo
	s_and_b32 s0, s0, exec_lo
	s_or_b32 s16, s1, s0
	s_or_b32 exec_lo, exec_lo, s17
	s_and_saveexec_b32 s0, s16
	s_cbranch_execz .LBB146_28
.LBB146_31:                             ;   in Loop: Header=BB146_10 Depth=1
	s_waitcnt lgkmcnt(0)
	v_dual_mov_b32 v44, v47 :: v_dual_mov_b32 v43, v46
	s_or_b32 exec_lo, exec_lo, s0
	s_and_saveexec_b32 s16, s2
	s_cbranch_execz .LBB146_29
.LBB146_32:                             ;   in Loop: Header=BB146_10 Depth=1
	s_delay_alu instid0(VALU_DEP_1)
	v_dual_add_f32 v52, v40, v44 :: v_dual_add_nc_u32 v45, s7, v41
	v_cmp_le_i32_e64 s0, s5, v43
	v_cmp_gt_i32_e64 s1, s6, v43
	s_waitcnt lgkmcnt(1)
	v_subrev_nc_u32_e32 v47, s5, v43
	s_waitcnt lgkmcnt(0)
	v_ashrrev_i32_e32 v46, 31, v45
	v_cndmask_b32_e32 v40, v40, v52, vcc_lo
	s_and_b32 s0, s0, s1
	s_delay_alu instid0(SALU_CYCLE_1) | instskip(NEXT) | instid1(VALU_DEP_2)
	s_and_b32 s0, s15, s0
	v_lshlrev_b64 v[45:46], 2, v[45:46]
	v_cndmask_b32_e64 v51, 0x200, v47, s0
	s_delay_alu instid0(VALU_DEP_2) | instskip(NEXT) | instid1(VALU_DEP_1)
	v_add_co_u32 v47, s0, s12, v45
	v_add_co_ci_u32_e64 v48, s0, s13, v46, s0
	v_add_co_u32 v49, s0, s8, v45
	s_delay_alu instid0(VALU_DEP_1) | instskip(SKIP_1) | instid1(VALU_DEP_1)
	v_add_co_ci_u32_e64 v50, s0, s9, v46, s0
	v_add_co_u32 v45, s0, s10, v45
	v_add_co_ci_u32_e64 v46, s0, s11, v46, s0
	global_store_b32 v[47:48], v44, off
	global_store_b32 v[49:50], v51, off
	;; [unrolled: 1-line block ×3, first 2 shown]
	s_or_b32 exec_lo, exec_lo, s16
	s_add_i32 s7, s7, 1
	s_delay_alu instid0(SALU_CYCLE_1)
	s_cmp_ge_i32 s7, s4
	s_cbranch_scc1 .LBB146_9
.LBB146_33:                             ;   in Loop: Header=BB146_10 Depth=1
	v_ashrrev_i32_e32 v44, 31, v43
	s_mov_b32 s1, exec_lo
	s_delay_alu instid0(VALU_DEP_1) | instskip(NEXT) | instid1(VALU_DEP_1)
	v_lshrrev_b32_e32 v45, 29, v44
	v_add_nc_u32_e32 v45, v43, v45
	s_waitcnt lgkmcnt(0)
	s_delay_alu instid0(VALU_DEP_1) | instskip(SKIP_1) | instid1(VALU_DEP_2)
	v_ashrrev_i32_e32 v46, 31, v45
	v_ashrrev_i32_e32 v45, 3, v45
	v_lshrrev_b32_e32 v46, 27, v46
	s_delay_alu instid0(VALU_DEP_1) | instskip(NEXT) | instid1(VALU_DEP_1)
	v_add_nc_u32_e32 v46, v45, v46
	v_and_b32_e32 v46, 0xffffffe0, v46
	s_delay_alu instid0(VALU_DEP_1) | instskip(NEXT) | instid1(VALU_DEP_1)
	v_sub_nc_u32_e32 v46, v45, v46
	v_cmpx_eq_u32_e64 v33, v46
	s_cbranch_execz .LBB146_8
; %bb.34:                               ;   in Loop: Header=BB146_10 Depth=1
	v_lshrrev_b32_e32 v44, 24, v44
	v_lshlrev_b32_e32 v45, 3, v45
	s_delay_alu instid0(VALU_DEP_2) | instskip(NEXT) | instid1(VALU_DEP_2)
	v_add_nc_u32_e32 v44, v43, v44
	v_sub_nc_u32_e32 v43, v43, v45
	s_delay_alu instid0(VALU_DEP_2) | instskip(NEXT) | instid1(VALU_DEP_1)
	v_ashrrev_i32_e32 v44, 8, v44
	v_lshl_add_u32 v43, v44, 3, v43
	s_delay_alu instid0(VALU_DEP_1) | instskip(NEXT) | instid1(VALU_DEP_1)
	v_cmp_ne_u32_e64 s0, 15, v43
	v_cndmask_b32_e64 v31, 0xc61c4000, v31, s0
	v_cmp_ne_u32_e64 s0, 14, v43
	s_delay_alu instid0(VALU_DEP_1) | instskip(SKIP_1) | instid1(VALU_DEP_1)
	v_cndmask_b32_e64 v30, 0xc61c4000, v30, s0
	v_cmp_ne_u32_e64 s0, 13, v43
	v_cndmask_b32_e64 v29, 0xc61c4000, v29, s0
	v_cmp_ne_u32_e64 s0, 12, v43
	s_delay_alu instid0(VALU_DEP_1) | instskip(SKIP_1) | instid1(VALU_DEP_1)
	v_cndmask_b32_e64 v28, 0xc61c4000, v28, s0
	;; [unrolled: 5-line block ×7, first 2 shown]
	v_cmp_ne_u32_e64 s0, 1, v43
	v_cndmask_b32_e64 v17, 0xc61c4000, v17, s0
	v_cmp_ne_u32_e64 s0, 0, v43
	s_delay_alu instid0(VALU_DEP_1)
	v_cndmask_b32_e64 v16, 0xc61c4000, v16, s0
	s_branch .LBB146_8
.LBB146_35:
                                        ; implicit-def: $vgpr16_vgpr17_vgpr18_vgpr19_vgpr20_vgpr21_vgpr22_vgpr23_vgpr24_vgpr25_vgpr26_vgpr27_vgpr28_vgpr29_vgpr30_vgpr31
	s_and_not1_b32 vcc_lo, exec_lo, s8
	s_cbranch_vccz .LBB146_5
	s_branch .LBB146_6
.LBB146_36:
	v_mov_b32_e32 v40, 0
.LBB146_37:
	v_cmp_eq_u32_e64 s0, 0, v33
	s_delay_alu instid0(VALU_DEP_1) | instskip(NEXT) | instid1(SALU_CYCLE_1)
	s_and_b32 s0, s0, vcc_lo
	s_and_b32 exec_lo, exec_lo, s0
	s_cbranch_execz .LBB146_41
; %bb.38:
	s_and_not1_b32 vcc_lo, exec_lo, s3
	s_cbranch_vccnz .LBB146_41
; %bb.39:
	v_mul_lo_u32 v0, v32, s4
	v_cmp_lt_f32_e32 vcc_lo, 0, v40
	v_cndmask_b32_e32 v2, 1.0, v40, vcc_lo
	s_delay_alu instid0(VALU_DEP_3) | instskip(NEXT) | instid1(VALU_DEP_1)
	v_ashrrev_i32_e32 v1, 31, v0
	v_lshlrev_b64 v[0:1], 2, v[0:1]
	s_delay_alu instid0(VALU_DEP_1) | instskip(NEXT) | instid1(VALU_DEP_2)
	v_add_co_u32 v0, vcc_lo, s12, v0
	v_add_co_ci_u32_e32 v1, vcc_lo, s13, v1, vcc_lo
	.p2align	6
.LBB146_40:                             ; =>This Inner Loop Header: Depth=1
	global_load_b32 v3, v[0:1], off
	s_add_i32 s4, s4, -1
	s_delay_alu instid0(SALU_CYCLE_1) | instskip(SKIP_3) | instid1(VALU_DEP_2)
	s_cmp_lg_u32 s4, 0
	s_waitcnt vmcnt(0)
	v_div_scale_f32 v4, null, v2, v2, v3
	v_div_scale_f32 v7, vcc_lo, v3, v2, v3
	v_rcp_f32_e32 v5, v4
	s_waitcnt_depctr 0xfff
	v_fma_f32 v6, -v4, v5, 1.0
	s_delay_alu instid0(VALU_DEP_1) | instskip(NEXT) | instid1(VALU_DEP_1)
	v_fmac_f32_e32 v5, v6, v5
	v_mul_f32_e32 v6, v7, v5
	s_delay_alu instid0(VALU_DEP_1) | instskip(NEXT) | instid1(VALU_DEP_1)
	v_fma_f32 v8, -v4, v6, v7
	v_fmac_f32_e32 v6, v8, v5
	s_delay_alu instid0(VALU_DEP_1) | instskip(NEXT) | instid1(VALU_DEP_1)
	v_fma_f32 v4, -v4, v6, v7
	v_div_fmas_f32 v4, v4, v5, v6
	s_delay_alu instid0(VALU_DEP_1)
	v_div_fixup_f32 v3, v4, v2, v3
	global_store_b32 v[0:1], v3, off
	v_add_co_u32 v0, vcc_lo, v0, 4
	v_add_co_ci_u32_e32 v1, vcc_lo, 0, v1, vcc_lo
	s_cbranch_scc1 .LBB146_40
.LBB146_41:
	s_nop 0
	s_sendmsg sendmsg(MSG_DEALLOC_VGPRS)
	s_endpgm
	.section	.rodata,"a",@progbits
	.p2align	6, 0x0
	.amdhsa_kernel _ZN4vllm3moe10topkGatingILi16ELi512ELi4ELi16ELi32Ei14__hip_bfloat16LNS0_11ScoringFuncE0EEEvPKT5_PKbPfiPT4_PiiiibPKf
		.amdhsa_group_segment_fixed_size 0
		.amdhsa_private_segment_fixed_size 0
		.amdhsa_kernarg_size 72
		.amdhsa_user_sgpr_count 15
		.amdhsa_user_sgpr_dispatch_ptr 0
		.amdhsa_user_sgpr_queue_ptr 0
		.amdhsa_user_sgpr_kernarg_segment_ptr 1
		.amdhsa_user_sgpr_dispatch_id 0
		.amdhsa_user_sgpr_private_segment_size 0
		.amdhsa_wavefront_size32 1
		.amdhsa_uses_dynamic_stack 0
		.amdhsa_enable_private_segment 0
		.amdhsa_system_sgpr_workgroup_id_x 1
		.amdhsa_system_sgpr_workgroup_id_y 0
		.amdhsa_system_sgpr_workgroup_id_z 0
		.amdhsa_system_sgpr_workgroup_info 0
		.amdhsa_system_vgpr_workitem_id 1
		.amdhsa_next_free_vgpr 71
		.amdhsa_next_free_sgpr 18
		.amdhsa_reserve_vcc 1
		.amdhsa_float_round_mode_32 0
		.amdhsa_float_round_mode_16_64 0
		.amdhsa_float_denorm_mode_32 3
		.amdhsa_float_denorm_mode_16_64 3
		.amdhsa_dx10_clamp 1
		.amdhsa_ieee_mode 1
		.amdhsa_fp16_overflow 0
		.amdhsa_workgroup_processor_mode 1
		.amdhsa_memory_ordered 1
		.amdhsa_forward_progress 0
		.amdhsa_shared_vgpr_count 0
		.amdhsa_exception_fp_ieee_invalid_op 0
		.amdhsa_exception_fp_denorm_src 0
		.amdhsa_exception_fp_ieee_div_zero 0
		.amdhsa_exception_fp_ieee_overflow 0
		.amdhsa_exception_fp_ieee_underflow 0
		.amdhsa_exception_fp_ieee_inexact 0
		.amdhsa_exception_int_div_zero 0
	.end_amdhsa_kernel
	.section	.text._ZN4vllm3moe10topkGatingILi16ELi512ELi4ELi16ELi32Ei14__hip_bfloat16LNS0_11ScoringFuncE0EEEvPKT5_PKbPfiPT4_PiiiibPKf,"axG",@progbits,_ZN4vllm3moe10topkGatingILi16ELi512ELi4ELi16ELi32Ei14__hip_bfloat16LNS0_11ScoringFuncE0EEEvPKT5_PKbPfiPT4_PiiiibPKf,comdat
.Lfunc_end146:
	.size	_ZN4vllm3moe10topkGatingILi16ELi512ELi4ELi16ELi32Ei14__hip_bfloat16LNS0_11ScoringFuncE0EEEvPKT5_PKbPfiPT4_PiiiibPKf, .Lfunc_end146-_ZN4vllm3moe10topkGatingILi16ELi512ELi4ELi16ELi32Ei14__hip_bfloat16LNS0_11ScoringFuncE0EEEvPKT5_PKbPfiPT4_PiiiibPKf
                                        ; -- End function
	.section	.AMDGPU.csdata,"",@progbits
; Kernel info:
; codeLenInByte = 5176
; NumSgprs: 20
; NumVgprs: 71
; ScratchSize: 0
; MemoryBound: 0
; FloatMode: 240
; IeeeMode: 1
; LDSByteSize: 0 bytes/workgroup (compile time only)
; SGPRBlocks: 2
; VGPRBlocks: 8
; NumSGPRsForWavesPerEU: 20
; NumVGPRsForWavesPerEU: 71
; Occupancy: 16
; WaveLimiterHint : 1
; COMPUTE_PGM_RSRC2:SCRATCH_EN: 0
; COMPUTE_PGM_RSRC2:USER_SGPR: 15
; COMPUTE_PGM_RSRC2:TRAP_HANDLER: 0
; COMPUTE_PGM_RSRC2:TGID_X_EN: 1
; COMPUTE_PGM_RSRC2:TGID_Y_EN: 0
; COMPUTE_PGM_RSRC2:TGID_Z_EN: 0
; COMPUTE_PGM_RSRC2:TIDIG_COMP_CNT: 1
	.section	.text._ZN4vllm3moe10moeSoftmaxILi256E14__hip_bfloat16EEvPKT0_PKbPfi,"axG",@progbits,_ZN4vllm3moe10moeSoftmaxILi256E14__hip_bfloat16EEvPKT0_PKbPfi,comdat
	.protected	_ZN4vllm3moe10moeSoftmaxILi256E14__hip_bfloat16EEvPKT0_PKbPfi ; -- Begin function _ZN4vllm3moe10moeSoftmaxILi256E14__hip_bfloat16EEvPKT0_PKbPfi
	.globl	_ZN4vllm3moe10moeSoftmaxILi256E14__hip_bfloat16EEvPKT0_PKbPfi
	.p2align	8
	.type	_ZN4vllm3moe10moeSoftmaxILi256E14__hip_bfloat16EEvPKT0_PKbPfi,@function
_ZN4vllm3moe10moeSoftmaxILi256E14__hip_bfloat16EEvPKT0_PKbPfi: ; @_ZN4vllm3moe10moeSoftmaxILi256E14__hip_bfloat16EEvPKT0_PKbPfi
; %bb.0:
	s_load_b128 s[8:11], s[0:1], 0x0
	s_waitcnt lgkmcnt(0)
	s_cmp_eq_u64 s[10:11], 0
	s_cselect_b32 s2, -1, 0
	s_delay_alu instid0(SALU_CYCLE_1)
	s_and_b32 vcc_lo, exec_lo, s2
	s_cbranch_vccnz .LBB147_2
; %bb.1:
	v_mov_b32_e32 v1, s15
	global_load_u8 v1, v1, s[10:11]
	s_waitcnt vmcnt(0)
	v_and_b32_e32 v1, 1, v1
	s_delay_alu instid0(VALU_DEP_1)
	v_cmp_eq_u32_e32 vcc_lo, 1, v1
	s_xor_b32 s2, vcc_lo, -1
.LBB147_2:
	s_delay_alu instid0(SALU_CYCLE_1)
	s_and_not1_b32 vcc_lo, exec_lo, s2
	s_cbranch_vccnz .LBB147_26
; %bb.3:
	s_clause 0x1
	s_load_b32 s5, s[0:1], 0x18
	s_load_b64 s[6:7], s[0:1], 0x10
	v_mov_b32_e32 v5, 0xff7fffff
	s_waitcnt lgkmcnt(0)
	s_mul_i32 s15, s15, s5
	v_cmp_gt_i32_e64 s0, s5, v0
	v_add_nc_u32_e32 v1, s15, v0
	s_delay_alu instid0(VALU_DEP_1) | instskip(NEXT) | instid1(VALU_DEP_3)
	v_ashrrev_i32_e32 v2, 31, v1
	s_and_saveexec_b32 s2, s0
	s_cbranch_execz .LBB147_7
; %bb.4:
	s_delay_alu instid0(VALU_DEP_1) | instskip(SKIP_2) | instid1(VALU_DEP_2)
	v_lshlrev_b64 v[3:4], 1, v[1:2]
	v_dual_mov_b32 v5, 0xff7fffff :: v_dual_mov_b32 v6, v0
	s_mov_b32 s3, 0
	v_add_co_u32 v3, vcc_lo, s8, v3
	s_delay_alu instid0(VALU_DEP_3)
	v_add_co_ci_u32_e32 v4, vcc_lo, s9, v4, vcc_lo
	.p2align	6
.LBB147_5:                              ; =>This Inner Loop Header: Depth=1
	global_load_u16 v7, v[3:4], off
	v_dual_max_f32 v5, v5, v5 :: v_dual_add_nc_u32 v6, 0x100, v6
	v_add_co_u32 v3, vcc_lo, 0x200, v3
	v_add_co_ci_u32_e32 v4, vcc_lo, 0, v4, vcc_lo
	s_delay_alu instid0(VALU_DEP_3) | instskip(NEXT) | instid1(VALU_DEP_1)
	v_cmp_le_i32_e64 s1, s5, v6
	s_or_b32 s3, s1, s3
	s_waitcnt vmcnt(0)
	v_lshlrev_b32_e32 v7, 16, v7
	s_delay_alu instid0(VALU_DEP_1) | instskip(NEXT) | instid1(VALU_DEP_1)
	v_max_f32_e32 v7, v7, v7
	v_max_f32_e32 v5, v7, v5
	s_and_not1_b32 exec_lo, exec_lo, s3
	s_cbranch_execnz .LBB147_5
; %bb.6:
	s_or_b32 exec_lo, exec_lo, s3
.LBB147_7:
	s_delay_alu instid0(SALU_CYCLE_1) | instskip(SKIP_2) | instid1(VALU_DEP_2)
	s_or_b32 exec_lo, exec_lo, s2
	v_mov_b32_dpp v3, v5 quad_perm:[1,0,3,2] row_mask:0xf bank_mask:0xf
	v_lshrrev_b32_e32 v7, 3, v0
	v_cmp_gt_f32_e32 vcc_lo, v5, v3
	v_cndmask_b32_e32 v3, v3, v5, vcc_lo
	v_mbcnt_lo_u32_b32 v5, -1, 0
	s_delay_alu instid0(VALU_DEP_2) | instskip(NEXT) | instid1(VALU_DEP_1)
	v_mov_b32_dpp v4, v3 quad_perm:[2,3,0,1] row_mask:0xf bank_mask:0xf
	v_cmp_gt_f32_e32 vcc_lo, v3, v4
	v_cndmask_b32_e32 v3, v4, v3, vcc_lo
	s_delay_alu instid0(VALU_DEP_1) | instskip(NEXT) | instid1(VALU_DEP_1)
	v_mov_b32_dpp v4, v3 row_ror:4 row_mask:0xf bank_mask:0xf
	v_cmp_gt_f32_e32 vcc_lo, v3, v4
	v_cndmask_b32_e32 v3, v4, v3, vcc_lo
	s_delay_alu instid0(VALU_DEP_1) | instskip(NEXT) | instid1(VALU_DEP_1)
	v_mov_b32_dpp v4, v3 row_ror:8 row_mask:0xf bank_mask:0xf
	v_cmp_gt_f32_e32 vcc_lo, v3, v4
	v_cndmask_b32_e32 v3, v4, v3, vcc_lo
	ds_swizzle_b32 v4, v3 offset:swizzle(BROADCAST,32,15)
	s_waitcnt lgkmcnt(0)
	v_cmp_gt_f32_e32 vcc_lo, v3, v4
	v_dual_cndmask_b32 v3, v4, v3 :: v_dual_mov_b32 v4, 0
	v_cmp_eq_u32_e32 vcc_lo, 0, v5
	ds_bpermute_b32 v3, v4, v3 offset:124
	s_and_saveexec_b32 s1, vcc_lo
	s_cbranch_execz .LBB147_9
; %bb.8:
	v_and_b32_e32 v4, 28, v7
	s_waitcnt lgkmcnt(0)
	ds_store_b32 v4, v3
.LBB147_9:
	s_or_b32 exec_lo, exec_lo, s1
	v_cmp_gt_u32_e64 s1, 32, v0
	v_and_b32_e32 v6, 7, v5
	s_waitcnt lgkmcnt(0)
	s_barrier
	buffer_gl0_inv
	s_and_saveexec_b32 s3, s1
	s_cbranch_execz .LBB147_11
; %bb.10:
	v_lshlrev_b32_e32 v3, 2, v6
	v_cmp_ne_u32_e64 s2, 7, v6
	ds_load_b32 v3, v3
	v_add_co_ci_u32_e64 v4, s2, 0, v5, s2
	v_cmp_gt_u32_e64 s2, 6, v6
	s_delay_alu instid0(VALU_DEP_2) | instskip(NEXT) | instid1(VALU_DEP_2)
	v_lshlrev_b32_e32 v4, 2, v4
	v_cndmask_b32_e64 v8, 0, 1, s2
	s_delay_alu instid0(VALU_DEP_1) | instskip(NEXT) | instid1(VALU_DEP_1)
	v_lshlrev_b32_e32 v8, 1, v8
	v_add_lshl_u32 v8, v8, v5, 2
	s_waitcnt lgkmcnt(0)
	ds_bpermute_b32 v4, v4, v3
	s_waitcnt lgkmcnt(0)
	v_cmp_lt_f32_e64 s2, v3, v4
	s_delay_alu instid0(VALU_DEP_1) | instskip(SKIP_3) | instid1(VALU_DEP_1)
	v_cndmask_b32_e64 v3, v3, v4, s2
	v_cmp_gt_u32_e64 s2, 4, v6
	ds_bpermute_b32 v4, v8, v3
	v_cndmask_b32_e64 v8, 0, 1, s2
	v_lshlrev_b32_e32 v8, 2, v8
	s_delay_alu instid0(VALU_DEP_1) | instskip(SKIP_2) | instid1(VALU_DEP_1)
	v_add_lshl_u32 v8, v8, v5, 2
	s_waitcnt lgkmcnt(0)
	v_cmp_lt_f32_e64 s2, v3, v4
	v_cndmask_b32_e64 v3, v3, v4, s2
	ds_bpermute_b32 v4, v8, v3
	s_waitcnt lgkmcnt(0)
	v_cmp_lt_f32_e64 s2, v3, v4
	s_delay_alu instid0(VALU_DEP_1)
	v_cndmask_b32_e64 v3, v3, v4, s2
.LBB147_11:
	s_or_b32 exec_lo, exec_lo, s3
	v_cmp_eq_u32_e64 s2, 0, v0
	s_delay_alu instid0(VALU_DEP_1)
	s_and_saveexec_b32 s3, s2
	s_cbranch_execz .LBB147_13
; %bb.12:
	v_mov_b32_e32 v4, 0
	ds_store_b32 v4, v3 offset:36
.LBB147_13:
	s_or_b32 exec_lo, exec_lo, s3
	v_mov_b32_e32 v8, 0
	s_waitcnt lgkmcnt(0)
	s_barrier
	buffer_gl0_inv
	s_and_saveexec_b32 s10, s0
	s_cbranch_execz .LBB147_17
; %bb.14:
	v_mov_b32_e32 v8, 0
	v_lshlrev_b64 v[3:4], 1, v[1:2]
	v_mov_b32_e32 v10, v0
	s_mov_b32 s11, 0
	ds_load_b32 v9, v8 offset:36
	v_add_co_u32 v3, s3, s8, v3
	s_delay_alu instid0(VALU_DEP_1)
	v_add_co_ci_u32_e64 v4, s3, s9, v4, s3
	s_set_inst_prefetch_distance 0x1
	.p2align	6
.LBB147_15:                             ; =>This Inner Loop Header: Depth=1
	global_load_u16 v11, v[3:4], off
	v_add_nc_u32_e32 v10, 0x100, v10
	s_delay_alu instid0(VALU_DEP_1) | instskip(NEXT) | instid1(VALU_DEP_1)
	v_cmp_le_i32_e64 s4, s5, v10
	s_or_b32 s11, s4, s11
	s_waitcnt vmcnt(0)
	v_lshlrev_b32_e32 v11, 16, v11
	s_waitcnt lgkmcnt(0)
	s_delay_alu instid0(VALU_DEP_1) | instskip(NEXT) | instid1(VALU_DEP_1)
	v_sub_f32_e32 v11, v11, v9
	v_mul_f32_e32 v12, 0x3fb8aa3b, v11
	v_cmp_ngt_f32_e64 s3, 0xc2ce8ed0, v11
	s_delay_alu instid0(VALU_DEP_2) | instskip(SKIP_1) | instid1(VALU_DEP_1)
	v_fma_f32 v13, 0x3fb8aa3b, v11, -v12
	v_rndne_f32_e32 v14, v12
	v_dual_fmac_f32 v13, 0x32a5705f, v11 :: v_dual_sub_f32 v12, v12, v14
	s_delay_alu instid0(VALU_DEP_1) | instskip(SKIP_1) | instid1(VALU_DEP_2)
	v_add_f32_e32 v12, v12, v13
	v_cvt_i32_f32_e32 v13, v14
	v_exp_f32_e32 v12, v12
	s_waitcnt_depctr 0xfff
	v_ldexp_f32 v12, v12, v13
	s_delay_alu instid0(VALU_DEP_1) | instskip(SKIP_1) | instid1(VALU_DEP_1)
	v_cndmask_b32_e64 v12, 0, v12, s3
	v_cmp_nlt_f32_e64 s3, 0x42b17218, v11
	v_cndmask_b32_e64 v11, 0x7f800000, v12, s3
	v_add_co_u32 v3, s3, 0x200, v3
	s_delay_alu instid0(VALU_DEP_1) | instskip(NEXT) | instid1(VALU_DEP_3)
	v_add_co_ci_u32_e64 v4, s3, 0, v4, s3
	v_add_f32_e32 v8, v8, v11
	s_and_not1_b32 exec_lo, exec_lo, s11
	s_cbranch_execnz .LBB147_15
; %bb.16:
	s_set_inst_prefetch_distance 0x2
	s_or_b32 exec_lo, exec_lo, s11
.LBB147_17:
	s_delay_alu instid0(SALU_CYCLE_1) | instskip(SKIP_1) | instid1(VALU_DEP_1)
	s_or_b32 exec_lo, exec_lo, s10
	v_mov_b32_dpp v4, v8 quad_perm:[1,0,3,2] row_mask:0xf bank_mask:0xf
	v_dual_mov_b32 v3, 0x7c :: v_dual_add_f32 v4, v8, v4
	s_delay_alu instid0(VALU_DEP_1) | instskip(NEXT) | instid1(VALU_DEP_1)
	v_mov_b32_dpp v8, v4 quad_perm:[2,3,0,1] row_mask:0xf bank_mask:0xf
	v_add_f32_e32 v4, v4, v8
	s_delay_alu instid0(VALU_DEP_1) | instskip(NEXT) | instid1(VALU_DEP_1)
	v_mov_b32_dpp v8, v4 row_ror:4 row_mask:0xf bank_mask:0xf
	v_add_f32_e32 v4, v4, v8
	s_delay_alu instid0(VALU_DEP_1) | instskip(NEXT) | instid1(VALU_DEP_1)
	v_mov_b32_dpp v8, v4 row_ror:8 row_mask:0xf bank_mask:0xf
	v_add_f32_e32 v4, v4, v8
	ds_swizzle_b32 v8, v4 offset:swizzle(BROADCAST,32,15)
	s_waitcnt lgkmcnt(0)
	v_add_f32_e32 v4, v4, v8
	ds_bpermute_b32 v3, v3, v4
	s_and_saveexec_b32 s3, vcc_lo
	s_cbranch_execz .LBB147_19
; %bb.18:
	v_and_b32_e32 v4, 28, v7
	s_waitcnt lgkmcnt(0)
	ds_store_b32 v4, v3
.LBB147_19:
	s_or_b32 exec_lo, exec_lo, s3
	s_waitcnt lgkmcnt(0)
	s_barrier
	buffer_gl0_inv
	s_and_saveexec_b32 s3, s1
	s_cbranch_execz .LBB147_21
; %bb.20:
	v_lshlrev_b32_e32 v3, 2, v6
	v_cmp_ne_u32_e32 vcc_lo, 7, v6
	ds_load_b32 v3, v3
	v_add_co_ci_u32_e32 v4, vcc_lo, 0, v5, vcc_lo
	v_cmp_gt_u32_e32 vcc_lo, 6, v6
	s_delay_alu instid0(VALU_DEP_2) | instskip(SKIP_2) | instid1(VALU_DEP_2)
	v_lshlrev_b32_e32 v4, 2, v4
	v_cndmask_b32_e64 v7, 0, 1, vcc_lo
	v_cmp_gt_u32_e32 vcc_lo, 4, v6
	v_lshlrev_b32_e32 v7, 1, v7
	v_cndmask_b32_e64 v6, 0, 1, vcc_lo
	s_delay_alu instid0(VALU_DEP_2) | instskip(NEXT) | instid1(VALU_DEP_2)
	v_add_lshl_u32 v7, v7, v5, 2
	v_lshlrev_b32_e32 v6, 2, v6
	s_waitcnt lgkmcnt(0)
	ds_bpermute_b32 v4, v4, v3
	s_waitcnt lgkmcnt(0)
	v_add_f32_e32 v3, v3, v4
	ds_bpermute_b32 v4, v7, v3
	s_waitcnt lgkmcnt(0)
	v_add_f32_e32 v3, v3, v4
	v_add_lshl_u32 v4, v6, v5, 2
	ds_bpermute_b32 v4, v4, v3
	s_waitcnt lgkmcnt(0)
	v_add_f32_e32 v3, v3, v4
.LBB147_21:
	s_or_b32 exec_lo, exec_lo, s3
	s_and_saveexec_b32 s1, s2
	s_cbranch_execz .LBB147_23
; %bb.22:
	s_delay_alu instid0(VALU_DEP_1) | instskip(SKIP_1) | instid1(VALU_DEP_2)
	v_div_scale_f32 v4, null, v3, v3, 1.0
	v_div_scale_f32 v7, vcc_lo, 1.0, v3, 1.0
	v_rcp_f32_e32 v5, v4
	s_waitcnt_depctr 0xfff
	v_fma_f32 v6, -v4, v5, 1.0
	s_delay_alu instid0(VALU_DEP_1) | instskip(NEXT) | instid1(VALU_DEP_1)
	v_fmac_f32_e32 v5, v6, v5
	v_mul_f32_e32 v6, v7, v5
	s_delay_alu instid0(VALU_DEP_1) | instskip(NEXT) | instid1(VALU_DEP_1)
	v_fma_f32 v8, -v4, v6, v7
	v_fmac_f32_e32 v6, v8, v5
	s_delay_alu instid0(VALU_DEP_1) | instskip(NEXT) | instid1(VALU_DEP_1)
	v_fma_f32 v4, -v4, v6, v7
	v_div_fmas_f32 v4, v4, v5, v6
	s_delay_alu instid0(VALU_DEP_1)
	v_div_fixup_f32 v3, v4, v3, 1.0
	v_mov_b32_e32 v4, 0
	ds_store_b32 v4, v3 offset:32
.LBB147_23:
	s_or_b32 exec_lo, exec_lo, s1
	s_waitcnt lgkmcnt(0)
	s_barrier
	buffer_gl0_inv
	s_and_saveexec_b32 s1, s0
	s_cbranch_execz .LBB147_26
; %bb.24:
	v_mov_b32_e32 v3, 0
	v_lshlrev_b64 v[5:6], 1, v[1:2]
	v_lshlrev_b64 v[7:8], 2, v[1:2]
	s_mov_b32 s1, 0
	ds_load_b64 v[3:4], v3 offset:32
	v_add_co_u32 v1, vcc_lo, s8, v5
	v_add_co_ci_u32_e32 v2, vcc_lo, s9, v6, vcc_lo
	v_add_co_u32 v5, vcc_lo, s6, v7
	v_add_co_ci_u32_e32 v6, vcc_lo, s7, v8, vcc_lo
.LBB147_25:                             ; =>This Inner Loop Header: Depth=1
	global_load_u16 v7, v[1:2], off
	v_add_co_u32 v1, vcc_lo, 0x200, v1
	v_add_co_ci_u32_e32 v2, vcc_lo, 0, v2, vcc_lo
	s_waitcnt vmcnt(0)
	v_lshlrev_b32_e32 v7, 16, v7
	s_waitcnt lgkmcnt(0)
	s_delay_alu instid0(VALU_DEP_1) | instskip(NEXT) | instid1(VALU_DEP_1)
	v_sub_f32_e32 v7, v7, v4
	v_mul_f32_e32 v8, 0x3fb8aa3b, v7
	s_delay_alu instid0(VALU_DEP_1) | instskip(SKIP_1) | instid1(VALU_DEP_1)
	v_fma_f32 v9, 0x3fb8aa3b, v7, -v8
	v_rndne_f32_e32 v10, v8
	v_dual_fmac_f32 v9, 0x32a5705f, v7 :: v_dual_sub_f32 v8, v8, v10
	s_delay_alu instid0(VALU_DEP_1) | instskip(SKIP_2) | instid1(VALU_DEP_3)
	v_add_f32_e32 v8, v8, v9
	v_cvt_i32_f32_e32 v9, v10
	v_cmp_ngt_f32_e64 s0, 0xc2ce8ed0, v7
	v_exp_f32_e32 v8, v8
	s_waitcnt_depctr 0xfff
	v_ldexp_f32 v8, v8, v9
	s_delay_alu instid0(VALU_DEP_1) | instskip(SKIP_1) | instid1(VALU_DEP_1)
	v_cndmask_b32_e64 v8, 0, v8, s0
	v_cmp_nlt_f32_e64 s0, 0x42b17218, v7
	v_cndmask_b32_e64 v7, 0x7f800000, v8, s0
	s_delay_alu instid0(VALU_DEP_1) | instskip(NEXT) | instid1(VALU_DEP_1)
	v_dual_mul_f32 v7, v3, v7 :: v_dual_add_nc_u32 v0, 0x100, v0
	v_cmp_le_i32_e32 vcc_lo, s5, v0
	s_delay_alu instid0(VALU_DEP_2) | instskip(SKIP_1) | instid1(VALU_DEP_1)
	v_cmp_class_f32_e64 s0, v7, 0x1f8
	s_or_b32 s1, vcc_lo, s1
	v_cndmask_b32_e64 v7, 0, v7, s0
	global_store_b32 v[5:6], v7, off
	v_add_co_u32 v5, s0, 0x400, v5
	s_delay_alu instid0(VALU_DEP_1)
	v_add_co_ci_u32_e64 v6, s0, 0, v6, s0
	s_and_not1_b32 exec_lo, exec_lo, s1
	s_cbranch_execnz .LBB147_25
.LBB147_26:
	s_nop 0
	s_sendmsg sendmsg(MSG_DEALLOC_VGPRS)
	s_endpgm
	.section	.rodata,"a",@progbits
	.p2align	6, 0x0
	.amdhsa_kernel _ZN4vllm3moe10moeSoftmaxILi256E14__hip_bfloat16EEvPKT0_PKbPfi
		.amdhsa_group_segment_fixed_size 40
		.amdhsa_private_segment_fixed_size 0
		.amdhsa_kernarg_size 28
		.amdhsa_user_sgpr_count 15
		.amdhsa_user_sgpr_dispatch_ptr 0
		.amdhsa_user_sgpr_queue_ptr 0
		.amdhsa_user_sgpr_kernarg_segment_ptr 1
		.amdhsa_user_sgpr_dispatch_id 0
		.amdhsa_user_sgpr_private_segment_size 0
		.amdhsa_wavefront_size32 1
		.amdhsa_uses_dynamic_stack 0
		.amdhsa_enable_private_segment 0
		.amdhsa_system_sgpr_workgroup_id_x 1
		.amdhsa_system_sgpr_workgroup_id_y 0
		.amdhsa_system_sgpr_workgroup_id_z 0
		.amdhsa_system_sgpr_workgroup_info 0
		.amdhsa_system_vgpr_workitem_id 0
		.amdhsa_next_free_vgpr 15
		.amdhsa_next_free_sgpr 16
		.amdhsa_reserve_vcc 1
		.amdhsa_float_round_mode_32 0
		.amdhsa_float_round_mode_16_64 0
		.amdhsa_float_denorm_mode_32 3
		.amdhsa_float_denorm_mode_16_64 3
		.amdhsa_dx10_clamp 1
		.amdhsa_ieee_mode 1
		.amdhsa_fp16_overflow 0
		.amdhsa_workgroup_processor_mode 1
		.amdhsa_memory_ordered 1
		.amdhsa_forward_progress 0
		.amdhsa_shared_vgpr_count 0
		.amdhsa_exception_fp_ieee_invalid_op 0
		.amdhsa_exception_fp_denorm_src 0
		.amdhsa_exception_fp_ieee_div_zero 0
		.amdhsa_exception_fp_ieee_overflow 0
		.amdhsa_exception_fp_ieee_underflow 0
		.amdhsa_exception_fp_ieee_inexact 0
		.amdhsa_exception_int_div_zero 0
	.end_amdhsa_kernel
	.section	.text._ZN4vllm3moe10moeSoftmaxILi256E14__hip_bfloat16EEvPKT0_PKbPfi,"axG",@progbits,_ZN4vllm3moe10moeSoftmaxILi256E14__hip_bfloat16EEvPKT0_PKbPfi,comdat
.Lfunc_end147:
	.size	_ZN4vllm3moe10moeSoftmaxILi256E14__hip_bfloat16EEvPKT0_PKbPfi, .Lfunc_end147-_ZN4vllm3moe10moeSoftmaxILi256E14__hip_bfloat16EEvPKT0_PKbPfi
                                        ; -- End function
	.section	.AMDGPU.csdata,"",@progbits
; Kernel info:
; codeLenInByte = 1740
; NumSgprs: 18
; NumVgprs: 15
; ScratchSize: 0
; MemoryBound: 0
; FloatMode: 240
; IeeeMode: 1
; LDSByteSize: 40 bytes/workgroup (compile time only)
; SGPRBlocks: 2
; VGPRBlocks: 1
; NumSGPRsForWavesPerEU: 18
; NumVGPRsForWavesPerEU: 15
; Occupancy: 16
; WaveLimiterHint : 0
; COMPUTE_PGM_RSRC2:SCRATCH_EN: 0
; COMPUTE_PGM_RSRC2:USER_SGPR: 15
; COMPUTE_PGM_RSRC2:TRAP_HANDLER: 0
; COMPUTE_PGM_RSRC2:TGID_X_EN: 1
; COMPUTE_PGM_RSRC2:TGID_Y_EN: 0
; COMPUTE_PGM_RSRC2:TGID_Z_EN: 0
; COMPUTE_PGM_RSRC2:TIDIG_COMP_CNT: 0
	.section	.text._ZN4vllm3moe10topkGatingILi1ELi1ELi4ELi2ELi64Ej14__hip_bfloat16LNS0_11ScoringFuncE0EEEvPKT5_PKbPfiPT4_PiiiibPKf,"axG",@progbits,_ZN4vllm3moe10topkGatingILi1ELi1ELi4ELi2ELi64Ej14__hip_bfloat16LNS0_11ScoringFuncE0EEEvPKT5_PKbPfiPT4_PiiiibPKf,comdat
	.protected	_ZN4vllm3moe10topkGatingILi1ELi1ELi4ELi2ELi64Ej14__hip_bfloat16LNS0_11ScoringFuncE0EEEvPKT5_PKbPfiPT4_PiiiibPKf ; -- Begin function _ZN4vllm3moe10topkGatingILi1ELi1ELi4ELi2ELi64Ej14__hip_bfloat16LNS0_11ScoringFuncE0EEEvPKT5_PKbPfiPT4_PiiiibPKf
	.globl	_ZN4vllm3moe10topkGatingILi1ELi1ELi4ELi2ELi64Ej14__hip_bfloat16LNS0_11ScoringFuncE0EEEvPKT5_PKbPfiPT4_PiiiibPKf
	.p2align	8
	.type	_ZN4vllm3moe10topkGatingILi1ELi1ELi4ELi2ELi64Ej14__hip_bfloat16LNS0_11ScoringFuncE0EEEvPKT5_PKbPfiPT4_PiiiibPKf,@function
_ZN4vllm3moe10topkGatingILi1ELi1ELi4ELi2ELi64Ej14__hip_bfloat16LNS0_11ScoringFuncE0EEEvPKT5_PKbPfiPT4_PiiiibPKf: ; @_ZN4vllm3moe10topkGatingILi1ELi1ELi4ELi2ELi64Ej14__hip_bfloat16LNS0_11ScoringFuncE0EEEvPKT5_PKbPfiPT4_PiiiibPKf
; %bb.0:
	s_load_b32 s3, s[0:1], 0x18
	v_bfe_u32 v1, v0, 10, 10
	v_and_b32_e32 v0, 0x3ff, v0
	s_lshl_b32 s2, s15, 8
	s_delay_alu instid0(VALU_DEP_2) | instskip(NEXT) | instid1(VALU_DEP_1)
	v_lshlrev_b32_e32 v1, 6, v1
	v_add3_u32 v0, v1, v0, s2
	s_mov_b32 s2, exec_lo
	s_waitcnt lgkmcnt(0)
	s_delay_alu instid0(VALU_DEP_1)
	v_cmpx_gt_i32_e64 s3, v0
	s_cbranch_execz .LBB148_12
; %bb.1:
	s_clause 0x1
	s_load_b128 s[8:11], s[0:1], 0x0
	s_load_b64 s[12:13], s[0:1], 0x10
	v_ashrrev_i32_e32 v1, 31, v0
	s_waitcnt lgkmcnt(0)
	s_cmp_eq_u64 s[10:11], 0
	s_cbranch_scc1 .LBB148_3
; %bb.2:
	v_add_co_u32 v2, vcc_lo, s10, v0
	v_add_co_ci_u32_e32 v3, vcc_lo, s11, v1, vcc_lo
	global_load_u8 v2, v[2:3], off
	s_waitcnt vmcnt(0)
	v_and_b32_e32 v2, 1, v2
	s_delay_alu instid0(VALU_DEP_1) | instskip(SKIP_1) | instid1(SALU_CYCLE_1)
	v_cmp_eq_u32_e32 vcc_lo, 1, v2
	s_xor_b32 s2, vcc_lo, -1
	s_or_not1_b32 s10, s2, exec_lo
	s_branch .LBB148_4
.LBB148_3:
	s_mov_b32 s10, -1
.LBB148_4:
	s_load_b128 s[4:7], s[0:1], 0x30
	s_waitcnt lgkmcnt(0)
	s_bitcmp1_b32 s7, 0
	s_cselect_b32 s2, -1, 0
	s_cmp_gt_i32 s4, 0
	s_cselect_b32 s7, -1, 0
	s_cmp_lt_i32 s4, 1
	s_cbranch_scc1 .LBB148_8
; %bb.5:
	v_lshlrev_b64 v[1:2], 1, v[0:1]
	s_load_b128 s[16:19], s[0:1], 0x20
	s_cmp_lt_i32 s5, 1
	v_mov_b32_e32 v7, 0
	s_cselect_b32 s0, -1, 0
	s_cmp_gt_i32 s6, 0
	v_add_co_u32 v1, vcc_lo, s8, v1
	v_add_co_ci_u32_e32 v2, vcc_lo, s9, v2, vcc_lo
	s_cselect_b32 s1, -1, 0
	s_sub_i32 s5, 0, s5
	s_and_b32 s0, s0, s1
	global_load_u16 v1, v[1:2], off
	s_and_b32 s0, s10, s0
	s_waitcnt vmcnt(0)
	v_lshlrev_b32_e32 v1, 16, v1
	s_delay_alu instid0(VALU_DEP_1) | instskip(NEXT) | instid1(VALU_DEP_1)
	v_sub_f32_e32 v1, v1, v1
	v_mul_f32_e32 v2, 0x3fb8aa3b, v1
	s_delay_alu instid0(VALU_DEP_1) | instskip(SKIP_1) | instid1(VALU_DEP_1)
	v_fma_f32 v3, 0x3fb8aa3b, v1, -v2
	v_rndne_f32_e32 v4, v2
	v_dual_fmamk_f32 v3, v1, 0x32a5705f, v3 :: v_dual_sub_f32 v2, v2, v4
	s_delay_alu instid0(VALU_DEP_1) | instskip(SKIP_2) | instid1(VALU_DEP_3)
	v_add_f32_e32 v2, v2, v3
	v_cvt_i32_f32_e32 v3, v4
	v_cmp_ngt_f32_e32 vcc_lo, 0xc2ce8ed0, v1
	v_exp_f32_e32 v2, v2
	s_waitcnt_depctr 0xfff
	v_ldexp_f32 v2, v2, v3
	s_delay_alu instid0(VALU_DEP_1) | instskip(SKIP_1) | instid1(VALU_DEP_2)
	v_cndmask_b32_e32 v2, 0, v2, vcc_lo
	v_cmp_nlt_f32_e32 vcc_lo, 0x42b17218, v1
	v_cndmask_b32_e32 v9, 0x7f800000, v2, vcc_lo
	s_delay_alu instid0(VALU_DEP_1) | instskip(NEXT) | instid1(VALU_DEP_1)
	v_div_scale_f32 v3, null, v9, v9, 1.0
	v_rcp_f32_e32 v4, v3
	s_waitcnt_depctr 0xfff
	v_fma_f32 v1, -v3, v4, 1.0
	s_delay_alu instid0(VALU_DEP_1) | instskip(SKIP_2) | instid1(VALU_DEP_2)
	v_fmac_f32_e32 v4, v1, v4
	v_div_scale_f32 v8, vcc_lo, 1.0, v9, 1.0
	v_mul_lo_u32 v1, v0, s4
	v_mul_f32_e32 v10, v8, v4
	s_delay_alu instid0(VALU_DEP_2) | instskip(NEXT) | instid1(VALU_DEP_2)
	v_ashrrev_i32_e32 v2, 31, v1
	v_fma_f32 v5, -v3, v10, v8
	s_delay_alu instid0(VALU_DEP_1) | instskip(NEXT) | instid1(VALU_DEP_3)
	v_fmac_f32_e32 v10, v5, v4
	v_lshlrev_b64 v[5:6], 2, v[1:2]
	s_delay_alu instid0(VALU_DEP_2) | instskip(SKIP_2) | instid1(VALU_DEP_2)
	v_fma_f32 v1, -v3, v10, v8
	v_cndmask_b32_e64 v8, 1, s5, s0
	s_mov_b32 s0, s4
	v_div_fmas_f32 v3, v1, v4, v10
	s_delay_alu instid0(VALU_DEP_4) | instskip(SKIP_1) | instid1(VALU_DEP_3)
	v_add_co_u32 v1, vcc_lo, s12, v5
	v_add_co_ci_u32_e32 v2, vcc_lo, s13, v6, vcc_lo
	v_div_fixup_f32 v10, v3, v9, 1.0
	s_waitcnt lgkmcnt(0)
	v_add_co_u32 v3, vcc_lo, s16, v5
	v_add_co_ci_u32_e32 v4, vcc_lo, s17, v6, vcc_lo
	s_delay_alu instid0(VALU_DEP_3) | instskip(SKIP_2) | instid1(VALU_DEP_3)
	v_dual_mul_f32 v9, v9, v10 :: v_dual_mov_b32 v10, v0
	v_add_co_u32 v5, vcc_lo, s18, v5
	v_add_co_ci_u32_e32 v6, vcc_lo, s19, v6, vcc_lo
	v_cmp_class_f32_e64 vcc_lo, v9, 0x1f8
	v_cndmask_b32_e32 v9, 0, v9, vcc_lo
	.p2align	6
.LBB148_6:                              ; =>This Inner Loop Header: Depth=1
	global_store_b32 v[1:2], v9, off
	global_store_b32 v[3:4], v8, off
	;; [unrolled: 1-line block ×3, first 2 shown]
	v_add_co_u32 v1, vcc_lo, v1, 4
	v_add_co_ci_u32_e32 v2, vcc_lo, 0, v2, vcc_lo
	v_dual_add_f32 v11, v7, v9 :: v_dual_add_nc_u32 v10, s3, v10
	v_add_co_u32 v3, vcc_lo, v3, 4
	v_add_co_ci_u32_e32 v4, vcc_lo, 0, v4, vcc_lo
	v_add_co_u32 v5, vcc_lo, v5, 4
	s_delay_alu instid0(VALU_DEP_4) | instskip(SKIP_2) | instid1(SALU_CYCLE_1)
	v_cndmask_b32_e64 v7, v7, v11, s2
	v_add_co_ci_u32_e32 v6, vcc_lo, 0, v6, vcc_lo
	s_add_i32 s0, s0, -1
	s_cmp_lg_u32 s0, 0
	s_cbranch_scc1 .LBB148_6
; %bb.7:
	s_and_not1_b32 vcc_lo, exec_lo, s2
	s_cbranch_vccz .LBB148_9
	s_branch .LBB148_12
.LBB148_8:
	v_mov_b32_e32 v7, 0
	s_and_not1_b32 vcc_lo, exec_lo, s2
	s_cbranch_vccnz .LBB148_12
.LBB148_9:
	s_and_not1_b32 vcc_lo, exec_lo, s7
	s_cbranch_vccnz .LBB148_12
; %bb.10:
	v_mul_lo_u32 v0, v0, s4
	v_cmp_lt_f32_e32 vcc_lo, 0, v7
	v_cndmask_b32_e32 v2, 1.0, v7, vcc_lo
	s_delay_alu instid0(VALU_DEP_3) | instskip(NEXT) | instid1(VALU_DEP_1)
	v_ashrrev_i32_e32 v1, 31, v0
	v_lshlrev_b64 v[0:1], 2, v[0:1]
	s_delay_alu instid0(VALU_DEP_1) | instskip(NEXT) | instid1(VALU_DEP_2)
	v_add_co_u32 v0, vcc_lo, s12, v0
	v_add_co_ci_u32_e32 v1, vcc_lo, s13, v1, vcc_lo
	.p2align	6
.LBB148_11:                             ; =>This Inner Loop Header: Depth=1
	global_load_b32 v3, v[0:1], off
	s_add_i32 s4, s4, -1
	s_delay_alu instid0(SALU_CYCLE_1) | instskip(SKIP_3) | instid1(VALU_DEP_2)
	s_cmp_lg_u32 s4, 0
	s_waitcnt vmcnt(0)
	v_div_scale_f32 v4, null, v2, v2, v3
	v_div_scale_f32 v7, vcc_lo, v3, v2, v3
	v_rcp_f32_e32 v5, v4
	s_waitcnt_depctr 0xfff
	v_fma_f32 v6, -v4, v5, 1.0
	s_delay_alu instid0(VALU_DEP_1) | instskip(NEXT) | instid1(VALU_DEP_1)
	v_fmac_f32_e32 v5, v6, v5
	v_mul_f32_e32 v6, v7, v5
	s_delay_alu instid0(VALU_DEP_1) | instskip(NEXT) | instid1(VALU_DEP_1)
	v_fma_f32 v8, -v4, v6, v7
	v_fmac_f32_e32 v6, v8, v5
	s_delay_alu instid0(VALU_DEP_1) | instskip(NEXT) | instid1(VALU_DEP_1)
	v_fma_f32 v4, -v4, v6, v7
	v_div_fmas_f32 v4, v4, v5, v6
	s_delay_alu instid0(VALU_DEP_1)
	v_div_fixup_f32 v3, v4, v2, v3
	global_store_b32 v[0:1], v3, off
	v_add_co_u32 v0, vcc_lo, v0, 4
	v_add_co_ci_u32_e32 v1, vcc_lo, 0, v1, vcc_lo
	s_cbranch_scc1 .LBB148_11
.LBB148_12:
	s_nop 0
	s_sendmsg sendmsg(MSG_DEALLOC_VGPRS)
	s_endpgm
	.section	.rodata,"a",@progbits
	.p2align	6, 0x0
	.amdhsa_kernel _ZN4vllm3moe10topkGatingILi1ELi1ELi4ELi2ELi64Ej14__hip_bfloat16LNS0_11ScoringFuncE0EEEvPKT5_PKbPfiPT4_PiiiibPKf
		.amdhsa_group_segment_fixed_size 0
		.amdhsa_private_segment_fixed_size 0
		.amdhsa_kernarg_size 72
		.amdhsa_user_sgpr_count 15
		.amdhsa_user_sgpr_dispatch_ptr 0
		.amdhsa_user_sgpr_queue_ptr 0
		.amdhsa_user_sgpr_kernarg_segment_ptr 1
		.amdhsa_user_sgpr_dispatch_id 0
		.amdhsa_user_sgpr_private_segment_size 0
		.amdhsa_wavefront_size32 1
		.amdhsa_uses_dynamic_stack 0
		.amdhsa_enable_private_segment 0
		.amdhsa_system_sgpr_workgroup_id_x 1
		.amdhsa_system_sgpr_workgroup_id_y 0
		.amdhsa_system_sgpr_workgroup_id_z 0
		.amdhsa_system_sgpr_workgroup_info 0
		.amdhsa_system_vgpr_workitem_id 1
		.amdhsa_next_free_vgpr 12
		.amdhsa_next_free_sgpr 20
		.amdhsa_reserve_vcc 1
		.amdhsa_float_round_mode_32 0
		.amdhsa_float_round_mode_16_64 0
		.amdhsa_float_denorm_mode_32 3
		.amdhsa_float_denorm_mode_16_64 3
		.amdhsa_dx10_clamp 1
		.amdhsa_ieee_mode 1
		.amdhsa_fp16_overflow 0
		.amdhsa_workgroup_processor_mode 1
		.amdhsa_memory_ordered 1
		.amdhsa_forward_progress 0
		.amdhsa_shared_vgpr_count 0
		.amdhsa_exception_fp_ieee_invalid_op 0
		.amdhsa_exception_fp_denorm_src 0
		.amdhsa_exception_fp_ieee_div_zero 0
		.amdhsa_exception_fp_ieee_overflow 0
		.amdhsa_exception_fp_ieee_underflow 0
		.amdhsa_exception_fp_ieee_inexact 0
		.amdhsa_exception_int_div_zero 0
	.end_amdhsa_kernel
	.section	.text._ZN4vllm3moe10topkGatingILi1ELi1ELi4ELi2ELi64Ej14__hip_bfloat16LNS0_11ScoringFuncE0EEEvPKT5_PKbPfiPT4_PiiiibPKf,"axG",@progbits,_ZN4vllm3moe10topkGatingILi1ELi1ELi4ELi2ELi64Ej14__hip_bfloat16LNS0_11ScoringFuncE0EEEvPKT5_PKbPfiPT4_PiiiibPKf,comdat
.Lfunc_end148:
	.size	_ZN4vllm3moe10topkGatingILi1ELi1ELi4ELi2ELi64Ej14__hip_bfloat16LNS0_11ScoringFuncE0EEEvPKT5_PKbPfiPT4_PiiiibPKf, .Lfunc_end148-_ZN4vllm3moe10topkGatingILi1ELi1ELi4ELi2ELi64Ej14__hip_bfloat16LNS0_11ScoringFuncE0EEEvPKT5_PKbPfiPT4_PiiiibPKf
                                        ; -- End function
	.section	.AMDGPU.csdata,"",@progbits
; Kernel info:
; codeLenInByte = 900
; NumSgprs: 22
; NumVgprs: 12
; ScratchSize: 0
; MemoryBound: 0
; FloatMode: 240
; IeeeMode: 1
; LDSByteSize: 0 bytes/workgroup (compile time only)
; SGPRBlocks: 2
; VGPRBlocks: 1
; NumSGPRsForWavesPerEU: 22
; NumVGPRsForWavesPerEU: 12
; Occupancy: 16
; WaveLimiterHint : 0
; COMPUTE_PGM_RSRC2:SCRATCH_EN: 0
; COMPUTE_PGM_RSRC2:USER_SGPR: 15
; COMPUTE_PGM_RSRC2:TRAP_HANDLER: 0
; COMPUTE_PGM_RSRC2:TGID_X_EN: 1
; COMPUTE_PGM_RSRC2:TGID_Y_EN: 0
; COMPUTE_PGM_RSRC2:TGID_Z_EN: 0
; COMPUTE_PGM_RSRC2:TIDIG_COMP_CNT: 1
	.section	.text._ZN4vllm3moe10topkGatingILi1ELi1ELi4ELi2ELi32Ej14__hip_bfloat16LNS0_11ScoringFuncE0EEEvPKT5_PKbPfiPT4_PiiiibPKf,"axG",@progbits,_ZN4vllm3moe10topkGatingILi1ELi1ELi4ELi2ELi32Ej14__hip_bfloat16LNS0_11ScoringFuncE0EEEvPKT5_PKbPfiPT4_PiiiibPKf,comdat
	.protected	_ZN4vllm3moe10topkGatingILi1ELi1ELi4ELi2ELi32Ej14__hip_bfloat16LNS0_11ScoringFuncE0EEEvPKT5_PKbPfiPT4_PiiiibPKf ; -- Begin function _ZN4vllm3moe10topkGatingILi1ELi1ELi4ELi2ELi32Ej14__hip_bfloat16LNS0_11ScoringFuncE0EEEvPKT5_PKbPfiPT4_PiiiibPKf
	.globl	_ZN4vllm3moe10topkGatingILi1ELi1ELi4ELi2ELi32Ej14__hip_bfloat16LNS0_11ScoringFuncE0EEEvPKT5_PKbPfiPT4_PiiiibPKf
	.p2align	8
	.type	_ZN4vllm3moe10topkGatingILi1ELi1ELi4ELi2ELi32Ej14__hip_bfloat16LNS0_11ScoringFuncE0EEEvPKT5_PKbPfiPT4_PiiiibPKf,@function
_ZN4vllm3moe10topkGatingILi1ELi1ELi4ELi2ELi32Ej14__hip_bfloat16LNS0_11ScoringFuncE0EEEvPKT5_PKbPfiPT4_PiiiibPKf: ; @_ZN4vllm3moe10topkGatingILi1ELi1ELi4ELi2ELi32Ej14__hip_bfloat16LNS0_11ScoringFuncE0EEEvPKT5_PKbPfiPT4_PiiiibPKf
; %bb.0:
	s_load_b32 s3, s[0:1], 0x18
	v_bfe_u32 v1, v0, 10, 10
	v_and_b32_e32 v0, 0x3ff, v0
	s_lshl_b32 s2, s15, 7
	s_delay_alu instid0(VALU_DEP_2) | instskip(NEXT) | instid1(VALU_DEP_1)
	v_lshlrev_b32_e32 v1, 5, v1
	v_add3_u32 v0, v1, v0, s2
	s_mov_b32 s2, exec_lo
	s_waitcnt lgkmcnt(0)
	s_delay_alu instid0(VALU_DEP_1)
	v_cmpx_gt_i32_e64 s3, v0
	s_cbranch_execz .LBB149_12
; %bb.1:
	s_clause 0x1
	s_load_b128 s[8:11], s[0:1], 0x0
	s_load_b64 s[12:13], s[0:1], 0x10
	v_ashrrev_i32_e32 v1, 31, v0
	s_waitcnt lgkmcnt(0)
	s_cmp_eq_u64 s[10:11], 0
	s_cbranch_scc1 .LBB149_3
; %bb.2:
	v_add_co_u32 v2, vcc_lo, s10, v0
	v_add_co_ci_u32_e32 v3, vcc_lo, s11, v1, vcc_lo
	global_load_u8 v2, v[2:3], off
	s_waitcnt vmcnt(0)
	v_and_b32_e32 v2, 1, v2
	s_delay_alu instid0(VALU_DEP_1) | instskip(SKIP_1) | instid1(SALU_CYCLE_1)
	v_cmp_eq_u32_e32 vcc_lo, 1, v2
	s_xor_b32 s2, vcc_lo, -1
	s_or_not1_b32 s10, s2, exec_lo
	s_branch .LBB149_4
.LBB149_3:
	s_mov_b32 s10, -1
.LBB149_4:
	s_load_b128 s[4:7], s[0:1], 0x30
	s_waitcnt lgkmcnt(0)
	s_bitcmp1_b32 s7, 0
	s_cselect_b32 s2, -1, 0
	s_cmp_gt_i32 s4, 0
	s_cselect_b32 s7, -1, 0
	s_cmp_lt_i32 s4, 1
	s_cbranch_scc1 .LBB149_8
; %bb.5:
	v_lshlrev_b64 v[1:2], 1, v[0:1]
	s_load_b128 s[16:19], s[0:1], 0x20
	s_cmp_lt_i32 s5, 1
	v_mov_b32_e32 v7, 0
	s_cselect_b32 s0, -1, 0
	s_cmp_gt_i32 s6, 0
	v_add_co_u32 v1, vcc_lo, s8, v1
	v_add_co_ci_u32_e32 v2, vcc_lo, s9, v2, vcc_lo
	s_cselect_b32 s1, -1, 0
	s_sub_i32 s5, 0, s5
	s_and_b32 s0, s0, s1
	global_load_u16 v1, v[1:2], off
	s_and_b32 s0, s10, s0
	s_waitcnt vmcnt(0)
	v_lshlrev_b32_e32 v1, 16, v1
	s_delay_alu instid0(VALU_DEP_1) | instskip(NEXT) | instid1(VALU_DEP_1)
	v_sub_f32_e32 v1, v1, v1
	v_mul_f32_e32 v2, 0x3fb8aa3b, v1
	s_delay_alu instid0(VALU_DEP_1) | instskip(SKIP_1) | instid1(VALU_DEP_1)
	v_fma_f32 v3, 0x3fb8aa3b, v1, -v2
	v_rndne_f32_e32 v4, v2
	v_dual_fmamk_f32 v3, v1, 0x32a5705f, v3 :: v_dual_sub_f32 v2, v2, v4
	s_delay_alu instid0(VALU_DEP_1) | instskip(SKIP_2) | instid1(VALU_DEP_3)
	v_add_f32_e32 v2, v2, v3
	v_cvt_i32_f32_e32 v3, v4
	v_cmp_ngt_f32_e32 vcc_lo, 0xc2ce8ed0, v1
	v_exp_f32_e32 v2, v2
	s_waitcnt_depctr 0xfff
	v_ldexp_f32 v2, v2, v3
	s_delay_alu instid0(VALU_DEP_1) | instskip(SKIP_1) | instid1(VALU_DEP_2)
	v_cndmask_b32_e32 v2, 0, v2, vcc_lo
	v_cmp_nlt_f32_e32 vcc_lo, 0x42b17218, v1
	v_cndmask_b32_e32 v9, 0x7f800000, v2, vcc_lo
	s_delay_alu instid0(VALU_DEP_1) | instskip(NEXT) | instid1(VALU_DEP_1)
	v_div_scale_f32 v3, null, v9, v9, 1.0
	v_rcp_f32_e32 v4, v3
	s_waitcnt_depctr 0xfff
	v_fma_f32 v1, -v3, v4, 1.0
	s_delay_alu instid0(VALU_DEP_1) | instskip(SKIP_2) | instid1(VALU_DEP_2)
	v_fmac_f32_e32 v4, v1, v4
	v_div_scale_f32 v8, vcc_lo, 1.0, v9, 1.0
	v_mul_lo_u32 v1, v0, s4
	v_mul_f32_e32 v10, v8, v4
	s_delay_alu instid0(VALU_DEP_2) | instskip(NEXT) | instid1(VALU_DEP_2)
	v_ashrrev_i32_e32 v2, 31, v1
	v_fma_f32 v5, -v3, v10, v8
	s_delay_alu instid0(VALU_DEP_1) | instskip(NEXT) | instid1(VALU_DEP_3)
	v_fmac_f32_e32 v10, v5, v4
	v_lshlrev_b64 v[5:6], 2, v[1:2]
	s_delay_alu instid0(VALU_DEP_2) | instskip(SKIP_2) | instid1(VALU_DEP_2)
	v_fma_f32 v1, -v3, v10, v8
	v_cndmask_b32_e64 v8, 1, s5, s0
	s_mov_b32 s0, s4
	v_div_fmas_f32 v3, v1, v4, v10
	s_delay_alu instid0(VALU_DEP_4) | instskip(SKIP_1) | instid1(VALU_DEP_3)
	v_add_co_u32 v1, vcc_lo, s12, v5
	v_add_co_ci_u32_e32 v2, vcc_lo, s13, v6, vcc_lo
	v_div_fixup_f32 v10, v3, v9, 1.0
	s_waitcnt lgkmcnt(0)
	v_add_co_u32 v3, vcc_lo, s16, v5
	v_add_co_ci_u32_e32 v4, vcc_lo, s17, v6, vcc_lo
	s_delay_alu instid0(VALU_DEP_3) | instskip(SKIP_2) | instid1(VALU_DEP_3)
	v_dual_mul_f32 v9, v9, v10 :: v_dual_mov_b32 v10, v0
	v_add_co_u32 v5, vcc_lo, s18, v5
	v_add_co_ci_u32_e32 v6, vcc_lo, s19, v6, vcc_lo
	v_cmp_class_f32_e64 vcc_lo, v9, 0x1f8
	v_cndmask_b32_e32 v9, 0, v9, vcc_lo
	.p2align	6
.LBB149_6:                              ; =>This Inner Loop Header: Depth=1
	global_store_b32 v[1:2], v9, off
	global_store_b32 v[3:4], v8, off
	;; [unrolled: 1-line block ×3, first 2 shown]
	v_add_co_u32 v1, vcc_lo, v1, 4
	v_add_co_ci_u32_e32 v2, vcc_lo, 0, v2, vcc_lo
	v_dual_add_f32 v11, v7, v9 :: v_dual_add_nc_u32 v10, s3, v10
	v_add_co_u32 v3, vcc_lo, v3, 4
	v_add_co_ci_u32_e32 v4, vcc_lo, 0, v4, vcc_lo
	v_add_co_u32 v5, vcc_lo, v5, 4
	s_delay_alu instid0(VALU_DEP_4) | instskip(SKIP_2) | instid1(SALU_CYCLE_1)
	v_cndmask_b32_e64 v7, v7, v11, s2
	v_add_co_ci_u32_e32 v6, vcc_lo, 0, v6, vcc_lo
	s_add_i32 s0, s0, -1
	s_cmp_lg_u32 s0, 0
	s_cbranch_scc1 .LBB149_6
; %bb.7:
	s_and_not1_b32 vcc_lo, exec_lo, s2
	s_cbranch_vccz .LBB149_9
	s_branch .LBB149_12
.LBB149_8:
	v_mov_b32_e32 v7, 0
	s_and_not1_b32 vcc_lo, exec_lo, s2
	s_cbranch_vccnz .LBB149_12
.LBB149_9:
	s_and_not1_b32 vcc_lo, exec_lo, s7
	s_cbranch_vccnz .LBB149_12
; %bb.10:
	v_mul_lo_u32 v0, v0, s4
	v_cmp_lt_f32_e32 vcc_lo, 0, v7
	v_cndmask_b32_e32 v2, 1.0, v7, vcc_lo
	s_delay_alu instid0(VALU_DEP_3) | instskip(NEXT) | instid1(VALU_DEP_1)
	v_ashrrev_i32_e32 v1, 31, v0
	v_lshlrev_b64 v[0:1], 2, v[0:1]
	s_delay_alu instid0(VALU_DEP_1) | instskip(NEXT) | instid1(VALU_DEP_2)
	v_add_co_u32 v0, vcc_lo, s12, v0
	v_add_co_ci_u32_e32 v1, vcc_lo, s13, v1, vcc_lo
	.p2align	6
.LBB149_11:                             ; =>This Inner Loop Header: Depth=1
	global_load_b32 v3, v[0:1], off
	s_add_i32 s4, s4, -1
	s_delay_alu instid0(SALU_CYCLE_1) | instskip(SKIP_3) | instid1(VALU_DEP_2)
	s_cmp_lg_u32 s4, 0
	s_waitcnt vmcnt(0)
	v_div_scale_f32 v4, null, v2, v2, v3
	v_div_scale_f32 v7, vcc_lo, v3, v2, v3
	v_rcp_f32_e32 v5, v4
	s_waitcnt_depctr 0xfff
	v_fma_f32 v6, -v4, v5, 1.0
	s_delay_alu instid0(VALU_DEP_1) | instskip(NEXT) | instid1(VALU_DEP_1)
	v_fmac_f32_e32 v5, v6, v5
	v_mul_f32_e32 v6, v7, v5
	s_delay_alu instid0(VALU_DEP_1) | instskip(NEXT) | instid1(VALU_DEP_1)
	v_fma_f32 v8, -v4, v6, v7
	v_fmac_f32_e32 v6, v8, v5
	s_delay_alu instid0(VALU_DEP_1) | instskip(NEXT) | instid1(VALU_DEP_1)
	v_fma_f32 v4, -v4, v6, v7
	v_div_fmas_f32 v4, v4, v5, v6
	s_delay_alu instid0(VALU_DEP_1)
	v_div_fixup_f32 v3, v4, v2, v3
	global_store_b32 v[0:1], v3, off
	v_add_co_u32 v0, vcc_lo, v0, 4
	v_add_co_ci_u32_e32 v1, vcc_lo, 0, v1, vcc_lo
	s_cbranch_scc1 .LBB149_11
.LBB149_12:
	s_nop 0
	s_sendmsg sendmsg(MSG_DEALLOC_VGPRS)
	s_endpgm
	.section	.rodata,"a",@progbits
	.p2align	6, 0x0
	.amdhsa_kernel _ZN4vllm3moe10topkGatingILi1ELi1ELi4ELi2ELi32Ej14__hip_bfloat16LNS0_11ScoringFuncE0EEEvPKT5_PKbPfiPT4_PiiiibPKf
		.amdhsa_group_segment_fixed_size 0
		.amdhsa_private_segment_fixed_size 0
		.amdhsa_kernarg_size 72
		.amdhsa_user_sgpr_count 15
		.amdhsa_user_sgpr_dispatch_ptr 0
		.amdhsa_user_sgpr_queue_ptr 0
		.amdhsa_user_sgpr_kernarg_segment_ptr 1
		.amdhsa_user_sgpr_dispatch_id 0
		.amdhsa_user_sgpr_private_segment_size 0
		.amdhsa_wavefront_size32 1
		.amdhsa_uses_dynamic_stack 0
		.amdhsa_enable_private_segment 0
		.amdhsa_system_sgpr_workgroup_id_x 1
		.amdhsa_system_sgpr_workgroup_id_y 0
		.amdhsa_system_sgpr_workgroup_id_z 0
		.amdhsa_system_sgpr_workgroup_info 0
		.amdhsa_system_vgpr_workitem_id 1
		.amdhsa_next_free_vgpr 12
		.amdhsa_next_free_sgpr 20
		.amdhsa_reserve_vcc 1
		.amdhsa_float_round_mode_32 0
		.amdhsa_float_round_mode_16_64 0
		.amdhsa_float_denorm_mode_32 3
		.amdhsa_float_denorm_mode_16_64 3
		.amdhsa_dx10_clamp 1
		.amdhsa_ieee_mode 1
		.amdhsa_fp16_overflow 0
		.amdhsa_workgroup_processor_mode 1
		.amdhsa_memory_ordered 1
		.amdhsa_forward_progress 0
		.amdhsa_shared_vgpr_count 0
		.amdhsa_exception_fp_ieee_invalid_op 0
		.amdhsa_exception_fp_denorm_src 0
		.amdhsa_exception_fp_ieee_div_zero 0
		.amdhsa_exception_fp_ieee_overflow 0
		.amdhsa_exception_fp_ieee_underflow 0
		.amdhsa_exception_fp_ieee_inexact 0
		.amdhsa_exception_int_div_zero 0
	.end_amdhsa_kernel
	.section	.text._ZN4vllm3moe10topkGatingILi1ELi1ELi4ELi2ELi32Ej14__hip_bfloat16LNS0_11ScoringFuncE0EEEvPKT5_PKbPfiPT4_PiiiibPKf,"axG",@progbits,_ZN4vllm3moe10topkGatingILi1ELi1ELi4ELi2ELi32Ej14__hip_bfloat16LNS0_11ScoringFuncE0EEEvPKT5_PKbPfiPT4_PiiiibPKf,comdat
.Lfunc_end149:
	.size	_ZN4vllm3moe10topkGatingILi1ELi1ELi4ELi2ELi32Ej14__hip_bfloat16LNS0_11ScoringFuncE0EEEvPKT5_PKbPfiPT4_PiiiibPKf, .Lfunc_end149-_ZN4vllm3moe10topkGatingILi1ELi1ELi4ELi2ELi32Ej14__hip_bfloat16LNS0_11ScoringFuncE0EEEvPKT5_PKbPfiPT4_PiiiibPKf
                                        ; -- End function
	.section	.AMDGPU.csdata,"",@progbits
; Kernel info:
; codeLenInByte = 900
; NumSgprs: 22
; NumVgprs: 12
; ScratchSize: 0
; MemoryBound: 0
; FloatMode: 240
; IeeeMode: 1
; LDSByteSize: 0 bytes/workgroup (compile time only)
; SGPRBlocks: 2
; VGPRBlocks: 1
; NumSGPRsForWavesPerEU: 22
; NumVGPRsForWavesPerEU: 12
; Occupancy: 16
; WaveLimiterHint : 0
; COMPUTE_PGM_RSRC2:SCRATCH_EN: 0
; COMPUTE_PGM_RSRC2:USER_SGPR: 15
; COMPUTE_PGM_RSRC2:TRAP_HANDLER: 0
; COMPUTE_PGM_RSRC2:TGID_X_EN: 1
; COMPUTE_PGM_RSRC2:TGID_Y_EN: 0
; COMPUTE_PGM_RSRC2:TGID_Z_EN: 0
; COMPUTE_PGM_RSRC2:TIDIG_COMP_CNT: 1
	.section	.text._ZN4vllm3moe10topkGatingILi2ELi2ELi4ELi4ELi64Ej14__hip_bfloat16LNS0_11ScoringFuncE0EEEvPKT5_PKbPfiPT4_PiiiibPKf,"axG",@progbits,_ZN4vllm3moe10topkGatingILi2ELi2ELi4ELi4ELi64Ej14__hip_bfloat16LNS0_11ScoringFuncE0EEEvPKT5_PKbPfiPT4_PiiiibPKf,comdat
	.protected	_ZN4vllm3moe10topkGatingILi2ELi2ELi4ELi4ELi64Ej14__hip_bfloat16LNS0_11ScoringFuncE0EEEvPKT5_PKbPfiPT4_PiiiibPKf ; -- Begin function _ZN4vllm3moe10topkGatingILi2ELi2ELi4ELi4ELi64Ej14__hip_bfloat16LNS0_11ScoringFuncE0EEEvPKT5_PKbPfiPT4_PiiiibPKf
	.globl	_ZN4vllm3moe10topkGatingILi2ELi2ELi4ELi4ELi64Ej14__hip_bfloat16LNS0_11ScoringFuncE0EEEvPKT5_PKbPfiPT4_PiiiibPKf
	.p2align	8
	.type	_ZN4vllm3moe10topkGatingILi2ELi2ELi4ELi4ELi64Ej14__hip_bfloat16LNS0_11ScoringFuncE0EEEvPKT5_PKbPfiPT4_PiiiibPKf,@function
_ZN4vllm3moe10topkGatingILi2ELi2ELi4ELi4ELi64Ej14__hip_bfloat16LNS0_11ScoringFuncE0EEEvPKT5_PKbPfiPT4_PiiiibPKf: ; @_ZN4vllm3moe10topkGatingILi2ELi2ELi4ELi4ELi64Ej14__hip_bfloat16LNS0_11ScoringFuncE0EEEvPKT5_PKbPfiPT4_PiiiibPKf
; %bb.0:
	s_load_b32 s10, s[0:1], 0x18
	v_bfe_u32 v1, v0, 10, 10
	v_and_b32_e32 v0, 0x3ff, v0
	s_lshl_b32 s2, s15, 8
	s_delay_alu instid0(VALU_DEP_2) | instskip(NEXT) | instid1(VALU_DEP_1)
	v_lshlrev_b32_e32 v1, 6, v1
	v_add3_u32 v10, v1, v0, s2
	s_mov_b32 s2, exec_lo
	s_waitcnt lgkmcnt(0)
	s_delay_alu instid0(VALU_DEP_1)
	v_cmpx_gt_i32_e64 s10, v10
	s_cbranch_execz .LBB150_14
; %bb.1:
	s_clause 0x1
	s_load_b128 s[4:7], s[0:1], 0x0
	s_load_b64 s[8:9], s[0:1], 0x10
	s_waitcnt lgkmcnt(0)
	s_cmp_eq_u64 s[6:7], 0
	s_cbranch_scc1 .LBB150_3
; %bb.2:
	v_ashrrev_i32_e32 v1, 31, v10
	v_add_co_u32 v0, vcc_lo, s6, v10
	s_delay_alu instid0(VALU_DEP_2) | instskip(SKIP_3) | instid1(VALU_DEP_1)
	v_add_co_ci_u32_e32 v1, vcc_lo, s7, v1, vcc_lo
	global_load_u8 v0, v[0:1], off
	s_waitcnt vmcnt(0)
	v_and_b32_e32 v0, 1, v0
	v_cmp_eq_u32_e32 vcc_lo, 1, v0
	s_xor_b32 s2, vcc_lo, -1
	s_delay_alu instid0(SALU_CYCLE_1)
	s_or_not1_b32 s11, s2, exec_lo
	s_branch .LBB150_4
.LBB150_3:
	s_mov_b32 s11, -1
.LBB150_4:
	v_lshlrev_b32_e32 v0, 1, v10
	s_load_b64 s[2:3], s[0:1], 0x40
	s_delay_alu instid0(VALU_DEP_1) | instskip(NEXT) | instid1(VALU_DEP_1)
	v_ashrrev_i32_e32 v1, 31, v0
	v_lshlrev_b64 v[0:1], 1, v[0:1]
	s_delay_alu instid0(VALU_DEP_1) | instskip(NEXT) | instid1(VALU_DEP_2)
	v_add_co_u32 v0, vcc_lo, s4, v0
	v_add_co_ci_u32_e32 v1, vcc_lo, s5, v1, vcc_lo
	s_waitcnt lgkmcnt(0)
	s_cmp_eq_u64 s[2:3], 0
	global_load_b32 v0, v[0:1], off
	s_waitcnt vmcnt(0)
	v_and_b32_e32 v1, 0xffff0000, v0
	v_lshlrev_b32_e32 v0, 16, v0
	s_delay_alu instid0(VALU_DEP_1) | instskip(NEXT) | instid1(VALU_DEP_1)
	v_dual_max_f32 v2, v1, v1 :: v_dual_max_f32 v3, v0, v0
	v_max_f32_e32 v2, v3, v2
	s_delay_alu instid0(VALU_DEP_1) | instskip(NEXT) | instid1(VALU_DEP_1)
	v_sub_f32_e32 v1, v1, v2
	v_mul_f32_e32 v3, 0x3fb8aa3b, v1
	s_delay_alu instid0(VALU_DEP_1) | instskip(SKIP_2) | instid1(VALU_DEP_2)
	v_fma_f32 v6, 0x3fb8aa3b, v1, -v3
	v_rndne_f32_e32 v7, v3
	v_sub_f32_e32 v0, v0, v2
	v_dual_fmac_f32 v6, 0x32a5705f, v1 :: v_dual_sub_f32 v3, v3, v7
	s_delay_alu instid0(VALU_DEP_2) | instskip(SKIP_1) | instid1(VALU_DEP_3)
	v_mul_f32_e32 v2, 0x3fb8aa3b, v0
	v_cmp_ngt_f32_e32 vcc_lo, 0xc2ce8ed0, v0
	v_add_f32_e32 v3, v3, v6
	s_delay_alu instid0(VALU_DEP_3) | instskip(SKIP_1) | instid1(VALU_DEP_3)
	v_fma_f32 v4, 0x3fb8aa3b, v0, -v2
	v_rndne_f32_e32 v5, v2
	v_exp_f32_e32 v3, v3
	s_delay_alu instid0(VALU_DEP_2) | instskip(NEXT) | instid1(VALU_DEP_2)
	v_fmac_f32_e32 v4, 0x32a5705f, v0
	v_sub_f32_e32 v2, v2, v5
	s_delay_alu instid0(VALU_DEP_1) | instskip(SKIP_2) | instid1(VALU_DEP_3)
	v_add_f32_e32 v2, v2, v4
	v_cvt_i32_f32_e32 v4, v5
	v_cvt_i32_f32_e32 v5, v7
	v_exp_f32_e32 v2, v2
	s_delay_alu instid0(TRANS32_DEP_2) | instid1(VALU_DEP_1)
	v_ldexp_f32 v3, v3, v5
	s_waitcnt_depctr 0xfff
	v_ldexp_f32 v2, v2, v4
	s_delay_alu instid0(VALU_DEP_1) | instskip(SKIP_3) | instid1(VALU_DEP_4)
	v_cndmask_b32_e32 v2, 0, v2, vcc_lo
	v_cmp_ngt_f32_e32 vcc_lo, 0xc2ce8ed0, v1
	v_cndmask_b32_e32 v3, 0, v3, vcc_lo
	v_cmp_nlt_f32_e32 vcc_lo, 0x42b17218, v0
	v_cndmask_b32_e32 v0, 0x7f800000, v2, vcc_lo
	v_cmp_nlt_f32_e32 vcc_lo, 0x42b17218, v1
	s_delay_alu instid0(VALU_DEP_4) | instskip(NEXT) | instid1(VALU_DEP_1)
	v_cndmask_b32_e32 v1, 0x7f800000, v3, vcc_lo
	v_add_f32_e32 v2, v0, v1
	s_delay_alu instid0(VALU_DEP_1) | instskip(SKIP_1) | instid1(VALU_DEP_2)
	v_div_scale_f32 v3, null, v2, v2, 1.0
	v_div_scale_f32 v6, vcc_lo, 1.0, v2, 1.0
	v_rcp_f32_e32 v4, v3
	s_waitcnt_depctr 0xfff
	v_fma_f32 v5, -v3, v4, 1.0
	s_delay_alu instid0(VALU_DEP_1) | instskip(NEXT) | instid1(VALU_DEP_1)
	v_fmac_f32_e32 v4, v5, v4
	v_mul_f32_e32 v5, v6, v4
	s_delay_alu instid0(VALU_DEP_1) | instskip(NEXT) | instid1(VALU_DEP_1)
	v_fma_f32 v7, -v3, v5, v6
	v_fmac_f32_e32 v5, v7, v4
	s_delay_alu instid0(VALU_DEP_1) | instskip(NEXT) | instid1(VALU_DEP_1)
	v_fma_f32 v3, -v3, v5, v6
	v_div_fmas_f32 v3, v3, v4, v5
	s_delay_alu instid0(VALU_DEP_1) | instskip(NEXT) | instid1(VALU_DEP_1)
	v_div_fixup_f32 v2, v3, v2, 1.0
	v_mul_f32_e32 v1, v2, v1
	v_mul_f32_e32 v0, v2, v0
	s_delay_alu instid0(VALU_DEP_1) | instskip(SKIP_1) | instid1(VALU_DEP_4)
	v_cmp_class_f32_e64 vcc_lo, v0, 0x1f8
	v_cndmask_b32_e32 v0, 0, v0, vcc_lo
	v_cmp_class_f32_e64 vcc_lo, v1, 0x1f8
	v_cndmask_b32_e32 v1, 0, v1, vcc_lo
	s_delay_alu instid0(VALU_DEP_1)
	v_dual_mov_b32 v3, v1 :: v_dual_mov_b32 v2, v0
	s_cbranch_scc1 .LBB150_6
; %bb.5:
	s_load_b64 s[2:3], s[2:3], 0x0
	s_waitcnt lgkmcnt(0)
	v_dual_add_f32 v2, s2, v0 :: v_dual_add_f32 v3, s3, v1
.LBB150_6:
	s_load_b128 s[4:7], s[0:1], 0x30
	s_waitcnt lgkmcnt(0)
	s_bitcmp1_b32 s7, 0
	s_cselect_b32 vcc_lo, -1, 0
	s_cmp_gt_i32 s4, 0
	s_cselect_b32 s3, -1, 0
	s_cmp_lt_i32 s4, 1
	s_cbranch_scc1 .LBB150_10
; %bb.7:
	v_mul_lo_u32 v4, v10, s4
	s_load_b128 s[12:15], s[0:1], 0x20
	v_dual_mov_b32 v11, 0 :: v_dual_mov_b32 v12, v10
	s_mov_b32 s7, 0
	s_delay_alu instid0(VALU_DEP_2) | instskip(NEXT) | instid1(VALU_DEP_1)
	v_ashrrev_i32_e32 v5, 31, v4
	v_lshlrev_b64 v[8:9], 2, v[4:5]
	s_delay_alu instid0(VALU_DEP_1) | instskip(NEXT) | instid1(VALU_DEP_1)
	v_add_co_u32 v4, s0, s8, v8
	v_add_co_ci_u32_e64 v5, s0, s9, v9, s0
	s_waitcnt lgkmcnt(0)
	v_add_co_u32 v6, s0, s12, v8
	s_delay_alu instid0(VALU_DEP_1) | instskip(SKIP_1) | instid1(VALU_DEP_1)
	v_add_co_ci_u32_e64 v7, s0, s13, v9, s0
	v_add_co_u32 v8, s0, s14, v8
	v_add_co_ci_u32_e64 v9, s0, s15, v9, s0
.LBB150_8:                              ; =>This Inner Loop Header: Depth=1
	v_cmp_gt_f32_e64 s0, v3, v2
	s_add_i32 s7, s7, 1
	s_delay_alu instid0(VALU_DEP_1) | instskip(SKIP_3) | instid1(VALU_DEP_4)
	v_cndmask_b32_e64 v14, 0, 1, s0
	v_cndmask_b32_e64 v13, v0, v1, s0
	;; [unrolled: 1-line block ×4, first 2 shown]
	v_cmp_le_i32_e64 s1, s5, v14
	v_cmp_gt_i32_e64 s2, s6, v14
	v_subrev_nc_u32_e32 v14, s5, v14
	global_store_b32 v[4:5], v13, off
	v_add_f32_e32 v13, v11, v13
	s_and_b32 s1, s1, s2
	s_delay_alu instid0(SALU_CYCLE_1)
	s_and_b32 s0, s11, s1
	s_cmp_lt_i32 s7, s4
	v_cndmask_b32_e64 v14, 2, v14, s0
	s_cselect_b32 s0, -1, 0
	s_cmp_eq_u32 s4, s7
	v_cndmask_b32_e64 v3, v3, v16, s0
	v_cndmask_b32_e64 v2, v2, v15, s0
	v_add_co_u32 v4, s0, v4, 4
	s_delay_alu instid0(VALU_DEP_1) | instskip(SKIP_4) | instid1(VALU_DEP_1)
	v_add_co_ci_u32_e64 v5, s0, 0, v5, s0
	global_store_b32 v[6:7], v14, off
	global_store_b32 v[8:9], v12, off
	v_add_nc_u32_e32 v12, s10, v12
	v_add_co_u32 v6, s0, v6, 4
	v_add_co_ci_u32_e64 v7, s0, 0, v7, s0
	v_add_co_u32 v8, s0, v8, 4
	v_cndmask_b32_e32 v11, v11, v13, vcc_lo
	v_add_co_ci_u32_e64 v9, s0, 0, v9, s0
	s_cbranch_scc0 .LBB150_8
; %bb.9:
	s_and_b32 vcc_lo, exec_lo, vcc_lo
	s_cbranch_vccnz .LBB150_11
	s_branch .LBB150_14
.LBB150_10:
	v_mov_b32_e32 v11, 0
	s_and_b32 vcc_lo, exec_lo, vcc_lo
	s_cbranch_vccz .LBB150_14
.LBB150_11:
	s_and_not1_b32 vcc_lo, exec_lo, s3
	s_cbranch_vccnz .LBB150_14
; %bb.12:
	v_mul_lo_u32 v0, v10, s4
	v_cmp_lt_f32_e32 vcc_lo, 0, v11
	v_cndmask_b32_e32 v2, 1.0, v11, vcc_lo
	s_delay_alu instid0(VALU_DEP_3) | instskip(NEXT) | instid1(VALU_DEP_1)
	v_ashrrev_i32_e32 v1, 31, v0
	v_lshlrev_b64 v[0:1], 2, v[0:1]
	s_delay_alu instid0(VALU_DEP_1) | instskip(NEXT) | instid1(VALU_DEP_2)
	v_add_co_u32 v0, vcc_lo, s8, v0
	v_add_co_ci_u32_e32 v1, vcc_lo, s9, v1, vcc_lo
	.p2align	6
.LBB150_13:                             ; =>This Inner Loop Header: Depth=1
	global_load_b32 v3, v[0:1], off
	s_add_i32 s4, s4, -1
	s_delay_alu instid0(SALU_CYCLE_1) | instskip(SKIP_3) | instid1(VALU_DEP_2)
	s_cmp_lg_u32 s4, 0
	s_waitcnt vmcnt(0)
	v_div_scale_f32 v4, null, v2, v2, v3
	v_div_scale_f32 v7, vcc_lo, v3, v2, v3
	v_rcp_f32_e32 v5, v4
	s_waitcnt_depctr 0xfff
	v_fma_f32 v6, -v4, v5, 1.0
	s_delay_alu instid0(VALU_DEP_1) | instskip(NEXT) | instid1(VALU_DEP_1)
	v_fmac_f32_e32 v5, v6, v5
	v_mul_f32_e32 v6, v7, v5
	s_delay_alu instid0(VALU_DEP_1) | instskip(NEXT) | instid1(VALU_DEP_1)
	v_fma_f32 v8, -v4, v6, v7
	v_fmac_f32_e32 v6, v8, v5
	s_delay_alu instid0(VALU_DEP_1) | instskip(NEXT) | instid1(VALU_DEP_1)
	v_fma_f32 v4, -v4, v6, v7
	v_div_fmas_f32 v4, v4, v5, v6
	s_delay_alu instid0(VALU_DEP_1)
	v_div_fixup_f32 v3, v4, v2, v3
	global_store_b32 v[0:1], v3, off
	v_add_co_u32 v0, vcc_lo, v0, 4
	v_add_co_ci_u32_e32 v1, vcc_lo, 0, v1, vcc_lo
	s_cbranch_scc1 .LBB150_13
.LBB150_14:
	s_nop 0
	s_sendmsg sendmsg(MSG_DEALLOC_VGPRS)
	s_endpgm
	.section	.rodata,"a",@progbits
	.p2align	6, 0x0
	.amdhsa_kernel _ZN4vllm3moe10topkGatingILi2ELi2ELi4ELi4ELi64Ej14__hip_bfloat16LNS0_11ScoringFuncE0EEEvPKT5_PKbPfiPT4_PiiiibPKf
		.amdhsa_group_segment_fixed_size 0
		.amdhsa_private_segment_fixed_size 0
		.amdhsa_kernarg_size 72
		.amdhsa_user_sgpr_count 15
		.amdhsa_user_sgpr_dispatch_ptr 0
		.amdhsa_user_sgpr_queue_ptr 0
		.amdhsa_user_sgpr_kernarg_segment_ptr 1
		.amdhsa_user_sgpr_dispatch_id 0
		.amdhsa_user_sgpr_private_segment_size 0
		.amdhsa_wavefront_size32 1
		.amdhsa_uses_dynamic_stack 0
		.amdhsa_enable_private_segment 0
		.amdhsa_system_sgpr_workgroup_id_x 1
		.amdhsa_system_sgpr_workgroup_id_y 0
		.amdhsa_system_sgpr_workgroup_id_z 0
		.amdhsa_system_sgpr_workgroup_info 0
		.amdhsa_system_vgpr_workitem_id 1
		.amdhsa_next_free_vgpr 17
		.amdhsa_next_free_sgpr 16
		.amdhsa_reserve_vcc 1
		.amdhsa_float_round_mode_32 0
		.amdhsa_float_round_mode_16_64 0
		.amdhsa_float_denorm_mode_32 3
		.amdhsa_float_denorm_mode_16_64 3
		.amdhsa_dx10_clamp 1
		.amdhsa_ieee_mode 1
		.amdhsa_fp16_overflow 0
		.amdhsa_workgroup_processor_mode 1
		.amdhsa_memory_ordered 1
		.amdhsa_forward_progress 0
		.amdhsa_shared_vgpr_count 0
		.amdhsa_exception_fp_ieee_invalid_op 0
		.amdhsa_exception_fp_denorm_src 0
		.amdhsa_exception_fp_ieee_div_zero 0
		.amdhsa_exception_fp_ieee_overflow 0
		.amdhsa_exception_fp_ieee_underflow 0
		.amdhsa_exception_fp_ieee_inexact 0
		.amdhsa_exception_int_div_zero 0
	.end_amdhsa_kernel
	.section	.text._ZN4vllm3moe10topkGatingILi2ELi2ELi4ELi4ELi64Ej14__hip_bfloat16LNS0_11ScoringFuncE0EEEvPKT5_PKbPfiPT4_PiiiibPKf,"axG",@progbits,_ZN4vllm3moe10topkGatingILi2ELi2ELi4ELi4ELi64Ej14__hip_bfloat16LNS0_11ScoringFuncE0EEEvPKT5_PKbPfiPT4_PiiiibPKf,comdat
.Lfunc_end150:
	.size	_ZN4vllm3moe10topkGatingILi2ELi2ELi4ELi4ELi64Ej14__hip_bfloat16LNS0_11ScoringFuncE0EEEvPKT5_PKbPfiPT4_PiiiibPKf, .Lfunc_end150-_ZN4vllm3moe10topkGatingILi2ELi2ELi4ELi4ELi64Ej14__hip_bfloat16LNS0_11ScoringFuncE0EEEvPKT5_PKbPfiPT4_PiiiibPKf
                                        ; -- End function
	.section	.AMDGPU.csdata,"",@progbits
; Kernel info:
; codeLenInByte = 1236
; NumSgprs: 18
; NumVgprs: 17
; ScratchSize: 0
; MemoryBound: 0
; FloatMode: 240
; IeeeMode: 1
; LDSByteSize: 0 bytes/workgroup (compile time only)
; SGPRBlocks: 2
; VGPRBlocks: 2
; NumSGPRsForWavesPerEU: 18
; NumVGPRsForWavesPerEU: 17
; Occupancy: 16
; WaveLimiterHint : 0
; COMPUTE_PGM_RSRC2:SCRATCH_EN: 0
; COMPUTE_PGM_RSRC2:USER_SGPR: 15
; COMPUTE_PGM_RSRC2:TRAP_HANDLER: 0
; COMPUTE_PGM_RSRC2:TGID_X_EN: 1
; COMPUTE_PGM_RSRC2:TGID_Y_EN: 0
; COMPUTE_PGM_RSRC2:TGID_Z_EN: 0
; COMPUTE_PGM_RSRC2:TIDIG_COMP_CNT: 1
	.section	.text._ZN4vllm3moe10topkGatingILi2ELi2ELi4ELi4ELi32Ej14__hip_bfloat16LNS0_11ScoringFuncE0EEEvPKT5_PKbPfiPT4_PiiiibPKf,"axG",@progbits,_ZN4vllm3moe10topkGatingILi2ELi2ELi4ELi4ELi32Ej14__hip_bfloat16LNS0_11ScoringFuncE0EEEvPKT5_PKbPfiPT4_PiiiibPKf,comdat
	.protected	_ZN4vllm3moe10topkGatingILi2ELi2ELi4ELi4ELi32Ej14__hip_bfloat16LNS0_11ScoringFuncE0EEEvPKT5_PKbPfiPT4_PiiiibPKf ; -- Begin function _ZN4vllm3moe10topkGatingILi2ELi2ELi4ELi4ELi32Ej14__hip_bfloat16LNS0_11ScoringFuncE0EEEvPKT5_PKbPfiPT4_PiiiibPKf
	.globl	_ZN4vllm3moe10topkGatingILi2ELi2ELi4ELi4ELi32Ej14__hip_bfloat16LNS0_11ScoringFuncE0EEEvPKT5_PKbPfiPT4_PiiiibPKf
	.p2align	8
	.type	_ZN4vllm3moe10topkGatingILi2ELi2ELi4ELi4ELi32Ej14__hip_bfloat16LNS0_11ScoringFuncE0EEEvPKT5_PKbPfiPT4_PiiiibPKf,@function
_ZN4vllm3moe10topkGatingILi2ELi2ELi4ELi4ELi32Ej14__hip_bfloat16LNS0_11ScoringFuncE0EEEvPKT5_PKbPfiPT4_PiiiibPKf: ; @_ZN4vllm3moe10topkGatingILi2ELi2ELi4ELi4ELi32Ej14__hip_bfloat16LNS0_11ScoringFuncE0EEEvPKT5_PKbPfiPT4_PiiiibPKf
; %bb.0:
	s_load_b32 s10, s[0:1], 0x18
	v_bfe_u32 v1, v0, 10, 10
	v_and_b32_e32 v0, 0x3ff, v0
	s_lshl_b32 s2, s15, 7
	s_delay_alu instid0(VALU_DEP_2) | instskip(NEXT) | instid1(VALU_DEP_1)
	v_lshlrev_b32_e32 v1, 5, v1
	v_add3_u32 v10, v1, v0, s2
	s_mov_b32 s2, exec_lo
	s_waitcnt lgkmcnt(0)
	s_delay_alu instid0(VALU_DEP_1)
	v_cmpx_gt_i32_e64 s10, v10
	s_cbranch_execz .LBB151_14
; %bb.1:
	s_clause 0x1
	s_load_b128 s[4:7], s[0:1], 0x0
	s_load_b64 s[8:9], s[0:1], 0x10
	s_waitcnt lgkmcnt(0)
	s_cmp_eq_u64 s[6:7], 0
	s_cbranch_scc1 .LBB151_3
; %bb.2:
	v_ashrrev_i32_e32 v1, 31, v10
	v_add_co_u32 v0, vcc_lo, s6, v10
	s_delay_alu instid0(VALU_DEP_2) | instskip(SKIP_3) | instid1(VALU_DEP_1)
	v_add_co_ci_u32_e32 v1, vcc_lo, s7, v1, vcc_lo
	global_load_u8 v0, v[0:1], off
	s_waitcnt vmcnt(0)
	v_and_b32_e32 v0, 1, v0
	v_cmp_eq_u32_e32 vcc_lo, 1, v0
	s_xor_b32 s2, vcc_lo, -1
	s_delay_alu instid0(SALU_CYCLE_1)
	s_or_not1_b32 s11, s2, exec_lo
	s_branch .LBB151_4
.LBB151_3:
	s_mov_b32 s11, -1
.LBB151_4:
	v_lshlrev_b32_e32 v0, 1, v10
	s_load_b64 s[2:3], s[0:1], 0x40
	s_delay_alu instid0(VALU_DEP_1) | instskip(NEXT) | instid1(VALU_DEP_1)
	v_ashrrev_i32_e32 v1, 31, v0
	v_lshlrev_b64 v[0:1], 1, v[0:1]
	s_delay_alu instid0(VALU_DEP_1) | instskip(NEXT) | instid1(VALU_DEP_2)
	v_add_co_u32 v0, vcc_lo, s4, v0
	v_add_co_ci_u32_e32 v1, vcc_lo, s5, v1, vcc_lo
	s_waitcnt lgkmcnt(0)
	s_cmp_eq_u64 s[2:3], 0
	global_load_b32 v0, v[0:1], off
	s_waitcnt vmcnt(0)
	v_and_b32_e32 v1, 0xffff0000, v0
	v_lshlrev_b32_e32 v0, 16, v0
	s_delay_alu instid0(VALU_DEP_1) | instskip(NEXT) | instid1(VALU_DEP_1)
	v_dual_max_f32 v2, v1, v1 :: v_dual_max_f32 v3, v0, v0
	v_max_f32_e32 v2, v3, v2
	s_delay_alu instid0(VALU_DEP_1) | instskip(NEXT) | instid1(VALU_DEP_1)
	v_sub_f32_e32 v1, v1, v2
	v_mul_f32_e32 v3, 0x3fb8aa3b, v1
	s_delay_alu instid0(VALU_DEP_1) | instskip(SKIP_2) | instid1(VALU_DEP_2)
	v_fma_f32 v6, 0x3fb8aa3b, v1, -v3
	v_rndne_f32_e32 v7, v3
	v_sub_f32_e32 v0, v0, v2
	v_dual_fmac_f32 v6, 0x32a5705f, v1 :: v_dual_sub_f32 v3, v3, v7
	s_delay_alu instid0(VALU_DEP_2) | instskip(SKIP_1) | instid1(VALU_DEP_3)
	v_mul_f32_e32 v2, 0x3fb8aa3b, v0
	v_cmp_ngt_f32_e32 vcc_lo, 0xc2ce8ed0, v0
	v_add_f32_e32 v3, v3, v6
	s_delay_alu instid0(VALU_DEP_3) | instskip(SKIP_1) | instid1(VALU_DEP_3)
	v_fma_f32 v4, 0x3fb8aa3b, v0, -v2
	v_rndne_f32_e32 v5, v2
	v_exp_f32_e32 v3, v3
	s_delay_alu instid0(VALU_DEP_2) | instskip(NEXT) | instid1(VALU_DEP_2)
	v_fmac_f32_e32 v4, 0x32a5705f, v0
	v_sub_f32_e32 v2, v2, v5
	s_delay_alu instid0(VALU_DEP_1) | instskip(SKIP_2) | instid1(VALU_DEP_3)
	v_add_f32_e32 v2, v2, v4
	v_cvt_i32_f32_e32 v4, v5
	v_cvt_i32_f32_e32 v5, v7
	v_exp_f32_e32 v2, v2
	s_delay_alu instid0(TRANS32_DEP_2) | instid1(VALU_DEP_1)
	v_ldexp_f32 v3, v3, v5
	s_waitcnt_depctr 0xfff
	v_ldexp_f32 v2, v2, v4
	s_delay_alu instid0(VALU_DEP_1) | instskip(SKIP_3) | instid1(VALU_DEP_4)
	v_cndmask_b32_e32 v2, 0, v2, vcc_lo
	v_cmp_ngt_f32_e32 vcc_lo, 0xc2ce8ed0, v1
	v_cndmask_b32_e32 v3, 0, v3, vcc_lo
	v_cmp_nlt_f32_e32 vcc_lo, 0x42b17218, v0
	v_cndmask_b32_e32 v0, 0x7f800000, v2, vcc_lo
	v_cmp_nlt_f32_e32 vcc_lo, 0x42b17218, v1
	s_delay_alu instid0(VALU_DEP_4) | instskip(NEXT) | instid1(VALU_DEP_1)
	v_cndmask_b32_e32 v1, 0x7f800000, v3, vcc_lo
	v_add_f32_e32 v2, v0, v1
	s_delay_alu instid0(VALU_DEP_1) | instskip(SKIP_1) | instid1(VALU_DEP_2)
	v_div_scale_f32 v3, null, v2, v2, 1.0
	v_div_scale_f32 v6, vcc_lo, 1.0, v2, 1.0
	v_rcp_f32_e32 v4, v3
	s_waitcnt_depctr 0xfff
	v_fma_f32 v5, -v3, v4, 1.0
	s_delay_alu instid0(VALU_DEP_1) | instskip(NEXT) | instid1(VALU_DEP_1)
	v_fmac_f32_e32 v4, v5, v4
	v_mul_f32_e32 v5, v6, v4
	s_delay_alu instid0(VALU_DEP_1) | instskip(NEXT) | instid1(VALU_DEP_1)
	v_fma_f32 v7, -v3, v5, v6
	v_fmac_f32_e32 v5, v7, v4
	s_delay_alu instid0(VALU_DEP_1) | instskip(NEXT) | instid1(VALU_DEP_1)
	v_fma_f32 v3, -v3, v5, v6
	v_div_fmas_f32 v3, v3, v4, v5
	s_delay_alu instid0(VALU_DEP_1) | instskip(NEXT) | instid1(VALU_DEP_1)
	v_div_fixup_f32 v2, v3, v2, 1.0
	v_mul_f32_e32 v1, v2, v1
	v_mul_f32_e32 v0, v2, v0
	s_delay_alu instid0(VALU_DEP_1) | instskip(SKIP_1) | instid1(VALU_DEP_4)
	v_cmp_class_f32_e64 vcc_lo, v0, 0x1f8
	v_cndmask_b32_e32 v0, 0, v0, vcc_lo
	v_cmp_class_f32_e64 vcc_lo, v1, 0x1f8
	v_cndmask_b32_e32 v1, 0, v1, vcc_lo
	s_delay_alu instid0(VALU_DEP_1)
	v_dual_mov_b32 v3, v1 :: v_dual_mov_b32 v2, v0
	s_cbranch_scc1 .LBB151_6
; %bb.5:
	s_load_b64 s[2:3], s[2:3], 0x0
	s_waitcnt lgkmcnt(0)
	v_dual_add_f32 v2, s2, v0 :: v_dual_add_f32 v3, s3, v1
.LBB151_6:
	s_load_b128 s[4:7], s[0:1], 0x30
	s_waitcnt lgkmcnt(0)
	s_bitcmp1_b32 s7, 0
	s_cselect_b32 vcc_lo, -1, 0
	s_cmp_gt_i32 s4, 0
	s_cselect_b32 s3, -1, 0
	s_cmp_lt_i32 s4, 1
	s_cbranch_scc1 .LBB151_10
; %bb.7:
	v_mul_lo_u32 v4, v10, s4
	s_load_b128 s[12:15], s[0:1], 0x20
	v_dual_mov_b32 v11, 0 :: v_dual_mov_b32 v12, v10
	s_mov_b32 s7, 0
	s_delay_alu instid0(VALU_DEP_2) | instskip(NEXT) | instid1(VALU_DEP_1)
	v_ashrrev_i32_e32 v5, 31, v4
	v_lshlrev_b64 v[8:9], 2, v[4:5]
	s_delay_alu instid0(VALU_DEP_1) | instskip(NEXT) | instid1(VALU_DEP_1)
	v_add_co_u32 v4, s0, s8, v8
	v_add_co_ci_u32_e64 v5, s0, s9, v9, s0
	s_waitcnt lgkmcnt(0)
	v_add_co_u32 v6, s0, s12, v8
	s_delay_alu instid0(VALU_DEP_1) | instskip(SKIP_1) | instid1(VALU_DEP_1)
	v_add_co_ci_u32_e64 v7, s0, s13, v9, s0
	v_add_co_u32 v8, s0, s14, v8
	v_add_co_ci_u32_e64 v9, s0, s15, v9, s0
.LBB151_8:                              ; =>This Inner Loop Header: Depth=1
	v_cmp_gt_f32_e64 s0, v3, v2
	s_add_i32 s7, s7, 1
	s_delay_alu instid0(VALU_DEP_1) | instskip(SKIP_3) | instid1(VALU_DEP_4)
	v_cndmask_b32_e64 v14, 0, 1, s0
	v_cndmask_b32_e64 v13, v0, v1, s0
	;; [unrolled: 1-line block ×4, first 2 shown]
	v_cmp_le_i32_e64 s1, s5, v14
	v_cmp_gt_i32_e64 s2, s6, v14
	v_subrev_nc_u32_e32 v14, s5, v14
	global_store_b32 v[4:5], v13, off
	v_add_f32_e32 v13, v11, v13
	s_and_b32 s1, s1, s2
	s_delay_alu instid0(SALU_CYCLE_1)
	s_and_b32 s0, s11, s1
	s_cmp_lt_i32 s7, s4
	v_cndmask_b32_e64 v14, 2, v14, s0
	s_cselect_b32 s0, -1, 0
	s_cmp_eq_u32 s4, s7
	v_cndmask_b32_e64 v3, v3, v16, s0
	v_cndmask_b32_e64 v2, v2, v15, s0
	v_add_co_u32 v4, s0, v4, 4
	s_delay_alu instid0(VALU_DEP_1) | instskip(SKIP_4) | instid1(VALU_DEP_1)
	v_add_co_ci_u32_e64 v5, s0, 0, v5, s0
	global_store_b32 v[6:7], v14, off
	global_store_b32 v[8:9], v12, off
	v_add_nc_u32_e32 v12, s10, v12
	v_add_co_u32 v6, s0, v6, 4
	v_add_co_ci_u32_e64 v7, s0, 0, v7, s0
	v_add_co_u32 v8, s0, v8, 4
	v_cndmask_b32_e32 v11, v11, v13, vcc_lo
	v_add_co_ci_u32_e64 v9, s0, 0, v9, s0
	s_cbranch_scc0 .LBB151_8
; %bb.9:
	s_and_b32 vcc_lo, exec_lo, vcc_lo
	s_cbranch_vccnz .LBB151_11
	s_branch .LBB151_14
.LBB151_10:
	v_mov_b32_e32 v11, 0
	s_and_b32 vcc_lo, exec_lo, vcc_lo
	s_cbranch_vccz .LBB151_14
.LBB151_11:
	s_and_not1_b32 vcc_lo, exec_lo, s3
	s_cbranch_vccnz .LBB151_14
; %bb.12:
	v_mul_lo_u32 v0, v10, s4
	v_cmp_lt_f32_e32 vcc_lo, 0, v11
	v_cndmask_b32_e32 v2, 1.0, v11, vcc_lo
	s_delay_alu instid0(VALU_DEP_3) | instskip(NEXT) | instid1(VALU_DEP_1)
	v_ashrrev_i32_e32 v1, 31, v0
	v_lshlrev_b64 v[0:1], 2, v[0:1]
	s_delay_alu instid0(VALU_DEP_1) | instskip(NEXT) | instid1(VALU_DEP_2)
	v_add_co_u32 v0, vcc_lo, s8, v0
	v_add_co_ci_u32_e32 v1, vcc_lo, s9, v1, vcc_lo
	.p2align	6
.LBB151_13:                             ; =>This Inner Loop Header: Depth=1
	global_load_b32 v3, v[0:1], off
	s_add_i32 s4, s4, -1
	s_delay_alu instid0(SALU_CYCLE_1) | instskip(SKIP_3) | instid1(VALU_DEP_2)
	s_cmp_lg_u32 s4, 0
	s_waitcnt vmcnt(0)
	v_div_scale_f32 v4, null, v2, v2, v3
	v_div_scale_f32 v7, vcc_lo, v3, v2, v3
	v_rcp_f32_e32 v5, v4
	s_waitcnt_depctr 0xfff
	v_fma_f32 v6, -v4, v5, 1.0
	s_delay_alu instid0(VALU_DEP_1) | instskip(NEXT) | instid1(VALU_DEP_1)
	v_fmac_f32_e32 v5, v6, v5
	v_mul_f32_e32 v6, v7, v5
	s_delay_alu instid0(VALU_DEP_1) | instskip(NEXT) | instid1(VALU_DEP_1)
	v_fma_f32 v8, -v4, v6, v7
	v_fmac_f32_e32 v6, v8, v5
	s_delay_alu instid0(VALU_DEP_1) | instskip(NEXT) | instid1(VALU_DEP_1)
	v_fma_f32 v4, -v4, v6, v7
	v_div_fmas_f32 v4, v4, v5, v6
	s_delay_alu instid0(VALU_DEP_1)
	v_div_fixup_f32 v3, v4, v2, v3
	global_store_b32 v[0:1], v3, off
	v_add_co_u32 v0, vcc_lo, v0, 4
	v_add_co_ci_u32_e32 v1, vcc_lo, 0, v1, vcc_lo
	s_cbranch_scc1 .LBB151_13
.LBB151_14:
	s_nop 0
	s_sendmsg sendmsg(MSG_DEALLOC_VGPRS)
	s_endpgm
	.section	.rodata,"a",@progbits
	.p2align	6, 0x0
	.amdhsa_kernel _ZN4vllm3moe10topkGatingILi2ELi2ELi4ELi4ELi32Ej14__hip_bfloat16LNS0_11ScoringFuncE0EEEvPKT5_PKbPfiPT4_PiiiibPKf
		.amdhsa_group_segment_fixed_size 0
		.amdhsa_private_segment_fixed_size 0
		.amdhsa_kernarg_size 72
		.amdhsa_user_sgpr_count 15
		.amdhsa_user_sgpr_dispatch_ptr 0
		.amdhsa_user_sgpr_queue_ptr 0
		.amdhsa_user_sgpr_kernarg_segment_ptr 1
		.amdhsa_user_sgpr_dispatch_id 0
		.amdhsa_user_sgpr_private_segment_size 0
		.amdhsa_wavefront_size32 1
		.amdhsa_uses_dynamic_stack 0
		.amdhsa_enable_private_segment 0
		.amdhsa_system_sgpr_workgroup_id_x 1
		.amdhsa_system_sgpr_workgroup_id_y 0
		.amdhsa_system_sgpr_workgroup_id_z 0
		.amdhsa_system_sgpr_workgroup_info 0
		.amdhsa_system_vgpr_workitem_id 1
		.amdhsa_next_free_vgpr 17
		.amdhsa_next_free_sgpr 16
		.amdhsa_reserve_vcc 1
		.amdhsa_float_round_mode_32 0
		.amdhsa_float_round_mode_16_64 0
		.amdhsa_float_denorm_mode_32 3
		.amdhsa_float_denorm_mode_16_64 3
		.amdhsa_dx10_clamp 1
		.amdhsa_ieee_mode 1
		.amdhsa_fp16_overflow 0
		.amdhsa_workgroup_processor_mode 1
		.amdhsa_memory_ordered 1
		.amdhsa_forward_progress 0
		.amdhsa_shared_vgpr_count 0
		.amdhsa_exception_fp_ieee_invalid_op 0
		.amdhsa_exception_fp_denorm_src 0
		.amdhsa_exception_fp_ieee_div_zero 0
		.amdhsa_exception_fp_ieee_overflow 0
		.amdhsa_exception_fp_ieee_underflow 0
		.amdhsa_exception_fp_ieee_inexact 0
		.amdhsa_exception_int_div_zero 0
	.end_amdhsa_kernel
	.section	.text._ZN4vllm3moe10topkGatingILi2ELi2ELi4ELi4ELi32Ej14__hip_bfloat16LNS0_11ScoringFuncE0EEEvPKT5_PKbPfiPT4_PiiiibPKf,"axG",@progbits,_ZN4vllm3moe10topkGatingILi2ELi2ELi4ELi4ELi32Ej14__hip_bfloat16LNS0_11ScoringFuncE0EEEvPKT5_PKbPfiPT4_PiiiibPKf,comdat
.Lfunc_end151:
	.size	_ZN4vllm3moe10topkGatingILi2ELi2ELi4ELi4ELi32Ej14__hip_bfloat16LNS0_11ScoringFuncE0EEEvPKT5_PKbPfiPT4_PiiiibPKf, .Lfunc_end151-_ZN4vllm3moe10topkGatingILi2ELi2ELi4ELi4ELi32Ej14__hip_bfloat16LNS0_11ScoringFuncE0EEEvPKT5_PKbPfiPT4_PiiiibPKf
                                        ; -- End function
	.section	.AMDGPU.csdata,"",@progbits
; Kernel info:
; codeLenInByte = 1236
; NumSgprs: 18
; NumVgprs: 17
; ScratchSize: 0
; MemoryBound: 0
; FloatMode: 240
; IeeeMode: 1
; LDSByteSize: 0 bytes/workgroup (compile time only)
; SGPRBlocks: 2
; VGPRBlocks: 2
; NumSGPRsForWavesPerEU: 18
; NumVGPRsForWavesPerEU: 17
; Occupancy: 16
; WaveLimiterHint : 0
; COMPUTE_PGM_RSRC2:SCRATCH_EN: 0
; COMPUTE_PGM_RSRC2:USER_SGPR: 15
; COMPUTE_PGM_RSRC2:TRAP_HANDLER: 0
; COMPUTE_PGM_RSRC2:TGID_X_EN: 1
; COMPUTE_PGM_RSRC2:TGID_Y_EN: 0
; COMPUTE_PGM_RSRC2:TGID_Z_EN: 0
; COMPUTE_PGM_RSRC2:TIDIG_COMP_CNT: 1
	.section	.text._ZN4vllm3moe10topkGatingILi4ELi4ELi4ELi8ELi64Ej14__hip_bfloat16LNS0_11ScoringFuncE0EEEvPKT5_PKbPfiPT4_PiiiibPKf,"axG",@progbits,_ZN4vllm3moe10topkGatingILi4ELi4ELi4ELi8ELi64Ej14__hip_bfloat16LNS0_11ScoringFuncE0EEEvPKT5_PKbPfiPT4_PiiiibPKf,comdat
	.protected	_ZN4vllm3moe10topkGatingILi4ELi4ELi4ELi8ELi64Ej14__hip_bfloat16LNS0_11ScoringFuncE0EEEvPKT5_PKbPfiPT4_PiiiibPKf ; -- Begin function _ZN4vllm3moe10topkGatingILi4ELi4ELi4ELi8ELi64Ej14__hip_bfloat16LNS0_11ScoringFuncE0EEEvPKT5_PKbPfiPT4_PiiiibPKf
	.globl	_ZN4vllm3moe10topkGatingILi4ELi4ELi4ELi8ELi64Ej14__hip_bfloat16LNS0_11ScoringFuncE0EEEvPKT5_PKbPfiPT4_PiiiibPKf
	.p2align	8
	.type	_ZN4vllm3moe10topkGatingILi4ELi4ELi4ELi8ELi64Ej14__hip_bfloat16LNS0_11ScoringFuncE0EEEvPKT5_PKbPfiPT4_PiiiibPKf,@function
_ZN4vllm3moe10topkGatingILi4ELi4ELi4ELi8ELi64Ej14__hip_bfloat16LNS0_11ScoringFuncE0EEEvPKT5_PKbPfiPT4_PiiiibPKf: ; @_ZN4vllm3moe10topkGatingILi4ELi4ELi4ELi8ELi64Ej14__hip_bfloat16LNS0_11ScoringFuncE0EEEvPKT5_PKbPfiPT4_PiiiibPKf
; %bb.0:
	s_load_b32 s10, s[0:1], 0x18
	v_bfe_u32 v1, v0, 10, 10
	v_and_b32_e32 v0, 0x3ff, v0
	s_lshl_b32 s2, s15, 8
	s_delay_alu instid0(VALU_DEP_2) | instskip(NEXT) | instid1(VALU_DEP_1)
	v_lshlrev_b32_e32 v1, 6, v1
	v_add3_u32 v14, v1, v0, s2
	s_mov_b32 s2, exec_lo
	s_waitcnt lgkmcnt(0)
	s_delay_alu instid0(VALU_DEP_1)
	v_cmpx_gt_i32_e64 s10, v14
	s_cbranch_execz .LBB152_15
; %bb.1:
	s_clause 0x1
	s_load_b128 s[4:7], s[0:1], 0x0
	s_load_b64 s[8:9], s[0:1], 0x10
	s_mov_b32 s12, -1
	s_mov_b32 s11, -1
	s_waitcnt lgkmcnt(0)
	s_cmp_eq_u64 s[6:7], 0
	s_cbranch_scc1 .LBB152_3
; %bb.2:
	v_ashrrev_i32_e32 v1, 31, v14
	v_add_co_u32 v0, vcc_lo, s6, v14
	s_delay_alu instid0(VALU_DEP_2) | instskip(SKIP_3) | instid1(VALU_DEP_1)
	v_add_co_ci_u32_e32 v1, vcc_lo, s7, v1, vcc_lo
	global_load_u8 v0, v[0:1], off
	s_waitcnt vmcnt(0)
	v_and_b32_e32 v0, 1, v0
	v_cmp_eq_u32_e32 vcc_lo, 1, v0
	s_xor_b32 s2, vcc_lo, -1
	s_delay_alu instid0(SALU_CYCLE_1)
	s_or_not1_b32 s11, s2, exec_lo
.LBB152_3:
	v_lshlrev_b32_e32 v0, 2, v14
	s_load_b64 s[2:3], s[0:1], 0x40
	s_delay_alu instid0(VALU_DEP_1) | instskip(NEXT) | instid1(VALU_DEP_1)
	v_ashrrev_i32_e32 v1, 31, v0
	v_lshlrev_b64 v[0:1], 1, v[0:1]
	s_delay_alu instid0(VALU_DEP_1) | instskip(NEXT) | instid1(VALU_DEP_2)
	v_add_co_u32 v0, vcc_lo, s4, v0
	v_add_co_ci_u32_e32 v1, vcc_lo, s5, v1, vcc_lo
	s_waitcnt lgkmcnt(0)
	s_cmp_eq_u64 s[2:3], 0
	global_load_b64 v[0:1], v[0:1], off
	s_waitcnt vmcnt(0)
	v_and_b32_e32 v2, 0xffff0000, v0
	v_lshlrev_b32_e32 v3, 16, v0
	v_alignbit_b32 v0, v1, v0, 16
	s_delay_alu instid0(VALU_DEP_2) | instskip(SKIP_1) | instid1(VALU_DEP_3)
	v_dual_max_f32 v4, v2, v2 :: v_dual_max_f32 v5, v3, v3
	v_and_b32_e32 v1, 0xffff0000, v1
	v_and_b32_e32 v0, 0xffff0000, v0
	s_delay_alu instid0(VALU_DEP_3) | instskip(NEXT) | instid1(VALU_DEP_1)
	v_max_f32_e32 v4, v5, v4
	v_max3_f32 v4, v4, v0, v1
	s_delay_alu instid0(VALU_DEP_1) | instskip(SKIP_1) | instid1(VALU_DEP_1)
	v_sub_f32_e32 v3, v3, v4
	v_sub_f32_e32 v1, v1, v4
	v_dual_sub_f32 v2, v2, v4 :: v_dual_mul_f32 v7, 0x3fb8aa3b, v1
	s_delay_alu instid0(VALU_DEP_1) | instskip(NEXT) | instid1(VALU_DEP_2)
	v_mul_f32_e32 v5, 0x3fb8aa3b, v2
	v_fma_f32 v15, 0x3fb8aa3b, v1, -v7
	s_delay_alu instid0(VALU_DEP_2) | instskip(SKIP_2) | instid1(VALU_DEP_2)
	v_fma_f32 v10, 0x3fb8aa3b, v2, -v5
	v_rndne_f32_e32 v11, v5
	v_rndne_f32_e32 v16, v7
	v_dual_fmac_f32 v10, 0x32a5705f, v2 :: v_dual_sub_f32 v5, v5, v11
	s_delay_alu instid0(VALU_DEP_2) | instskip(NEXT) | instid1(VALU_DEP_2)
	v_sub_f32_e32 v7, v7, v16
	v_dual_add_f32 v5, v5, v10 :: v_dual_sub_f32 v0, v0, v4
	v_mul_f32_e32 v4, 0x3fb8aa3b, v3
	v_fmac_f32_e32 v15, 0x32a5705f, v1
	s_delay_alu instid0(VALU_DEP_3) | instskip(NEXT) | instid1(VALU_DEP_3)
	v_exp_f32_e32 v5, v5
	v_mul_f32_e32 v6, 0x3fb8aa3b, v0
	s_delay_alu instid0(VALU_DEP_3) | instskip(SKIP_2) | instid1(VALU_DEP_4)
	v_fma_f32 v8, 0x3fb8aa3b, v3, -v4
	v_rndne_f32_e32 v9, v4
	v_add_f32_e32 v7, v7, v15
	v_fma_f32 v12, 0x3fb8aa3b, v0, -v6
	v_rndne_f32_e32 v13, v6
	s_delay_alu instid0(VALU_DEP_4) | instskip(SKIP_4) | instid1(VALU_DEP_3)
	v_sub_f32_e32 v4, v4, v9
	v_fmac_f32_e32 v8, 0x32a5705f, v3
	v_cmp_ngt_f32_e32 vcc_lo, 0xc2ce8ed0, v3
	v_exp_f32_e32 v7, v7
	v_cvt_i32_f32_e32 v10, v13
	v_add_f32_e32 v4, v4, v8
	v_cvt_i32_f32_e32 v8, v9
	v_cvt_i32_f32_e32 v9, v11
	;; [unrolled: 1-line block ×3, first 2 shown]
	s_delay_alu instid0(VALU_DEP_4) | instskip(NEXT) | instid1(VALU_DEP_2)
	v_exp_f32_e32 v4, v4
	v_ldexp_f32 v5, v5, v9
	s_delay_alu instid0(TRANS32_DEP_2) | instid1(VALU_DEP_2)
	v_ldexp_f32 v7, v7, v11
	s_waitcnt_depctr 0xfff
	v_ldexp_f32 v4, v4, v8
	s_delay_alu instid0(VALU_DEP_1) | instskip(SKIP_3) | instid1(VALU_DEP_1)
	v_cndmask_b32_e32 v4, 0, v4, vcc_lo
	v_sub_f32_e32 v6, v6, v13
	v_cmp_ngt_f32_e32 vcc_lo, 0xc2ce8ed0, v2
	v_dual_fmac_f32 v12, 0x32a5705f, v0 :: v_dual_cndmask_b32 v5, 0, v5
	v_add_f32_e32 v6, v6, v12
	v_cmp_ngt_f32_e32 vcc_lo, 0xc2ce8ed0, v0
	s_delay_alu instid0(VALU_DEP_2) | instskip(SKIP_2) | instid1(VALU_DEP_1)
	v_exp_f32_e32 v6, v6
	s_waitcnt_depctr 0xfff
	v_ldexp_f32 v6, v6, v10
	v_cndmask_b32_e32 v6, 0, v6, vcc_lo
	v_cmp_nlt_f32_e32 vcc_lo, 0x42b17218, v3
	v_cndmask_b32_e32 v3, 0x7f800000, v4, vcc_lo
	v_cmp_nlt_f32_e32 vcc_lo, 0x42b17218, v2
	v_cndmask_b32_e32 v2, 0x7f800000, v5, vcc_lo
	v_cmp_ngt_f32_e32 vcc_lo, 0xc2ce8ed0, v1
	s_delay_alu instid0(VALU_DEP_2) | instskip(SKIP_3) | instid1(VALU_DEP_4)
	v_dual_add_f32 v5, v3, v2 :: v_dual_cndmask_b32 v4, 0, v7
	v_cmp_nlt_f32_e32 vcc_lo, 0x42b17218, v0
	v_cndmask_b32_e32 v0, 0x7f800000, v6, vcc_lo
	v_cmp_nlt_f32_e32 vcc_lo, 0x42b17218, v1
	v_cndmask_b32_e32 v1, 0x7f800000, v4, vcc_lo
	s_delay_alu instid0(VALU_DEP_3) | instskip(NEXT) | instid1(VALU_DEP_1)
	v_add_f32_e32 v4, v5, v0
	v_add_f32_e32 v4, v4, v1
	s_delay_alu instid0(VALU_DEP_1) | instskip(SKIP_1) | instid1(VALU_DEP_2)
	v_div_scale_f32 v5, null, v4, v4, 1.0
	v_div_scale_f32 v8, vcc_lo, 1.0, v4, 1.0
	v_rcp_f32_e32 v6, v5
	s_waitcnt_depctr 0xfff
	v_fma_f32 v7, -v5, v6, 1.0
	s_delay_alu instid0(VALU_DEP_1) | instskip(NEXT) | instid1(VALU_DEP_1)
	v_fmac_f32_e32 v6, v7, v6
	v_mul_f32_e32 v7, v8, v6
	s_delay_alu instid0(VALU_DEP_1) | instskip(NEXT) | instid1(VALU_DEP_1)
	v_fma_f32 v9, -v5, v7, v8
	v_fmac_f32_e32 v7, v9, v6
	s_delay_alu instid0(VALU_DEP_1) | instskip(NEXT) | instid1(VALU_DEP_1)
	v_fma_f32 v5, -v5, v7, v8
	v_div_fmas_f32 v5, v5, v6, v7
	s_delay_alu instid0(VALU_DEP_1) | instskip(NEXT) | instid1(VALU_DEP_1)
	v_div_fixup_f32 v4, v5, v4, 1.0
	v_mul_f32_e32 v3, v4, v3
	v_mul_f32_e32 v2, v4, v2
	;; [unrolled: 1-line block ×4, first 2 shown]
	s_delay_alu instid0(VALU_DEP_4)
	v_cmp_class_f32_e64 vcc_lo, v3, 0x1f8
	v_cndmask_b32_e32 v0, 0, v3, vcc_lo
	v_cmp_class_f32_e64 vcc_lo, v2, 0x1f8
	v_cndmask_b32_e32 v1, 0, v2, vcc_lo
	;; [unrolled: 2-line block ×4, first 2 shown]
	s_cbranch_scc1 .LBB152_10
; %bb.4:
	s_load_b128 s[4:7], s[2:3], 0x0
	s_waitcnt lgkmcnt(0)
	v_dual_add_f32 v4, s4, v0 :: v_dual_add_f32 v5, s5, v1
	v_dual_add_f32 v6, s6, v2 :: v_dual_add_f32 v7, s7, v3
	s_cbranch_execnz .LBB152_6
.LBB152_5:
	v_dual_mov_b32 v7, v3 :: v_dual_mov_b32 v6, v2
	v_dual_mov_b32 v5, v1 :: v_dual_mov_b32 v4, v0
.LBB152_6:
	s_load_b128 s[4:7], s[0:1], 0x30
	s_waitcnt lgkmcnt(0)
	s_bitcmp1_b32 s7, 0
	s_mov_b32 s7, 0
	s_cselect_b32 vcc_lo, -1, 0
	s_cmp_gt_i32 s4, 0
	s_cselect_b32 s3, -1, 0
	s_cmp_lt_i32 s4, 1
	s_cbranch_scc1 .LBB152_11
; %bb.7:
	v_mul_lo_u32 v8, v14, s4
	s_load_b128 s[12:15], s[0:1], 0x20
	v_dual_mov_b32 v15, 0 :: v_dual_mov_b32 v16, v14
	s_delay_alu instid0(VALU_DEP_2) | instskip(NEXT) | instid1(VALU_DEP_1)
	v_ashrrev_i32_e32 v9, 31, v8
	v_lshlrev_b64 v[12:13], 2, v[8:9]
	s_delay_alu instid0(VALU_DEP_1) | instskip(NEXT) | instid1(VALU_DEP_1)
	v_add_co_u32 v8, s0, s8, v12
	v_add_co_ci_u32_e64 v9, s0, s9, v13, s0
	s_waitcnt lgkmcnt(0)
	v_add_co_u32 v10, s0, s12, v12
	s_delay_alu instid0(VALU_DEP_1) | instskip(SKIP_1) | instid1(VALU_DEP_1)
	v_add_co_ci_u32_e64 v11, s0, s13, v13, s0
	v_add_co_u32 v12, s0, s14, v12
	v_add_co_ci_u32_e64 v13, s0, s15, v13, s0
.LBB152_8:                              ; =>This Inner Loop Header: Depth=1
	v_cmp_gt_f32_e64 s0, v5, v4
	s_add_i32 s7, s7, 1
	s_delay_alu instid0(VALU_DEP_1) | instskip(SKIP_2) | instid1(VALU_DEP_3)
	v_cndmask_b32_e64 v17, v4, v5, s0
	v_cndmask_b32_e64 v18, v0, v1, s0
	;; [unrolled: 1-line block ×3, first 2 shown]
	v_cmp_gt_f32_e64 s1, v6, v17
	s_delay_alu instid0(VALU_DEP_1) | instskip(NEXT) | instid1(VALU_DEP_4)
	v_cndmask_b32_e64 v17, v17, v6, s1
	v_cndmask_b32_e64 v18, v18, v2, s1
	s_delay_alu instid0(VALU_DEP_4) | instskip(NEXT) | instid1(VALU_DEP_3)
	v_cndmask_b32_e64 v19, v19, 2, s1
	v_cmp_gt_f32_e64 s0, v7, v17
	s_delay_alu instid0(VALU_DEP_1) | instskip(NEXT) | instid1(VALU_DEP_3)
	v_cndmask_b32_e64 v17, v18, v3, s0
	v_cndmask_b32_e64 v18, v19, 3, s0
	global_store_b32 v[8:9], v17, off
	v_cmp_le_i32_e64 s0, s5, v18
	v_cmp_gt_i32_e64 s1, s6, v18
	v_subrev_nc_u32_e32 v19, s5, v18
	v_cmp_ne_u32_e64 s2, 0, v18
	v_add_f32_e32 v17, v15, v17
	s_delay_alu instid0(VALU_DEP_4) | instskip(SKIP_1) | instid1(VALU_DEP_3)
	s_and_b32 s1, s0, s1
	v_cmp_ne_u32_e64 s0, 2, v18
	v_cndmask_b32_e64 v20, 0xc61c4000, v4, s2
	v_cmp_ne_u32_e64 s2, 1, v18
	s_delay_alu instid0(VALU_DEP_3) | instskip(SKIP_1) | instid1(VALU_DEP_2)
	v_cndmask_b32_e64 v22, 0xc61c4000, v6, s0
	s_and_b32 s0, s11, s1
	v_cndmask_b32_e64 v21, 0xc61c4000, v5, s2
	v_cndmask_b32_e64 v19, 4, v19, s0
	v_cmp_ne_u32_e64 s0, 3, v18
	s_cmp_lt_i32 s7, s4
	global_store_b32 v[10:11], v19, off
	global_store_b32 v[12:13], v16, off
	v_add_nc_u32_e32 v16, s10, v16
	v_cndmask_b32_e64 v18, 0xc61c4000, v7, s0
	s_cselect_b32 s0, -1, 0
	v_cndmask_b32_e32 v15, v15, v17, vcc_lo
	v_cndmask_b32_e64 v6, v6, v22, s0
	v_cndmask_b32_e64 v5, v5, v21, s0
	;; [unrolled: 1-line block ×4, first 2 shown]
	v_add_co_u32 v8, s0, v8, 4
	s_delay_alu instid0(VALU_DEP_1) | instskip(SKIP_1) | instid1(VALU_DEP_1)
	v_add_co_ci_u32_e64 v9, s0, 0, v9, s0
	v_add_co_u32 v10, s0, v10, 4
	v_add_co_ci_u32_e64 v11, s0, 0, v11, s0
	v_add_co_u32 v12, s0, v12, 4
	s_delay_alu instid0(VALU_DEP_1)
	v_add_co_ci_u32_e64 v13, s0, 0, v13, s0
	s_cmp_eq_u32 s4, s7
	s_cbranch_scc0 .LBB152_8
; %bb.9:
	s_and_b32 vcc_lo, exec_lo, vcc_lo
	s_cbranch_vccnz .LBB152_12
	s_branch .LBB152_15
.LBB152_10:
                                        ; implicit-def: $vgpr4_vgpr5_vgpr6_vgpr7
	s_and_not1_b32 vcc_lo, exec_lo, s12
	s_cbranch_vccz .LBB152_5
	s_branch .LBB152_6
.LBB152_11:
	v_mov_b32_e32 v15, 0
	s_and_b32 vcc_lo, exec_lo, vcc_lo
	s_cbranch_vccz .LBB152_15
.LBB152_12:
	s_and_not1_b32 vcc_lo, exec_lo, s3
	s_cbranch_vccnz .LBB152_15
; %bb.13:
	v_mul_lo_u32 v0, v14, s4
	v_cmp_lt_f32_e32 vcc_lo, 0, v15
	v_cndmask_b32_e32 v2, 1.0, v15, vcc_lo
	s_delay_alu instid0(VALU_DEP_3) | instskip(NEXT) | instid1(VALU_DEP_1)
	v_ashrrev_i32_e32 v1, 31, v0
	v_lshlrev_b64 v[0:1], 2, v[0:1]
	s_delay_alu instid0(VALU_DEP_1) | instskip(NEXT) | instid1(VALU_DEP_2)
	v_add_co_u32 v0, vcc_lo, s8, v0
	v_add_co_ci_u32_e32 v1, vcc_lo, s9, v1, vcc_lo
	.p2align	6
.LBB152_14:                             ; =>This Inner Loop Header: Depth=1
	global_load_b32 v3, v[0:1], off
	s_add_i32 s4, s4, -1
	s_delay_alu instid0(SALU_CYCLE_1) | instskip(SKIP_3) | instid1(VALU_DEP_2)
	s_cmp_lg_u32 s4, 0
	s_waitcnt vmcnt(0)
	v_div_scale_f32 v4, null, v2, v2, v3
	v_div_scale_f32 v7, vcc_lo, v3, v2, v3
	v_rcp_f32_e32 v5, v4
	s_waitcnt_depctr 0xfff
	v_fma_f32 v6, -v4, v5, 1.0
	s_delay_alu instid0(VALU_DEP_1) | instskip(NEXT) | instid1(VALU_DEP_1)
	v_fmac_f32_e32 v5, v6, v5
	v_mul_f32_e32 v6, v7, v5
	s_delay_alu instid0(VALU_DEP_1) | instskip(NEXT) | instid1(VALU_DEP_1)
	v_fma_f32 v8, -v4, v6, v7
	v_fmac_f32_e32 v6, v8, v5
	s_delay_alu instid0(VALU_DEP_1) | instskip(NEXT) | instid1(VALU_DEP_1)
	v_fma_f32 v4, -v4, v6, v7
	v_div_fmas_f32 v4, v4, v5, v6
	s_delay_alu instid0(VALU_DEP_1)
	v_div_fixup_f32 v3, v4, v2, v3
	global_store_b32 v[0:1], v3, off
	v_add_co_u32 v0, vcc_lo, v0, 4
	v_add_co_ci_u32_e32 v1, vcc_lo, 0, v1, vcc_lo
	s_cbranch_scc1 .LBB152_14
.LBB152_15:
	s_nop 0
	s_sendmsg sendmsg(MSG_DEALLOC_VGPRS)
	s_endpgm
	.section	.rodata,"a",@progbits
	.p2align	6, 0x0
	.amdhsa_kernel _ZN4vllm3moe10topkGatingILi4ELi4ELi4ELi8ELi64Ej14__hip_bfloat16LNS0_11ScoringFuncE0EEEvPKT5_PKbPfiPT4_PiiiibPKf
		.amdhsa_group_segment_fixed_size 0
		.amdhsa_private_segment_fixed_size 0
		.amdhsa_kernarg_size 72
		.amdhsa_user_sgpr_count 15
		.amdhsa_user_sgpr_dispatch_ptr 0
		.amdhsa_user_sgpr_queue_ptr 0
		.amdhsa_user_sgpr_kernarg_segment_ptr 1
		.amdhsa_user_sgpr_dispatch_id 0
		.amdhsa_user_sgpr_private_segment_size 0
		.amdhsa_wavefront_size32 1
		.amdhsa_uses_dynamic_stack 0
		.amdhsa_enable_private_segment 0
		.amdhsa_system_sgpr_workgroup_id_x 1
		.amdhsa_system_sgpr_workgroup_id_y 0
		.amdhsa_system_sgpr_workgroup_id_z 0
		.amdhsa_system_sgpr_workgroup_info 0
		.amdhsa_system_vgpr_workitem_id 1
		.amdhsa_next_free_vgpr 23
		.amdhsa_next_free_sgpr 16
		.amdhsa_reserve_vcc 1
		.amdhsa_float_round_mode_32 0
		.amdhsa_float_round_mode_16_64 0
		.amdhsa_float_denorm_mode_32 3
		.amdhsa_float_denorm_mode_16_64 3
		.amdhsa_dx10_clamp 1
		.amdhsa_ieee_mode 1
		.amdhsa_fp16_overflow 0
		.amdhsa_workgroup_processor_mode 1
		.amdhsa_memory_ordered 1
		.amdhsa_forward_progress 0
		.amdhsa_shared_vgpr_count 0
		.amdhsa_exception_fp_ieee_invalid_op 0
		.amdhsa_exception_fp_denorm_src 0
		.amdhsa_exception_fp_ieee_div_zero 0
		.amdhsa_exception_fp_ieee_overflow 0
		.amdhsa_exception_fp_ieee_underflow 0
		.amdhsa_exception_fp_ieee_inexact 0
		.amdhsa_exception_int_div_zero 0
	.end_amdhsa_kernel
	.section	.text._ZN4vllm3moe10topkGatingILi4ELi4ELi4ELi8ELi64Ej14__hip_bfloat16LNS0_11ScoringFuncE0EEEvPKT5_PKbPfiPT4_PiiiibPKf,"axG",@progbits,_ZN4vllm3moe10topkGatingILi4ELi4ELi4ELi8ELi64Ej14__hip_bfloat16LNS0_11ScoringFuncE0EEEvPKT5_PKbPfiPT4_PiiiibPKf,comdat
.Lfunc_end152:
	.size	_ZN4vllm3moe10topkGatingILi4ELi4ELi4ELi8ELi64Ej14__hip_bfloat16LNS0_11ScoringFuncE0EEEvPKT5_PKbPfiPT4_PiiiibPKf, .Lfunc_end152-_ZN4vllm3moe10topkGatingILi4ELi4ELi4ELi8ELi64Ej14__hip_bfloat16LNS0_11ScoringFuncE0EEEvPKT5_PKbPfiPT4_PiiiibPKf
                                        ; -- End function
	.section	.AMDGPU.csdata,"",@progbits
; Kernel info:
; codeLenInByte = 1700
; NumSgprs: 18
; NumVgprs: 23
; ScratchSize: 0
; MemoryBound: 0
; FloatMode: 240
; IeeeMode: 1
; LDSByteSize: 0 bytes/workgroup (compile time only)
; SGPRBlocks: 2
; VGPRBlocks: 2
; NumSGPRsForWavesPerEU: 18
; NumVGPRsForWavesPerEU: 23
; Occupancy: 16
; WaveLimiterHint : 0
; COMPUTE_PGM_RSRC2:SCRATCH_EN: 0
; COMPUTE_PGM_RSRC2:USER_SGPR: 15
; COMPUTE_PGM_RSRC2:TRAP_HANDLER: 0
; COMPUTE_PGM_RSRC2:TGID_X_EN: 1
; COMPUTE_PGM_RSRC2:TGID_Y_EN: 0
; COMPUTE_PGM_RSRC2:TGID_Z_EN: 0
; COMPUTE_PGM_RSRC2:TIDIG_COMP_CNT: 1
	.section	.text._ZN4vllm3moe10topkGatingILi4ELi4ELi4ELi8ELi32Ej14__hip_bfloat16LNS0_11ScoringFuncE0EEEvPKT5_PKbPfiPT4_PiiiibPKf,"axG",@progbits,_ZN4vllm3moe10topkGatingILi4ELi4ELi4ELi8ELi32Ej14__hip_bfloat16LNS0_11ScoringFuncE0EEEvPKT5_PKbPfiPT4_PiiiibPKf,comdat
	.protected	_ZN4vllm3moe10topkGatingILi4ELi4ELi4ELi8ELi32Ej14__hip_bfloat16LNS0_11ScoringFuncE0EEEvPKT5_PKbPfiPT4_PiiiibPKf ; -- Begin function _ZN4vllm3moe10topkGatingILi4ELi4ELi4ELi8ELi32Ej14__hip_bfloat16LNS0_11ScoringFuncE0EEEvPKT5_PKbPfiPT4_PiiiibPKf
	.globl	_ZN4vllm3moe10topkGatingILi4ELi4ELi4ELi8ELi32Ej14__hip_bfloat16LNS0_11ScoringFuncE0EEEvPKT5_PKbPfiPT4_PiiiibPKf
	.p2align	8
	.type	_ZN4vllm3moe10topkGatingILi4ELi4ELi4ELi8ELi32Ej14__hip_bfloat16LNS0_11ScoringFuncE0EEEvPKT5_PKbPfiPT4_PiiiibPKf,@function
_ZN4vllm3moe10topkGatingILi4ELi4ELi4ELi8ELi32Ej14__hip_bfloat16LNS0_11ScoringFuncE0EEEvPKT5_PKbPfiPT4_PiiiibPKf: ; @_ZN4vllm3moe10topkGatingILi4ELi4ELi4ELi8ELi32Ej14__hip_bfloat16LNS0_11ScoringFuncE0EEEvPKT5_PKbPfiPT4_PiiiibPKf
; %bb.0:
	s_load_b32 s10, s[0:1], 0x18
	v_bfe_u32 v1, v0, 10, 10
	v_and_b32_e32 v0, 0x3ff, v0
	s_lshl_b32 s2, s15, 7
	s_delay_alu instid0(VALU_DEP_2) | instskip(NEXT) | instid1(VALU_DEP_1)
	v_lshlrev_b32_e32 v1, 5, v1
	v_add3_u32 v14, v1, v0, s2
	s_mov_b32 s2, exec_lo
	s_waitcnt lgkmcnt(0)
	s_delay_alu instid0(VALU_DEP_1)
	v_cmpx_gt_i32_e64 s10, v14
	s_cbranch_execz .LBB153_15
; %bb.1:
	s_clause 0x1
	s_load_b128 s[4:7], s[0:1], 0x0
	s_load_b64 s[8:9], s[0:1], 0x10
	s_mov_b32 s12, -1
	s_mov_b32 s11, -1
	s_waitcnt lgkmcnt(0)
	s_cmp_eq_u64 s[6:7], 0
	s_cbranch_scc1 .LBB153_3
; %bb.2:
	v_ashrrev_i32_e32 v1, 31, v14
	v_add_co_u32 v0, vcc_lo, s6, v14
	s_delay_alu instid0(VALU_DEP_2) | instskip(SKIP_3) | instid1(VALU_DEP_1)
	v_add_co_ci_u32_e32 v1, vcc_lo, s7, v1, vcc_lo
	global_load_u8 v0, v[0:1], off
	s_waitcnt vmcnt(0)
	v_and_b32_e32 v0, 1, v0
	v_cmp_eq_u32_e32 vcc_lo, 1, v0
	s_xor_b32 s2, vcc_lo, -1
	s_delay_alu instid0(SALU_CYCLE_1)
	s_or_not1_b32 s11, s2, exec_lo
.LBB153_3:
	v_lshlrev_b32_e32 v0, 2, v14
	s_load_b64 s[2:3], s[0:1], 0x40
	s_delay_alu instid0(VALU_DEP_1) | instskip(NEXT) | instid1(VALU_DEP_1)
	v_ashrrev_i32_e32 v1, 31, v0
	v_lshlrev_b64 v[0:1], 1, v[0:1]
	s_delay_alu instid0(VALU_DEP_1) | instskip(NEXT) | instid1(VALU_DEP_2)
	v_add_co_u32 v0, vcc_lo, s4, v0
	v_add_co_ci_u32_e32 v1, vcc_lo, s5, v1, vcc_lo
	s_waitcnt lgkmcnt(0)
	s_cmp_eq_u64 s[2:3], 0
	global_load_b64 v[0:1], v[0:1], off
	s_waitcnt vmcnt(0)
	v_and_b32_e32 v2, 0xffff0000, v0
	v_lshlrev_b32_e32 v3, 16, v0
	v_alignbit_b32 v0, v1, v0, 16
	s_delay_alu instid0(VALU_DEP_2) | instskip(SKIP_1) | instid1(VALU_DEP_3)
	v_dual_max_f32 v4, v2, v2 :: v_dual_max_f32 v5, v3, v3
	v_and_b32_e32 v1, 0xffff0000, v1
	v_and_b32_e32 v0, 0xffff0000, v0
	s_delay_alu instid0(VALU_DEP_3) | instskip(NEXT) | instid1(VALU_DEP_1)
	v_max_f32_e32 v4, v5, v4
	v_max3_f32 v4, v4, v0, v1
	s_delay_alu instid0(VALU_DEP_1) | instskip(SKIP_1) | instid1(VALU_DEP_1)
	v_sub_f32_e32 v3, v3, v4
	v_sub_f32_e32 v1, v1, v4
	v_dual_sub_f32 v2, v2, v4 :: v_dual_mul_f32 v7, 0x3fb8aa3b, v1
	s_delay_alu instid0(VALU_DEP_1) | instskip(NEXT) | instid1(VALU_DEP_2)
	v_mul_f32_e32 v5, 0x3fb8aa3b, v2
	v_fma_f32 v15, 0x3fb8aa3b, v1, -v7
	s_delay_alu instid0(VALU_DEP_2) | instskip(SKIP_2) | instid1(VALU_DEP_2)
	v_fma_f32 v10, 0x3fb8aa3b, v2, -v5
	v_rndne_f32_e32 v11, v5
	v_rndne_f32_e32 v16, v7
	v_dual_fmac_f32 v10, 0x32a5705f, v2 :: v_dual_sub_f32 v5, v5, v11
	s_delay_alu instid0(VALU_DEP_2) | instskip(NEXT) | instid1(VALU_DEP_2)
	v_sub_f32_e32 v7, v7, v16
	v_dual_add_f32 v5, v5, v10 :: v_dual_sub_f32 v0, v0, v4
	v_mul_f32_e32 v4, 0x3fb8aa3b, v3
	v_fmac_f32_e32 v15, 0x32a5705f, v1
	s_delay_alu instid0(VALU_DEP_3) | instskip(NEXT) | instid1(VALU_DEP_3)
	v_exp_f32_e32 v5, v5
	v_mul_f32_e32 v6, 0x3fb8aa3b, v0
	s_delay_alu instid0(VALU_DEP_3) | instskip(SKIP_2) | instid1(VALU_DEP_4)
	v_fma_f32 v8, 0x3fb8aa3b, v3, -v4
	v_rndne_f32_e32 v9, v4
	v_add_f32_e32 v7, v7, v15
	v_fma_f32 v12, 0x3fb8aa3b, v0, -v6
	v_rndne_f32_e32 v13, v6
	s_delay_alu instid0(VALU_DEP_4) | instskip(SKIP_4) | instid1(VALU_DEP_3)
	v_sub_f32_e32 v4, v4, v9
	v_fmac_f32_e32 v8, 0x32a5705f, v3
	v_cmp_ngt_f32_e32 vcc_lo, 0xc2ce8ed0, v3
	v_exp_f32_e32 v7, v7
	v_cvt_i32_f32_e32 v10, v13
	v_add_f32_e32 v4, v4, v8
	v_cvt_i32_f32_e32 v8, v9
	v_cvt_i32_f32_e32 v9, v11
	;; [unrolled: 1-line block ×3, first 2 shown]
	s_delay_alu instid0(VALU_DEP_4) | instskip(NEXT) | instid1(VALU_DEP_2)
	v_exp_f32_e32 v4, v4
	v_ldexp_f32 v5, v5, v9
	s_delay_alu instid0(TRANS32_DEP_2) | instid1(VALU_DEP_2)
	v_ldexp_f32 v7, v7, v11
	s_waitcnt_depctr 0xfff
	v_ldexp_f32 v4, v4, v8
	s_delay_alu instid0(VALU_DEP_1) | instskip(SKIP_3) | instid1(VALU_DEP_1)
	v_cndmask_b32_e32 v4, 0, v4, vcc_lo
	v_sub_f32_e32 v6, v6, v13
	v_cmp_ngt_f32_e32 vcc_lo, 0xc2ce8ed0, v2
	v_dual_fmac_f32 v12, 0x32a5705f, v0 :: v_dual_cndmask_b32 v5, 0, v5
	v_add_f32_e32 v6, v6, v12
	v_cmp_ngt_f32_e32 vcc_lo, 0xc2ce8ed0, v0
	s_delay_alu instid0(VALU_DEP_2) | instskip(SKIP_2) | instid1(VALU_DEP_1)
	v_exp_f32_e32 v6, v6
	s_waitcnt_depctr 0xfff
	v_ldexp_f32 v6, v6, v10
	v_cndmask_b32_e32 v6, 0, v6, vcc_lo
	v_cmp_nlt_f32_e32 vcc_lo, 0x42b17218, v3
	v_cndmask_b32_e32 v3, 0x7f800000, v4, vcc_lo
	v_cmp_nlt_f32_e32 vcc_lo, 0x42b17218, v2
	v_cndmask_b32_e32 v2, 0x7f800000, v5, vcc_lo
	v_cmp_ngt_f32_e32 vcc_lo, 0xc2ce8ed0, v1
	s_delay_alu instid0(VALU_DEP_2) | instskip(SKIP_3) | instid1(VALU_DEP_4)
	v_dual_add_f32 v5, v3, v2 :: v_dual_cndmask_b32 v4, 0, v7
	v_cmp_nlt_f32_e32 vcc_lo, 0x42b17218, v0
	v_cndmask_b32_e32 v0, 0x7f800000, v6, vcc_lo
	v_cmp_nlt_f32_e32 vcc_lo, 0x42b17218, v1
	v_cndmask_b32_e32 v1, 0x7f800000, v4, vcc_lo
	s_delay_alu instid0(VALU_DEP_3) | instskip(NEXT) | instid1(VALU_DEP_1)
	v_add_f32_e32 v4, v5, v0
	v_add_f32_e32 v4, v4, v1
	s_delay_alu instid0(VALU_DEP_1) | instskip(SKIP_1) | instid1(VALU_DEP_2)
	v_div_scale_f32 v5, null, v4, v4, 1.0
	v_div_scale_f32 v8, vcc_lo, 1.0, v4, 1.0
	v_rcp_f32_e32 v6, v5
	s_waitcnt_depctr 0xfff
	v_fma_f32 v7, -v5, v6, 1.0
	s_delay_alu instid0(VALU_DEP_1) | instskip(NEXT) | instid1(VALU_DEP_1)
	v_fmac_f32_e32 v6, v7, v6
	v_mul_f32_e32 v7, v8, v6
	s_delay_alu instid0(VALU_DEP_1) | instskip(NEXT) | instid1(VALU_DEP_1)
	v_fma_f32 v9, -v5, v7, v8
	v_fmac_f32_e32 v7, v9, v6
	s_delay_alu instid0(VALU_DEP_1) | instskip(NEXT) | instid1(VALU_DEP_1)
	v_fma_f32 v5, -v5, v7, v8
	v_div_fmas_f32 v5, v5, v6, v7
	s_delay_alu instid0(VALU_DEP_1) | instskip(NEXT) | instid1(VALU_DEP_1)
	v_div_fixup_f32 v4, v5, v4, 1.0
	v_mul_f32_e32 v3, v4, v3
	v_mul_f32_e32 v2, v4, v2
	;; [unrolled: 1-line block ×4, first 2 shown]
	s_delay_alu instid0(VALU_DEP_4)
	v_cmp_class_f32_e64 vcc_lo, v3, 0x1f8
	v_cndmask_b32_e32 v0, 0, v3, vcc_lo
	v_cmp_class_f32_e64 vcc_lo, v2, 0x1f8
	v_cndmask_b32_e32 v1, 0, v2, vcc_lo
	;; [unrolled: 2-line block ×4, first 2 shown]
	s_cbranch_scc1 .LBB153_10
; %bb.4:
	s_load_b128 s[4:7], s[2:3], 0x0
	s_waitcnt lgkmcnt(0)
	v_dual_add_f32 v4, s4, v0 :: v_dual_add_f32 v5, s5, v1
	v_dual_add_f32 v6, s6, v2 :: v_dual_add_f32 v7, s7, v3
	s_cbranch_execnz .LBB153_6
.LBB153_5:
	v_dual_mov_b32 v7, v3 :: v_dual_mov_b32 v6, v2
	v_dual_mov_b32 v5, v1 :: v_dual_mov_b32 v4, v0
.LBB153_6:
	s_load_b128 s[4:7], s[0:1], 0x30
	s_waitcnt lgkmcnt(0)
	s_bitcmp1_b32 s7, 0
	s_mov_b32 s7, 0
	s_cselect_b32 vcc_lo, -1, 0
	s_cmp_gt_i32 s4, 0
	s_cselect_b32 s3, -1, 0
	s_cmp_lt_i32 s4, 1
	s_cbranch_scc1 .LBB153_11
; %bb.7:
	v_mul_lo_u32 v8, v14, s4
	s_load_b128 s[12:15], s[0:1], 0x20
	v_dual_mov_b32 v15, 0 :: v_dual_mov_b32 v16, v14
	s_delay_alu instid0(VALU_DEP_2) | instskip(NEXT) | instid1(VALU_DEP_1)
	v_ashrrev_i32_e32 v9, 31, v8
	v_lshlrev_b64 v[12:13], 2, v[8:9]
	s_delay_alu instid0(VALU_DEP_1) | instskip(NEXT) | instid1(VALU_DEP_1)
	v_add_co_u32 v8, s0, s8, v12
	v_add_co_ci_u32_e64 v9, s0, s9, v13, s0
	s_waitcnt lgkmcnt(0)
	v_add_co_u32 v10, s0, s12, v12
	s_delay_alu instid0(VALU_DEP_1) | instskip(SKIP_1) | instid1(VALU_DEP_1)
	v_add_co_ci_u32_e64 v11, s0, s13, v13, s0
	v_add_co_u32 v12, s0, s14, v12
	v_add_co_ci_u32_e64 v13, s0, s15, v13, s0
.LBB153_8:                              ; =>This Inner Loop Header: Depth=1
	v_cmp_gt_f32_e64 s0, v5, v4
	s_add_i32 s7, s7, 1
	s_delay_alu instid0(VALU_DEP_1) | instskip(SKIP_2) | instid1(VALU_DEP_3)
	v_cndmask_b32_e64 v17, v4, v5, s0
	v_cndmask_b32_e64 v18, v0, v1, s0
	;; [unrolled: 1-line block ×3, first 2 shown]
	v_cmp_gt_f32_e64 s1, v6, v17
	s_delay_alu instid0(VALU_DEP_1) | instskip(NEXT) | instid1(VALU_DEP_4)
	v_cndmask_b32_e64 v17, v17, v6, s1
	v_cndmask_b32_e64 v18, v18, v2, s1
	s_delay_alu instid0(VALU_DEP_4) | instskip(NEXT) | instid1(VALU_DEP_3)
	v_cndmask_b32_e64 v19, v19, 2, s1
	v_cmp_gt_f32_e64 s0, v7, v17
	s_delay_alu instid0(VALU_DEP_1) | instskip(NEXT) | instid1(VALU_DEP_3)
	v_cndmask_b32_e64 v17, v18, v3, s0
	v_cndmask_b32_e64 v18, v19, 3, s0
	global_store_b32 v[8:9], v17, off
	v_cmp_le_i32_e64 s0, s5, v18
	v_cmp_gt_i32_e64 s1, s6, v18
	v_subrev_nc_u32_e32 v19, s5, v18
	v_cmp_ne_u32_e64 s2, 0, v18
	v_add_f32_e32 v17, v15, v17
	s_delay_alu instid0(VALU_DEP_4) | instskip(SKIP_1) | instid1(VALU_DEP_3)
	s_and_b32 s1, s0, s1
	v_cmp_ne_u32_e64 s0, 2, v18
	v_cndmask_b32_e64 v20, 0xc61c4000, v4, s2
	v_cmp_ne_u32_e64 s2, 1, v18
	s_delay_alu instid0(VALU_DEP_3) | instskip(SKIP_1) | instid1(VALU_DEP_2)
	v_cndmask_b32_e64 v22, 0xc61c4000, v6, s0
	s_and_b32 s0, s11, s1
	v_cndmask_b32_e64 v21, 0xc61c4000, v5, s2
	v_cndmask_b32_e64 v19, 4, v19, s0
	v_cmp_ne_u32_e64 s0, 3, v18
	s_cmp_lt_i32 s7, s4
	global_store_b32 v[10:11], v19, off
	global_store_b32 v[12:13], v16, off
	v_add_nc_u32_e32 v16, s10, v16
	v_cndmask_b32_e64 v18, 0xc61c4000, v7, s0
	s_cselect_b32 s0, -1, 0
	v_cndmask_b32_e32 v15, v15, v17, vcc_lo
	v_cndmask_b32_e64 v6, v6, v22, s0
	v_cndmask_b32_e64 v5, v5, v21, s0
	v_cndmask_b32_e64 v7, v7, v18, s0
	v_cndmask_b32_e64 v4, v4, v20, s0
	v_add_co_u32 v8, s0, v8, 4
	s_delay_alu instid0(VALU_DEP_1) | instskip(SKIP_1) | instid1(VALU_DEP_1)
	v_add_co_ci_u32_e64 v9, s0, 0, v9, s0
	v_add_co_u32 v10, s0, v10, 4
	v_add_co_ci_u32_e64 v11, s0, 0, v11, s0
	v_add_co_u32 v12, s0, v12, 4
	s_delay_alu instid0(VALU_DEP_1)
	v_add_co_ci_u32_e64 v13, s0, 0, v13, s0
	s_cmp_eq_u32 s4, s7
	s_cbranch_scc0 .LBB153_8
; %bb.9:
	s_and_b32 vcc_lo, exec_lo, vcc_lo
	s_cbranch_vccnz .LBB153_12
	s_branch .LBB153_15
.LBB153_10:
                                        ; implicit-def: $vgpr4_vgpr5_vgpr6_vgpr7
	s_and_not1_b32 vcc_lo, exec_lo, s12
	s_cbranch_vccz .LBB153_5
	s_branch .LBB153_6
.LBB153_11:
	v_mov_b32_e32 v15, 0
	s_and_b32 vcc_lo, exec_lo, vcc_lo
	s_cbranch_vccz .LBB153_15
.LBB153_12:
	s_and_not1_b32 vcc_lo, exec_lo, s3
	s_cbranch_vccnz .LBB153_15
; %bb.13:
	v_mul_lo_u32 v0, v14, s4
	v_cmp_lt_f32_e32 vcc_lo, 0, v15
	v_cndmask_b32_e32 v2, 1.0, v15, vcc_lo
	s_delay_alu instid0(VALU_DEP_3) | instskip(NEXT) | instid1(VALU_DEP_1)
	v_ashrrev_i32_e32 v1, 31, v0
	v_lshlrev_b64 v[0:1], 2, v[0:1]
	s_delay_alu instid0(VALU_DEP_1) | instskip(NEXT) | instid1(VALU_DEP_2)
	v_add_co_u32 v0, vcc_lo, s8, v0
	v_add_co_ci_u32_e32 v1, vcc_lo, s9, v1, vcc_lo
	.p2align	6
.LBB153_14:                             ; =>This Inner Loop Header: Depth=1
	global_load_b32 v3, v[0:1], off
	s_add_i32 s4, s4, -1
	s_delay_alu instid0(SALU_CYCLE_1) | instskip(SKIP_3) | instid1(VALU_DEP_2)
	s_cmp_lg_u32 s4, 0
	s_waitcnt vmcnt(0)
	v_div_scale_f32 v4, null, v2, v2, v3
	v_div_scale_f32 v7, vcc_lo, v3, v2, v3
	v_rcp_f32_e32 v5, v4
	s_waitcnt_depctr 0xfff
	v_fma_f32 v6, -v4, v5, 1.0
	s_delay_alu instid0(VALU_DEP_1) | instskip(NEXT) | instid1(VALU_DEP_1)
	v_fmac_f32_e32 v5, v6, v5
	v_mul_f32_e32 v6, v7, v5
	s_delay_alu instid0(VALU_DEP_1) | instskip(NEXT) | instid1(VALU_DEP_1)
	v_fma_f32 v8, -v4, v6, v7
	v_fmac_f32_e32 v6, v8, v5
	s_delay_alu instid0(VALU_DEP_1) | instskip(NEXT) | instid1(VALU_DEP_1)
	v_fma_f32 v4, -v4, v6, v7
	v_div_fmas_f32 v4, v4, v5, v6
	s_delay_alu instid0(VALU_DEP_1)
	v_div_fixup_f32 v3, v4, v2, v3
	global_store_b32 v[0:1], v3, off
	v_add_co_u32 v0, vcc_lo, v0, 4
	v_add_co_ci_u32_e32 v1, vcc_lo, 0, v1, vcc_lo
	s_cbranch_scc1 .LBB153_14
.LBB153_15:
	s_nop 0
	s_sendmsg sendmsg(MSG_DEALLOC_VGPRS)
	s_endpgm
	.section	.rodata,"a",@progbits
	.p2align	6, 0x0
	.amdhsa_kernel _ZN4vllm3moe10topkGatingILi4ELi4ELi4ELi8ELi32Ej14__hip_bfloat16LNS0_11ScoringFuncE0EEEvPKT5_PKbPfiPT4_PiiiibPKf
		.amdhsa_group_segment_fixed_size 0
		.amdhsa_private_segment_fixed_size 0
		.amdhsa_kernarg_size 72
		.amdhsa_user_sgpr_count 15
		.amdhsa_user_sgpr_dispatch_ptr 0
		.amdhsa_user_sgpr_queue_ptr 0
		.amdhsa_user_sgpr_kernarg_segment_ptr 1
		.amdhsa_user_sgpr_dispatch_id 0
		.amdhsa_user_sgpr_private_segment_size 0
		.amdhsa_wavefront_size32 1
		.amdhsa_uses_dynamic_stack 0
		.amdhsa_enable_private_segment 0
		.amdhsa_system_sgpr_workgroup_id_x 1
		.amdhsa_system_sgpr_workgroup_id_y 0
		.amdhsa_system_sgpr_workgroup_id_z 0
		.amdhsa_system_sgpr_workgroup_info 0
		.amdhsa_system_vgpr_workitem_id 1
		.amdhsa_next_free_vgpr 23
		.amdhsa_next_free_sgpr 16
		.amdhsa_reserve_vcc 1
		.amdhsa_float_round_mode_32 0
		.amdhsa_float_round_mode_16_64 0
		.amdhsa_float_denorm_mode_32 3
		.amdhsa_float_denorm_mode_16_64 3
		.amdhsa_dx10_clamp 1
		.amdhsa_ieee_mode 1
		.amdhsa_fp16_overflow 0
		.amdhsa_workgroup_processor_mode 1
		.amdhsa_memory_ordered 1
		.amdhsa_forward_progress 0
		.amdhsa_shared_vgpr_count 0
		.amdhsa_exception_fp_ieee_invalid_op 0
		.amdhsa_exception_fp_denorm_src 0
		.amdhsa_exception_fp_ieee_div_zero 0
		.amdhsa_exception_fp_ieee_overflow 0
		.amdhsa_exception_fp_ieee_underflow 0
		.amdhsa_exception_fp_ieee_inexact 0
		.amdhsa_exception_int_div_zero 0
	.end_amdhsa_kernel
	.section	.text._ZN4vllm3moe10topkGatingILi4ELi4ELi4ELi8ELi32Ej14__hip_bfloat16LNS0_11ScoringFuncE0EEEvPKT5_PKbPfiPT4_PiiiibPKf,"axG",@progbits,_ZN4vllm3moe10topkGatingILi4ELi4ELi4ELi8ELi32Ej14__hip_bfloat16LNS0_11ScoringFuncE0EEEvPKT5_PKbPfiPT4_PiiiibPKf,comdat
.Lfunc_end153:
	.size	_ZN4vllm3moe10topkGatingILi4ELi4ELi4ELi8ELi32Ej14__hip_bfloat16LNS0_11ScoringFuncE0EEEvPKT5_PKbPfiPT4_PiiiibPKf, .Lfunc_end153-_ZN4vllm3moe10topkGatingILi4ELi4ELi4ELi8ELi32Ej14__hip_bfloat16LNS0_11ScoringFuncE0EEEvPKT5_PKbPfiPT4_PiiiibPKf
                                        ; -- End function
	.section	.AMDGPU.csdata,"",@progbits
; Kernel info:
; codeLenInByte = 1700
; NumSgprs: 18
; NumVgprs: 23
; ScratchSize: 0
; MemoryBound: 0
; FloatMode: 240
; IeeeMode: 1
; LDSByteSize: 0 bytes/workgroup (compile time only)
; SGPRBlocks: 2
; VGPRBlocks: 2
; NumSGPRsForWavesPerEU: 18
; NumVGPRsForWavesPerEU: 23
; Occupancy: 16
; WaveLimiterHint : 0
; COMPUTE_PGM_RSRC2:SCRATCH_EN: 0
; COMPUTE_PGM_RSRC2:USER_SGPR: 15
; COMPUTE_PGM_RSRC2:TRAP_HANDLER: 0
; COMPUTE_PGM_RSRC2:TGID_X_EN: 1
; COMPUTE_PGM_RSRC2:TGID_Y_EN: 0
; COMPUTE_PGM_RSRC2:TGID_Z_EN: 0
; COMPUTE_PGM_RSRC2:TIDIG_COMP_CNT: 1
	.section	.text._ZN4vllm3moe10topkGatingILi8ELi8ELi4ELi16ELi64Ej14__hip_bfloat16LNS0_11ScoringFuncE0EEEvPKT5_PKbPfiPT4_PiiiibPKf,"axG",@progbits,_ZN4vllm3moe10topkGatingILi8ELi8ELi4ELi16ELi64Ej14__hip_bfloat16LNS0_11ScoringFuncE0EEEvPKT5_PKbPfiPT4_PiiiibPKf,comdat
	.protected	_ZN4vllm3moe10topkGatingILi8ELi8ELi4ELi16ELi64Ej14__hip_bfloat16LNS0_11ScoringFuncE0EEEvPKT5_PKbPfiPT4_PiiiibPKf ; -- Begin function _ZN4vllm3moe10topkGatingILi8ELi8ELi4ELi16ELi64Ej14__hip_bfloat16LNS0_11ScoringFuncE0EEEvPKT5_PKbPfiPT4_PiiiibPKf
	.globl	_ZN4vllm3moe10topkGatingILi8ELi8ELi4ELi16ELi64Ej14__hip_bfloat16LNS0_11ScoringFuncE0EEEvPKT5_PKbPfiPT4_PiiiibPKf
	.p2align	8
	.type	_ZN4vllm3moe10topkGatingILi8ELi8ELi4ELi16ELi64Ej14__hip_bfloat16LNS0_11ScoringFuncE0EEEvPKT5_PKbPfiPT4_PiiiibPKf,@function
_ZN4vllm3moe10topkGatingILi8ELi8ELi4ELi16ELi64Ej14__hip_bfloat16LNS0_11ScoringFuncE0EEEvPKT5_PKbPfiPT4_PiiiibPKf: ; @_ZN4vllm3moe10topkGatingILi8ELi8ELi4ELi16ELi64Ej14__hip_bfloat16LNS0_11ScoringFuncE0EEEvPKT5_PKbPfiPT4_PiiiibPKf
; %bb.0:
	s_load_b32 s14, s[0:1], 0x18
	v_bfe_u32 v1, v0, 10, 10
	v_and_b32_e32 v0, 0x3ff, v0
	s_lshl_b32 s2, s15, 8
	s_delay_alu instid0(VALU_DEP_2) | instskip(NEXT) | instid1(VALU_DEP_1)
	v_lshlrev_b32_e32 v1, 6, v1
	v_add3_u32 v16, v1, v0, s2
	s_mov_b32 s2, exec_lo
	s_waitcnt lgkmcnt(0)
	s_delay_alu instid0(VALU_DEP_1)
	v_cmpx_gt_i32_e64 s14, v16
	s_cbranch_execz .LBB154_15
; %bb.1:
	s_clause 0x1
	s_load_b128 s[4:7], s[0:1], 0x0
	s_load_b64 s[12:13], s[0:1], 0x10
	s_mov_b32 s8, -1
	s_mov_b32 s15, -1
	s_waitcnt lgkmcnt(0)
	s_cmp_eq_u64 s[6:7], 0
	s_cbranch_scc1 .LBB154_3
; %bb.2:
	v_ashrrev_i32_e32 v1, 31, v16
	v_add_co_u32 v0, vcc_lo, s6, v16
	s_delay_alu instid0(VALU_DEP_2) | instskip(SKIP_3) | instid1(VALU_DEP_1)
	v_add_co_ci_u32_e32 v1, vcc_lo, s7, v1, vcc_lo
	global_load_u8 v0, v[0:1], off
	s_waitcnt vmcnt(0)
	v_and_b32_e32 v0, 1, v0
	v_cmp_eq_u32_e32 vcc_lo, 1, v0
	s_xor_b32 s2, vcc_lo, -1
	s_delay_alu instid0(SALU_CYCLE_1)
	s_or_not1_b32 s15, s2, exec_lo
.LBB154_3:
	v_lshlrev_b32_e32 v0, 3, v16
	s_load_b64 s[2:3], s[0:1], 0x40
	s_delay_alu instid0(VALU_DEP_1) | instskip(NEXT) | instid1(VALU_DEP_1)
	v_ashrrev_i32_e32 v1, 31, v0
	v_lshlrev_b64 v[0:1], 1, v[0:1]
	s_delay_alu instid0(VALU_DEP_1) | instskip(NEXT) | instid1(VALU_DEP_2)
	v_add_co_u32 v0, vcc_lo, s4, v0
	v_add_co_ci_u32_e32 v1, vcc_lo, s5, v1, vcc_lo
	s_waitcnt lgkmcnt(0)
	s_cmp_eq_u64 s[2:3], 0
	global_load_b128 v[0:3], v[0:1], off
	s_waitcnt vmcnt(0)
	v_lshlrev_b32_e32 v7, 16, v1
	v_and_b32_e32 v4, 0xffff0000, v0
	v_and_b32_e32 v1, 0xffff0000, v1
	v_lshlrev_b32_e32 v0, 16, v0
	v_lshlrev_b32_e32 v8, 16, v3
	v_and_b32_e32 v3, 0xffff0000, v3
	v_max_f32_e32 v5, v4, v4
	s_delay_alu instid0(VALU_DEP_4) | instskip(NEXT) | instid1(VALU_DEP_1)
	v_max_f32_e32 v6, v0, v0
	v_dual_max_f32 v5, v6, v5 :: v_dual_lshlrev_b32 v6, 16, v2
	v_and_b32_e32 v2, 0xffff0000, v2
	s_delay_alu instid0(VALU_DEP_2) | instskip(NEXT) | instid1(VALU_DEP_1)
	v_max3_f32 v5, v5, v7, v1
	v_max3_f32 v5, v5, v6, v2
	s_delay_alu instid0(VALU_DEP_1) | instskip(NEXT) | instid1(VALU_DEP_1)
	v_max3_f32 v5, v5, v8, v3
	v_sub_f32_e32 v3, v3, v5
	v_sub_f32_e32 v6, v6, v5
	;; [unrolled: 1-line block ×3, first 2 shown]
	s_delay_alu instid0(VALU_DEP_3) | instskip(NEXT) | instid1(VALU_DEP_3)
	v_dual_sub_f32 v8, v8, v5 :: v_dual_mul_f32 v15, 0x3fb8aa3b, v3
	v_dual_mul_f32 v12, 0x3fb8aa3b, v6 :: v_dual_sub_f32 v7, v7, v5
	s_delay_alu instid0(VALU_DEP_3) | instskip(NEXT) | instid1(VALU_DEP_3)
	v_dual_sub_f32 v4, v4, v5 :: v_dual_mul_f32 v13, 0x3fb8aa3b, v2
	v_rndne_f32_e32 v32, v15
	s_delay_alu instid0(VALU_DEP_3) | instskip(NEXT) | instid1(VALU_DEP_4)
	v_fma_f32 v25, 0x3fb8aa3b, v6, -v12
	v_mul_f32_e32 v10, 0x3fb8aa3b, v7
	v_rndne_f32_e32 v26, v12
	v_rndne_f32_e32 v28, v13
	v_fma_f32 v31, 0x3fb8aa3b, v3, -v15
	v_mul_f32_e32 v9, 0x3fb8aa3b, v4
	v_rndne_f32_e32 v22, v10
	v_fma_f32 v21, 0x3fb8aa3b, v7, -v10
	v_sub_f32_e32 v12, v12, v26
	v_cvt_i32_f32_e32 v26, v26
	v_fma_f32 v19, 0x3fb8aa3b, v4, -v9
	v_dual_sub_f32 v10, v10, v22 :: v_dual_sub_f32 v1, v1, v5
	v_sub_f32_e32 v0, v0, v5
	v_rndne_f32_e32 v20, v9
	s_delay_alu instid0(VALU_DEP_4)
	v_fmac_f32_e32 v19, 0x32a5705f, v4
	v_cvt_i32_f32_e32 v22, v22
	v_mul_f32_e32 v11, 0x3fb8aa3b, v1
	v_mul_f32_e32 v5, 0x3fb8aa3b, v0
	v_cmp_ngt_f32_e32 vcc_lo, 0xc2ce8ed0, v0
	v_fmac_f32_e32 v31, 0x32a5705f, v3
	s_delay_alu instid0(VALU_DEP_4) | instskip(NEXT) | instid1(VALU_DEP_4)
	v_rndne_f32_e32 v24, v11
	v_fma_f32 v17, 0x3fb8aa3b, v0, -v5
	v_rndne_f32_e32 v18, v5
	v_fma_f32 v23, 0x3fb8aa3b, v1, -v11
	s_delay_alu instid0(VALU_DEP_3) | instskip(NEXT) | instid1(VALU_DEP_3)
	v_fmac_f32_e32 v17, 0x32a5705f, v0
	v_dual_sub_f32 v5, v5, v18 :: v_dual_mul_f32 v14, 0x3fb8aa3b, v8
	v_cvt_i32_f32_e32 v18, v18
	v_fma_f32 v27, 0x3fb8aa3b, v2, -v13
	s_delay_alu instid0(VALU_DEP_3) | instskip(NEXT) | instid1(VALU_DEP_4)
	v_add_f32_e32 v5, v5, v17
	v_fma_f32 v29, 0x3fb8aa3b, v8, -v14
	v_rndne_f32_e32 v30, v14
	v_sub_f32_e32 v9, v9, v20
	v_cvt_i32_f32_e32 v20, v20
	v_exp_f32_e32 v5, v5
	s_delay_alu instid0(VALU_DEP_3)
	v_dual_fmac_f32 v29, 0x32a5705f, v8 :: v_dual_sub_f32 v14, v14, v30
	v_fmac_f32_e32 v25, 0x32a5705f, v6
	v_add_f32_e32 v9, v9, v19
	v_cvt_i32_f32_e32 v17, v30
	v_cvt_i32_f32_e32 v19, v32
	v_dual_add_f32 v14, v14, v29 :: v_dual_fmac_f32 v21, 0x32a5705f, v7
	v_dual_add_f32 v12, v12, v25 :: v_dual_sub_f32 v11, v11, v24
	v_exp_f32_e32 v9, v9
	s_delay_alu instid0(TRANS32_DEP_2) | instskip(NEXT) | instid1(VALU_DEP_3)
	v_ldexp_f32 v5, v5, v18
	v_add_f32_e32 v10, v10, v21
	v_cvt_i32_f32_e32 v24, v24
	v_exp_f32_e32 v12, v12
	v_exp_f32_e32 v14, v14
	v_cndmask_b32_e32 v5, 0, v5, vcc_lo
	v_exp_f32_e32 v10, v10
	v_cmp_ngt_f32_e32 vcc_lo, 0xc2ce8ed0, v4
	v_ldexp_f32 v9, v9, v20
	s_delay_alu instid0(TRANS32_DEP_3) | instskip(NEXT) | instid1(VALU_DEP_2)
	v_ldexp_f32 v12, v12, v26
	v_cndmask_b32_e32 v9, 0, v9, vcc_lo
	v_cmp_ngt_f32_e32 vcc_lo, 0xc2ce8ed0, v7
	s_waitcnt_depctr 0xfff
	v_ldexp_f32 v10, v10, v22
	v_fmac_f32_e32 v23, 0x32a5705f, v1
	v_ldexp_f32 v14, v14, v17
	s_delay_alu instid0(VALU_DEP_2) | instskip(SKIP_3) | instid1(VALU_DEP_4)
	v_dual_cndmask_b32 v10, 0, v10 :: v_dual_add_f32 v11, v11, v23
	v_cmp_nlt_f32_e32 vcc_lo, 0x42b17218, v0
	v_sub_f32_e32 v13, v13, v28
	v_cvt_i32_f32_e32 v28, v28
	v_exp_f32_e32 v11, v11
	v_cndmask_b32_e32 v0, 0x7f800000, v5, vcc_lo
	v_cmp_nlt_f32_e32 vcc_lo, 0x42b17218, v4
	v_dual_sub_f32 v15, v15, v32 :: v_dual_cndmask_b32 v4, 0x7f800000, v9
	v_cmp_ngt_f32_e32 vcc_lo, 0xc2ce8ed0, v1
	s_delay_alu instid0(VALU_DEP_2) | instskip(SKIP_4) | instid1(VALU_DEP_2)
	v_add_f32_e32 v15, v15, v31
	s_waitcnt_depctr 0xfff
	v_ldexp_f32 v11, v11, v24
	v_add_f32_e32 v9, v0, v4
	v_exp_f32_e32 v15, v15
	v_cndmask_b32_e32 v5, 0, v11, vcc_lo
	v_cmp_nlt_f32_e32 vcc_lo, 0x42b17218, v7
	v_cndmask_b32_e32 v7, 0x7f800000, v10, vcc_lo
	v_cmp_ngt_f32_e32 vcc_lo, 0xc2ce8ed0, v6
	v_fmac_f32_e32 v27, 0x32a5705f, v2
	s_waitcnt_depctr 0xfff
	v_ldexp_f32 v15, v15, v19
	v_dual_cndmask_b32 v10, 0, v12 :: v_dual_add_f32 v13, v13, v27
	v_cmp_nlt_f32_e32 vcc_lo, 0x42b17218, v1
	s_delay_alu instid0(VALU_DEP_2) | instskip(SKIP_3) | instid1(VALU_DEP_1)
	v_exp_f32_e32 v13, v13
	v_cndmask_b32_e32 v1, 0x7f800000, v5, vcc_lo
	v_cmp_ngt_f32_e32 vcc_lo, 0xc2ce8ed0, v2
	v_add_f32_e32 v5, v9, v7
	v_add_f32_e32 v5, v5, v1
	s_waitcnt_depctr 0xfff
	v_ldexp_f32 v13, v13, v28
	s_delay_alu instid0(VALU_DEP_1) | instskip(SKIP_3) | instid1(VALU_DEP_2)
	v_cndmask_b32_e32 v9, 0, v13, vcc_lo
	v_cmp_nlt_f32_e32 vcc_lo, 0x42b17218, v6
	v_cndmask_b32_e32 v6, 0x7f800000, v10, vcc_lo
	v_cmp_ngt_f32_e32 vcc_lo, 0xc2ce8ed0, v8
	v_add_f32_e32 v5, v5, v6
	v_cndmask_b32_e32 v10, 0, v14, vcc_lo
	v_cmp_nlt_f32_e32 vcc_lo, 0x42b17218, v2
	v_cndmask_b32_e32 v2, 0x7f800000, v9, vcc_lo
	v_cmp_ngt_f32_e32 vcc_lo, 0xc2ce8ed0, v3
	s_delay_alu instid0(VALU_DEP_2) | instskip(SKIP_4) | instid1(VALU_DEP_2)
	v_add_f32_e32 v5, v5, v2
	v_cndmask_b32_e32 v9, 0, v15, vcc_lo
	v_cmp_nlt_f32_e32 vcc_lo, 0x42b17218, v8
	v_cndmask_b32_e32 v8, 0x7f800000, v10, vcc_lo
	v_cmp_nlt_f32_e32 vcc_lo, 0x42b17218, v3
	v_add_f32_e32 v5, v5, v8
	v_cndmask_b32_e32 v3, 0x7f800000, v9, vcc_lo
	s_delay_alu instid0(VALU_DEP_1) | instskip(NEXT) | instid1(VALU_DEP_1)
	v_add_f32_e32 v5, v5, v3
	v_div_scale_f32 v9, null, v5, v5, 1.0
	v_div_scale_f32 v12, vcc_lo, 1.0, v5, 1.0
	s_delay_alu instid0(VALU_DEP_2) | instskip(SKIP_2) | instid1(VALU_DEP_1)
	v_rcp_f32_e32 v10, v9
	s_waitcnt_depctr 0xfff
	v_fma_f32 v11, -v9, v10, 1.0
	v_fmac_f32_e32 v10, v11, v10
	s_delay_alu instid0(VALU_DEP_1) | instskip(NEXT) | instid1(VALU_DEP_1)
	v_mul_f32_e32 v11, v12, v10
	v_fma_f32 v13, -v9, v11, v12
	s_delay_alu instid0(VALU_DEP_1) | instskip(NEXT) | instid1(VALU_DEP_1)
	v_fmac_f32_e32 v11, v13, v10
	v_fma_f32 v9, -v9, v11, v12
	s_delay_alu instid0(VALU_DEP_1) | instskip(NEXT) | instid1(VALU_DEP_1)
	v_div_fmas_f32 v9, v9, v10, v11
	v_div_fixup_f32 v5, v9, v5, 1.0
	s_delay_alu instid0(VALU_DEP_1)
	v_mul_f32_e32 v0, v5, v0
	v_mul_f32_e32 v4, v5, v4
	;; [unrolled: 1-line block ×5, first 2 shown]
	v_cmp_class_f32_e64 vcc_lo, v0, 0x1f8
	v_mul_f32_e32 v9, v5, v1
	v_mul_f32_e32 v6, v5, v6
	v_dual_mul_f32 v11, v5, v3 :: v_dual_cndmask_b32 v0, 0, v0
	v_cmp_class_f32_e64 vcc_lo, v4, 0x1f8
	v_cndmask_b32_e32 v1, 0, v4, vcc_lo
	v_cmp_class_f32_e64 vcc_lo, v7, 0x1f8
	v_cndmask_b32_e32 v2, 0, v7, vcc_lo
	;; [unrolled: 2-line block ×7, first 2 shown]
	s_cbranch_scc1 .LBB154_10
; %bb.4:
	s_load_b256 s[4:11], s[2:3], 0x0
	s_waitcnt lgkmcnt(0)
	v_dual_add_f32 v8, s4, v0 :: v_dual_add_f32 v9, s5, v1
	v_dual_add_f32 v10, s6, v2 :: v_dual_add_f32 v11, s7, v3
	;; [unrolled: 1-line block ×4, first 2 shown]
	s_cbranch_execnz .LBB154_6
.LBB154_5:
	v_dual_mov_b32 v15, v7 :: v_dual_mov_b32 v14, v6
	v_dual_mov_b32 v13, v5 :: v_dual_mov_b32 v12, v4
	;; [unrolled: 1-line block ×4, first 2 shown]
.LBB154_6:
	s_load_b128 s[4:7], s[0:1], 0x30
	s_waitcnt lgkmcnt(0)
	s_bitcmp1_b32 s7, 0
	s_mov_b32 s7, 0
	s_cselect_b32 vcc_lo, -1, 0
	s_cmp_gt_i32 s4, 0
	s_cselect_b32 s3, -1, 0
	s_cmp_lt_i32 s4, 1
	s_cbranch_scc1 .LBB154_11
; %bb.7:
	s_load_b128 s[8:11], s[0:1], 0x20
	v_mul_lo_u32 v18, v16, s4
	v_mov_b32_e32 v17, 0
	v_mov_b32_e32 v19, v16
.LBB154_8:                              ; =>This Inner Loop Header: Depth=1
	s_delay_alu instid0(VALU_DEP_1) | instskip(NEXT) | instid1(VALU_DEP_1)
	v_cmp_gt_f32_e64 s0, v9, v8
	v_cndmask_b32_e64 v20, v8, v9, s0
	v_cndmask_b32_e64 v21, v0, v1, s0
	;; [unrolled: 1-line block ×3, first 2 shown]
	s_delay_alu instid0(VALU_DEP_3) | instskip(NEXT) | instid1(VALU_DEP_1)
	v_cmp_gt_f32_e64 s1, v10, v20
	v_cndmask_b32_e64 v20, v20, v10, s1
	s_delay_alu instid0(VALU_DEP_4) | instskip(NEXT) | instid1(VALU_DEP_4)
	v_cndmask_b32_e64 v21, v21, v2, s1
	v_cndmask_b32_e64 v22, v22, 2, s1
	s_delay_alu instid0(VALU_DEP_3) | instskip(NEXT) | instid1(VALU_DEP_1)
	v_cmp_gt_f32_e64 s0, v11, v20
	v_cndmask_b32_e64 v20, v20, v11, s0
	s_delay_alu instid0(VALU_DEP_4) | instskip(NEXT) | instid1(VALU_DEP_4)
	v_cndmask_b32_e64 v21, v21, v3, s0
	v_cndmask_b32_e64 v22, v22, 3, s0
	;; [unrolled: 6-line block ×5, first 2 shown]
	s_delay_alu instid0(VALU_DEP_3) | instskip(NEXT) | instid1(VALU_DEP_1)
	v_cmp_gt_f32_e64 s0, v15, v23
	v_cndmask_b32_e64 v26, v24, v7, s0
	s_delay_alu instid0(VALU_DEP_3) | instskip(NEXT) | instid1(VALU_DEP_2)
	v_cndmask_b32_e64 v27, v22, 7, s0
	v_add_f32_e32 v29, v17, v26
	v_add_nc_u32_e32 v20, s7, v18
	s_delay_alu instid0(VALU_DEP_3) | instskip(SKIP_4) | instid1(VALU_DEP_1)
	v_cmp_gt_i32_e64 s1, s6, v27
	v_subrev_nc_u32_e32 v28, s5, v27
	s_add_i32 s7, s7, 1
	v_cndmask_b32_e32 v17, v17, v29, vcc_lo
	v_ashrrev_i32_e32 v21, 31, v20
	v_lshlrev_b64 v[20:21], 2, v[20:21]
	s_waitcnt lgkmcnt(0)
	s_delay_alu instid0(VALU_DEP_1) | instskip(NEXT) | instid1(VALU_DEP_1)
	v_add_co_u32 v22, s0, s8, v20
	v_add_co_ci_u32_e64 v23, s0, s9, v21, s0
	v_cmp_le_i32_e64 s0, s5, v27
	v_add_co_u32 v24, s2, s10, v20
	s_delay_alu instid0(VALU_DEP_1) | instskip(NEXT) | instid1(VALU_DEP_3)
	v_add_co_ci_u32_e64 v25, s2, s11, v21, s2
	s_and_b32 s0, s0, s1
	s_delay_alu instid0(SALU_CYCLE_1) | instskip(SKIP_3) | instid1(VALU_DEP_1)
	s_and_b32 s0, s15, s0
	s_cmp_lt_i32 s7, s4
	v_cndmask_b32_e64 v28, 8, v28, s0
	v_add_co_u32 v20, s0, s12, v20
	v_add_co_ci_u32_e64 v21, s0, s13, v21, s0
	v_cmp_ne_u32_e64 s0, 0, v27
	global_store_b32 v[22:23], v28, off
	global_store_b32 v[24:25], v19, off
	v_add_nc_u32_e32 v19, s14, v19
	global_store_b32 v[20:21], v26, off
	v_cndmask_b32_e64 v22, 0xc61c4000, v8, s0
	v_cmp_ne_u32_e64 s0, 1, v27
	s_delay_alu instid0(VALU_DEP_1) | instskip(SKIP_1) | instid1(VALU_DEP_1)
	v_cndmask_b32_e64 v23, 0xc61c4000, v9, s0
	v_cmp_ne_u32_e64 s0, 2, v27
	v_cndmask_b32_e64 v24, 0xc61c4000, v10, s0
	v_cmp_ne_u32_e64 s0, 3, v27
	s_delay_alu instid0(VALU_DEP_1) | instskip(SKIP_1) | instid1(VALU_DEP_1)
	v_cndmask_b32_e64 v25, 0xc61c4000, v11, s0
	v_cmp_ne_u32_e64 s0, 5, v27
	;; [unrolled: 5-line block ×3, first 2 shown]
	v_cndmask_b32_e64 v30, 0xc61c4000, v14, s0
	v_cmp_ne_u32_e64 s0, 4, v27
	s_delay_alu instid0(VALU_DEP_1)
	v_cndmask_b32_e64 v27, 0xc61c4000, v12, s0
	s_cselect_b32 s0, -1, 0
	s_cmp_eq_u32 s4, s7
	v_cndmask_b32_e64 v15, v15, v29, s0
	v_cndmask_b32_e64 v14, v14, v30, s0
	;; [unrolled: 1-line block ×8, first 2 shown]
	s_cbranch_scc0 .LBB154_8
; %bb.9:
	s_and_b32 vcc_lo, exec_lo, vcc_lo
	s_cbranch_vccnz .LBB154_12
	s_branch .LBB154_15
.LBB154_10:
                                        ; implicit-def: $vgpr8_vgpr9_vgpr10_vgpr11_vgpr12_vgpr13_vgpr14_vgpr15
	s_and_not1_b32 vcc_lo, exec_lo, s8
	s_cbranch_vccz .LBB154_5
	s_branch .LBB154_6
.LBB154_11:
	v_mov_b32_e32 v17, 0
	s_and_b32 vcc_lo, exec_lo, vcc_lo
	s_cbranch_vccz .LBB154_15
.LBB154_12:
	s_and_not1_b32 vcc_lo, exec_lo, s3
	s_cbranch_vccnz .LBB154_15
; %bb.13:
	v_mul_lo_u32 v0, v16, s4
	v_cmp_lt_f32_e32 vcc_lo, 0, v17
	v_cndmask_b32_e32 v2, 1.0, v17, vcc_lo
	s_delay_alu instid0(VALU_DEP_3) | instskip(NEXT) | instid1(VALU_DEP_1)
	v_ashrrev_i32_e32 v1, 31, v0
	v_lshlrev_b64 v[0:1], 2, v[0:1]
	s_delay_alu instid0(VALU_DEP_1) | instskip(NEXT) | instid1(VALU_DEP_2)
	v_add_co_u32 v0, vcc_lo, s12, v0
	v_add_co_ci_u32_e32 v1, vcc_lo, s13, v1, vcc_lo
	.p2align	6
.LBB154_14:                             ; =>This Inner Loop Header: Depth=1
	global_load_b32 v3, v[0:1], off
	s_add_i32 s4, s4, -1
	s_delay_alu instid0(SALU_CYCLE_1) | instskip(SKIP_3) | instid1(VALU_DEP_2)
	s_cmp_lg_u32 s4, 0
	s_waitcnt vmcnt(0)
	v_div_scale_f32 v4, null, v2, v2, v3
	v_div_scale_f32 v7, vcc_lo, v3, v2, v3
	v_rcp_f32_e32 v5, v4
	s_waitcnt_depctr 0xfff
	v_fma_f32 v6, -v4, v5, 1.0
	s_delay_alu instid0(VALU_DEP_1) | instskip(NEXT) | instid1(VALU_DEP_1)
	v_fmac_f32_e32 v5, v6, v5
	v_mul_f32_e32 v6, v7, v5
	s_delay_alu instid0(VALU_DEP_1) | instskip(NEXT) | instid1(VALU_DEP_1)
	v_fma_f32 v8, -v4, v6, v7
	v_fmac_f32_e32 v6, v8, v5
	s_delay_alu instid0(VALU_DEP_1) | instskip(NEXT) | instid1(VALU_DEP_1)
	v_fma_f32 v4, -v4, v6, v7
	v_div_fmas_f32 v4, v4, v5, v6
	s_delay_alu instid0(VALU_DEP_1)
	v_div_fixup_f32 v3, v4, v2, v3
	global_store_b32 v[0:1], v3, off
	v_add_co_u32 v0, vcc_lo, v0, 4
	v_add_co_ci_u32_e32 v1, vcc_lo, 0, v1, vcc_lo
	s_cbranch_scc1 .LBB154_14
.LBB154_15:
	s_nop 0
	s_sendmsg sendmsg(MSG_DEALLOC_VGPRS)
	s_endpgm
	.section	.rodata,"a",@progbits
	.p2align	6, 0x0
	.amdhsa_kernel _ZN4vllm3moe10topkGatingILi8ELi8ELi4ELi16ELi64Ej14__hip_bfloat16LNS0_11ScoringFuncE0EEEvPKT5_PKbPfiPT4_PiiiibPKf
		.amdhsa_group_segment_fixed_size 0
		.amdhsa_private_segment_fixed_size 0
		.amdhsa_kernarg_size 72
		.amdhsa_user_sgpr_count 15
		.amdhsa_user_sgpr_dispatch_ptr 0
		.amdhsa_user_sgpr_queue_ptr 0
		.amdhsa_user_sgpr_kernarg_segment_ptr 1
		.amdhsa_user_sgpr_dispatch_id 0
		.amdhsa_user_sgpr_private_segment_size 0
		.amdhsa_wavefront_size32 1
		.amdhsa_uses_dynamic_stack 0
		.amdhsa_enable_private_segment 0
		.amdhsa_system_sgpr_workgroup_id_x 1
		.amdhsa_system_sgpr_workgroup_id_y 0
		.amdhsa_system_sgpr_workgroup_id_z 0
		.amdhsa_system_sgpr_workgroup_info 0
		.amdhsa_system_vgpr_workitem_id 1
		.amdhsa_next_free_vgpr 33
		.amdhsa_next_free_sgpr 16
		.amdhsa_reserve_vcc 1
		.amdhsa_float_round_mode_32 0
		.amdhsa_float_round_mode_16_64 0
		.amdhsa_float_denorm_mode_32 3
		.amdhsa_float_denorm_mode_16_64 3
		.amdhsa_dx10_clamp 1
		.amdhsa_ieee_mode 1
		.amdhsa_fp16_overflow 0
		.amdhsa_workgroup_processor_mode 1
		.amdhsa_memory_ordered 1
		.amdhsa_forward_progress 0
		.amdhsa_shared_vgpr_count 0
		.amdhsa_exception_fp_ieee_invalid_op 0
		.amdhsa_exception_fp_denorm_src 0
		.amdhsa_exception_fp_ieee_div_zero 0
		.amdhsa_exception_fp_ieee_overflow 0
		.amdhsa_exception_fp_ieee_underflow 0
		.amdhsa_exception_fp_ieee_inexact 0
		.amdhsa_exception_int_div_zero 0
	.end_amdhsa_kernel
	.section	.text._ZN4vllm3moe10topkGatingILi8ELi8ELi4ELi16ELi64Ej14__hip_bfloat16LNS0_11ScoringFuncE0EEEvPKT5_PKbPfiPT4_PiiiibPKf,"axG",@progbits,_ZN4vllm3moe10topkGatingILi8ELi8ELi4ELi16ELi64Ej14__hip_bfloat16LNS0_11ScoringFuncE0EEEvPKT5_PKbPfiPT4_PiiiibPKf,comdat
.Lfunc_end154:
	.size	_ZN4vllm3moe10topkGatingILi8ELi8ELi4ELi16ELi64Ej14__hip_bfloat16LNS0_11ScoringFuncE0EEEvPKT5_PKbPfiPT4_PiiiibPKf, .Lfunc_end154-_ZN4vllm3moe10topkGatingILi8ELi8ELi4ELi16ELi64Ej14__hip_bfloat16LNS0_11ScoringFuncE0EEEvPKT5_PKbPfiPT4_PiiiibPKf
                                        ; -- End function
	.section	.AMDGPU.csdata,"",@progbits
; Kernel info:
; codeLenInByte = 2464
; NumSgprs: 18
; NumVgprs: 33
; ScratchSize: 0
; MemoryBound: 0
; FloatMode: 240
; IeeeMode: 1
; LDSByteSize: 0 bytes/workgroup (compile time only)
; SGPRBlocks: 2
; VGPRBlocks: 4
; NumSGPRsForWavesPerEU: 18
; NumVGPRsForWavesPerEU: 33
; Occupancy: 16
; WaveLimiterHint : 0
; COMPUTE_PGM_RSRC2:SCRATCH_EN: 0
; COMPUTE_PGM_RSRC2:USER_SGPR: 15
; COMPUTE_PGM_RSRC2:TRAP_HANDLER: 0
; COMPUTE_PGM_RSRC2:TGID_X_EN: 1
; COMPUTE_PGM_RSRC2:TGID_Y_EN: 0
; COMPUTE_PGM_RSRC2:TGID_Z_EN: 0
; COMPUTE_PGM_RSRC2:TIDIG_COMP_CNT: 1
	.section	.text._ZN4vllm3moe10topkGatingILi8ELi8ELi4ELi16ELi32Ej14__hip_bfloat16LNS0_11ScoringFuncE0EEEvPKT5_PKbPfiPT4_PiiiibPKf,"axG",@progbits,_ZN4vllm3moe10topkGatingILi8ELi8ELi4ELi16ELi32Ej14__hip_bfloat16LNS0_11ScoringFuncE0EEEvPKT5_PKbPfiPT4_PiiiibPKf,comdat
	.protected	_ZN4vllm3moe10topkGatingILi8ELi8ELi4ELi16ELi32Ej14__hip_bfloat16LNS0_11ScoringFuncE0EEEvPKT5_PKbPfiPT4_PiiiibPKf ; -- Begin function _ZN4vllm3moe10topkGatingILi8ELi8ELi4ELi16ELi32Ej14__hip_bfloat16LNS0_11ScoringFuncE0EEEvPKT5_PKbPfiPT4_PiiiibPKf
	.globl	_ZN4vllm3moe10topkGatingILi8ELi8ELi4ELi16ELi32Ej14__hip_bfloat16LNS0_11ScoringFuncE0EEEvPKT5_PKbPfiPT4_PiiiibPKf
	.p2align	8
	.type	_ZN4vllm3moe10topkGatingILi8ELi8ELi4ELi16ELi32Ej14__hip_bfloat16LNS0_11ScoringFuncE0EEEvPKT5_PKbPfiPT4_PiiiibPKf,@function
_ZN4vllm3moe10topkGatingILi8ELi8ELi4ELi16ELi32Ej14__hip_bfloat16LNS0_11ScoringFuncE0EEEvPKT5_PKbPfiPT4_PiiiibPKf: ; @_ZN4vllm3moe10topkGatingILi8ELi8ELi4ELi16ELi32Ej14__hip_bfloat16LNS0_11ScoringFuncE0EEEvPKT5_PKbPfiPT4_PiiiibPKf
; %bb.0:
	s_load_b32 s14, s[0:1], 0x18
	v_bfe_u32 v1, v0, 10, 10
	v_and_b32_e32 v0, 0x3ff, v0
	s_lshl_b32 s2, s15, 7
	s_delay_alu instid0(VALU_DEP_2) | instskip(NEXT) | instid1(VALU_DEP_1)
	v_lshlrev_b32_e32 v1, 5, v1
	v_add3_u32 v16, v1, v0, s2
	s_mov_b32 s2, exec_lo
	s_waitcnt lgkmcnt(0)
	s_delay_alu instid0(VALU_DEP_1)
	v_cmpx_gt_i32_e64 s14, v16
	s_cbranch_execz .LBB155_15
; %bb.1:
	s_clause 0x1
	s_load_b128 s[4:7], s[0:1], 0x0
	s_load_b64 s[12:13], s[0:1], 0x10
	s_mov_b32 s8, -1
	s_mov_b32 s15, -1
	s_waitcnt lgkmcnt(0)
	s_cmp_eq_u64 s[6:7], 0
	s_cbranch_scc1 .LBB155_3
; %bb.2:
	v_ashrrev_i32_e32 v1, 31, v16
	v_add_co_u32 v0, vcc_lo, s6, v16
	s_delay_alu instid0(VALU_DEP_2) | instskip(SKIP_3) | instid1(VALU_DEP_1)
	v_add_co_ci_u32_e32 v1, vcc_lo, s7, v1, vcc_lo
	global_load_u8 v0, v[0:1], off
	s_waitcnt vmcnt(0)
	v_and_b32_e32 v0, 1, v0
	v_cmp_eq_u32_e32 vcc_lo, 1, v0
	s_xor_b32 s2, vcc_lo, -1
	s_delay_alu instid0(SALU_CYCLE_1)
	s_or_not1_b32 s15, s2, exec_lo
.LBB155_3:
	v_lshlrev_b32_e32 v0, 3, v16
	s_load_b64 s[2:3], s[0:1], 0x40
	s_delay_alu instid0(VALU_DEP_1) | instskip(NEXT) | instid1(VALU_DEP_1)
	v_ashrrev_i32_e32 v1, 31, v0
	v_lshlrev_b64 v[0:1], 1, v[0:1]
	s_delay_alu instid0(VALU_DEP_1) | instskip(NEXT) | instid1(VALU_DEP_2)
	v_add_co_u32 v0, vcc_lo, s4, v0
	v_add_co_ci_u32_e32 v1, vcc_lo, s5, v1, vcc_lo
	s_waitcnt lgkmcnt(0)
	s_cmp_eq_u64 s[2:3], 0
	global_load_b128 v[0:3], v[0:1], off
	s_waitcnt vmcnt(0)
	v_lshlrev_b32_e32 v7, 16, v1
	v_and_b32_e32 v4, 0xffff0000, v0
	v_and_b32_e32 v1, 0xffff0000, v1
	v_lshlrev_b32_e32 v0, 16, v0
	v_lshlrev_b32_e32 v8, 16, v3
	v_and_b32_e32 v3, 0xffff0000, v3
	v_max_f32_e32 v5, v4, v4
	s_delay_alu instid0(VALU_DEP_4) | instskip(NEXT) | instid1(VALU_DEP_1)
	v_max_f32_e32 v6, v0, v0
	v_dual_max_f32 v5, v6, v5 :: v_dual_lshlrev_b32 v6, 16, v2
	v_and_b32_e32 v2, 0xffff0000, v2
	s_delay_alu instid0(VALU_DEP_2) | instskip(NEXT) | instid1(VALU_DEP_1)
	v_max3_f32 v5, v5, v7, v1
	v_max3_f32 v5, v5, v6, v2
	s_delay_alu instid0(VALU_DEP_1) | instskip(NEXT) | instid1(VALU_DEP_1)
	v_max3_f32 v5, v5, v8, v3
	v_sub_f32_e32 v3, v3, v5
	v_sub_f32_e32 v6, v6, v5
	;; [unrolled: 1-line block ×3, first 2 shown]
	s_delay_alu instid0(VALU_DEP_3) | instskip(NEXT) | instid1(VALU_DEP_3)
	v_dual_sub_f32 v8, v8, v5 :: v_dual_mul_f32 v15, 0x3fb8aa3b, v3
	v_dual_mul_f32 v12, 0x3fb8aa3b, v6 :: v_dual_sub_f32 v7, v7, v5
	s_delay_alu instid0(VALU_DEP_3) | instskip(NEXT) | instid1(VALU_DEP_3)
	v_dual_sub_f32 v4, v4, v5 :: v_dual_mul_f32 v13, 0x3fb8aa3b, v2
	v_rndne_f32_e32 v32, v15
	s_delay_alu instid0(VALU_DEP_3) | instskip(NEXT) | instid1(VALU_DEP_4)
	v_fma_f32 v25, 0x3fb8aa3b, v6, -v12
	v_mul_f32_e32 v10, 0x3fb8aa3b, v7
	v_rndne_f32_e32 v26, v12
	v_rndne_f32_e32 v28, v13
	v_fma_f32 v31, 0x3fb8aa3b, v3, -v15
	v_mul_f32_e32 v9, 0x3fb8aa3b, v4
	v_rndne_f32_e32 v22, v10
	v_fma_f32 v21, 0x3fb8aa3b, v7, -v10
	v_sub_f32_e32 v12, v12, v26
	v_cvt_i32_f32_e32 v26, v26
	v_fma_f32 v19, 0x3fb8aa3b, v4, -v9
	v_dual_sub_f32 v10, v10, v22 :: v_dual_sub_f32 v1, v1, v5
	v_sub_f32_e32 v0, v0, v5
	v_rndne_f32_e32 v20, v9
	s_delay_alu instid0(VALU_DEP_4)
	v_fmac_f32_e32 v19, 0x32a5705f, v4
	v_cvt_i32_f32_e32 v22, v22
	v_mul_f32_e32 v11, 0x3fb8aa3b, v1
	v_mul_f32_e32 v5, 0x3fb8aa3b, v0
	v_cmp_ngt_f32_e32 vcc_lo, 0xc2ce8ed0, v0
	v_fmac_f32_e32 v31, 0x32a5705f, v3
	s_delay_alu instid0(VALU_DEP_4) | instskip(NEXT) | instid1(VALU_DEP_4)
	v_rndne_f32_e32 v24, v11
	v_fma_f32 v17, 0x3fb8aa3b, v0, -v5
	v_rndne_f32_e32 v18, v5
	v_fma_f32 v23, 0x3fb8aa3b, v1, -v11
	s_delay_alu instid0(VALU_DEP_3) | instskip(NEXT) | instid1(VALU_DEP_3)
	v_fmac_f32_e32 v17, 0x32a5705f, v0
	v_dual_sub_f32 v5, v5, v18 :: v_dual_mul_f32 v14, 0x3fb8aa3b, v8
	v_cvt_i32_f32_e32 v18, v18
	v_fma_f32 v27, 0x3fb8aa3b, v2, -v13
	s_delay_alu instid0(VALU_DEP_3) | instskip(NEXT) | instid1(VALU_DEP_4)
	v_add_f32_e32 v5, v5, v17
	v_fma_f32 v29, 0x3fb8aa3b, v8, -v14
	v_rndne_f32_e32 v30, v14
	v_sub_f32_e32 v9, v9, v20
	v_cvt_i32_f32_e32 v20, v20
	v_exp_f32_e32 v5, v5
	s_delay_alu instid0(VALU_DEP_3)
	v_dual_fmac_f32 v29, 0x32a5705f, v8 :: v_dual_sub_f32 v14, v14, v30
	v_fmac_f32_e32 v25, 0x32a5705f, v6
	v_add_f32_e32 v9, v9, v19
	v_cvt_i32_f32_e32 v17, v30
	v_cvt_i32_f32_e32 v19, v32
	v_dual_add_f32 v14, v14, v29 :: v_dual_fmac_f32 v21, 0x32a5705f, v7
	v_dual_add_f32 v12, v12, v25 :: v_dual_sub_f32 v11, v11, v24
	v_exp_f32_e32 v9, v9
	s_delay_alu instid0(TRANS32_DEP_2) | instskip(NEXT) | instid1(VALU_DEP_3)
	v_ldexp_f32 v5, v5, v18
	v_add_f32_e32 v10, v10, v21
	v_cvt_i32_f32_e32 v24, v24
	v_exp_f32_e32 v12, v12
	v_exp_f32_e32 v14, v14
	v_cndmask_b32_e32 v5, 0, v5, vcc_lo
	v_exp_f32_e32 v10, v10
	v_cmp_ngt_f32_e32 vcc_lo, 0xc2ce8ed0, v4
	v_ldexp_f32 v9, v9, v20
	s_delay_alu instid0(TRANS32_DEP_3) | instskip(NEXT) | instid1(VALU_DEP_2)
	v_ldexp_f32 v12, v12, v26
	v_cndmask_b32_e32 v9, 0, v9, vcc_lo
	v_cmp_ngt_f32_e32 vcc_lo, 0xc2ce8ed0, v7
	s_waitcnt_depctr 0xfff
	v_ldexp_f32 v10, v10, v22
	v_fmac_f32_e32 v23, 0x32a5705f, v1
	v_ldexp_f32 v14, v14, v17
	s_delay_alu instid0(VALU_DEP_2) | instskip(SKIP_3) | instid1(VALU_DEP_4)
	v_dual_cndmask_b32 v10, 0, v10 :: v_dual_add_f32 v11, v11, v23
	v_cmp_nlt_f32_e32 vcc_lo, 0x42b17218, v0
	v_sub_f32_e32 v13, v13, v28
	v_cvt_i32_f32_e32 v28, v28
	v_exp_f32_e32 v11, v11
	v_cndmask_b32_e32 v0, 0x7f800000, v5, vcc_lo
	v_cmp_nlt_f32_e32 vcc_lo, 0x42b17218, v4
	v_dual_sub_f32 v15, v15, v32 :: v_dual_cndmask_b32 v4, 0x7f800000, v9
	v_cmp_ngt_f32_e32 vcc_lo, 0xc2ce8ed0, v1
	s_delay_alu instid0(VALU_DEP_2) | instskip(SKIP_4) | instid1(VALU_DEP_2)
	v_add_f32_e32 v15, v15, v31
	s_waitcnt_depctr 0xfff
	v_ldexp_f32 v11, v11, v24
	v_add_f32_e32 v9, v0, v4
	v_exp_f32_e32 v15, v15
	v_cndmask_b32_e32 v5, 0, v11, vcc_lo
	v_cmp_nlt_f32_e32 vcc_lo, 0x42b17218, v7
	v_cndmask_b32_e32 v7, 0x7f800000, v10, vcc_lo
	v_cmp_ngt_f32_e32 vcc_lo, 0xc2ce8ed0, v6
	v_fmac_f32_e32 v27, 0x32a5705f, v2
	s_waitcnt_depctr 0xfff
	v_ldexp_f32 v15, v15, v19
	v_dual_cndmask_b32 v10, 0, v12 :: v_dual_add_f32 v13, v13, v27
	v_cmp_nlt_f32_e32 vcc_lo, 0x42b17218, v1
	s_delay_alu instid0(VALU_DEP_2) | instskip(SKIP_3) | instid1(VALU_DEP_1)
	v_exp_f32_e32 v13, v13
	v_cndmask_b32_e32 v1, 0x7f800000, v5, vcc_lo
	v_cmp_ngt_f32_e32 vcc_lo, 0xc2ce8ed0, v2
	v_add_f32_e32 v5, v9, v7
	v_add_f32_e32 v5, v5, v1
	s_waitcnt_depctr 0xfff
	v_ldexp_f32 v13, v13, v28
	s_delay_alu instid0(VALU_DEP_1) | instskip(SKIP_3) | instid1(VALU_DEP_2)
	v_cndmask_b32_e32 v9, 0, v13, vcc_lo
	v_cmp_nlt_f32_e32 vcc_lo, 0x42b17218, v6
	v_cndmask_b32_e32 v6, 0x7f800000, v10, vcc_lo
	v_cmp_ngt_f32_e32 vcc_lo, 0xc2ce8ed0, v8
	v_add_f32_e32 v5, v5, v6
	v_cndmask_b32_e32 v10, 0, v14, vcc_lo
	v_cmp_nlt_f32_e32 vcc_lo, 0x42b17218, v2
	v_cndmask_b32_e32 v2, 0x7f800000, v9, vcc_lo
	v_cmp_ngt_f32_e32 vcc_lo, 0xc2ce8ed0, v3
	s_delay_alu instid0(VALU_DEP_2) | instskip(SKIP_4) | instid1(VALU_DEP_2)
	v_add_f32_e32 v5, v5, v2
	v_cndmask_b32_e32 v9, 0, v15, vcc_lo
	v_cmp_nlt_f32_e32 vcc_lo, 0x42b17218, v8
	v_cndmask_b32_e32 v8, 0x7f800000, v10, vcc_lo
	v_cmp_nlt_f32_e32 vcc_lo, 0x42b17218, v3
	v_add_f32_e32 v5, v5, v8
	v_cndmask_b32_e32 v3, 0x7f800000, v9, vcc_lo
	s_delay_alu instid0(VALU_DEP_1) | instskip(NEXT) | instid1(VALU_DEP_1)
	v_add_f32_e32 v5, v5, v3
	v_div_scale_f32 v9, null, v5, v5, 1.0
	v_div_scale_f32 v12, vcc_lo, 1.0, v5, 1.0
	s_delay_alu instid0(VALU_DEP_2) | instskip(SKIP_2) | instid1(VALU_DEP_1)
	v_rcp_f32_e32 v10, v9
	s_waitcnt_depctr 0xfff
	v_fma_f32 v11, -v9, v10, 1.0
	v_fmac_f32_e32 v10, v11, v10
	s_delay_alu instid0(VALU_DEP_1) | instskip(NEXT) | instid1(VALU_DEP_1)
	v_mul_f32_e32 v11, v12, v10
	v_fma_f32 v13, -v9, v11, v12
	s_delay_alu instid0(VALU_DEP_1) | instskip(NEXT) | instid1(VALU_DEP_1)
	v_fmac_f32_e32 v11, v13, v10
	v_fma_f32 v9, -v9, v11, v12
	s_delay_alu instid0(VALU_DEP_1) | instskip(NEXT) | instid1(VALU_DEP_1)
	v_div_fmas_f32 v9, v9, v10, v11
	v_div_fixup_f32 v5, v9, v5, 1.0
	s_delay_alu instid0(VALU_DEP_1)
	v_mul_f32_e32 v0, v5, v0
	v_mul_f32_e32 v4, v5, v4
	;; [unrolled: 1-line block ×5, first 2 shown]
	v_cmp_class_f32_e64 vcc_lo, v0, 0x1f8
	v_mul_f32_e32 v9, v5, v1
	v_mul_f32_e32 v6, v5, v6
	v_dual_mul_f32 v11, v5, v3 :: v_dual_cndmask_b32 v0, 0, v0
	v_cmp_class_f32_e64 vcc_lo, v4, 0x1f8
	v_cndmask_b32_e32 v1, 0, v4, vcc_lo
	v_cmp_class_f32_e64 vcc_lo, v7, 0x1f8
	v_cndmask_b32_e32 v2, 0, v7, vcc_lo
	;; [unrolled: 2-line block ×7, first 2 shown]
	s_cbranch_scc1 .LBB155_10
; %bb.4:
	s_load_b256 s[4:11], s[2:3], 0x0
	s_waitcnt lgkmcnt(0)
	v_dual_add_f32 v8, s4, v0 :: v_dual_add_f32 v9, s5, v1
	v_dual_add_f32 v10, s6, v2 :: v_dual_add_f32 v11, s7, v3
	;; [unrolled: 1-line block ×4, first 2 shown]
	s_cbranch_execnz .LBB155_6
.LBB155_5:
	v_dual_mov_b32 v15, v7 :: v_dual_mov_b32 v14, v6
	v_dual_mov_b32 v13, v5 :: v_dual_mov_b32 v12, v4
	;; [unrolled: 1-line block ×4, first 2 shown]
.LBB155_6:
	s_load_b128 s[4:7], s[0:1], 0x30
	s_waitcnt lgkmcnt(0)
	s_bitcmp1_b32 s7, 0
	s_mov_b32 s7, 0
	s_cselect_b32 vcc_lo, -1, 0
	s_cmp_gt_i32 s4, 0
	s_cselect_b32 s3, -1, 0
	s_cmp_lt_i32 s4, 1
	s_cbranch_scc1 .LBB155_11
; %bb.7:
	s_load_b128 s[8:11], s[0:1], 0x20
	v_mul_lo_u32 v18, v16, s4
	v_mov_b32_e32 v17, 0
	v_mov_b32_e32 v19, v16
.LBB155_8:                              ; =>This Inner Loop Header: Depth=1
	s_delay_alu instid0(VALU_DEP_1) | instskip(NEXT) | instid1(VALU_DEP_1)
	v_cmp_gt_f32_e64 s0, v9, v8
	v_cndmask_b32_e64 v20, v8, v9, s0
	v_cndmask_b32_e64 v21, v0, v1, s0
	;; [unrolled: 1-line block ×3, first 2 shown]
	s_delay_alu instid0(VALU_DEP_3) | instskip(NEXT) | instid1(VALU_DEP_1)
	v_cmp_gt_f32_e64 s1, v10, v20
	v_cndmask_b32_e64 v20, v20, v10, s1
	s_delay_alu instid0(VALU_DEP_4) | instskip(NEXT) | instid1(VALU_DEP_4)
	v_cndmask_b32_e64 v21, v21, v2, s1
	v_cndmask_b32_e64 v22, v22, 2, s1
	s_delay_alu instid0(VALU_DEP_3) | instskip(NEXT) | instid1(VALU_DEP_1)
	v_cmp_gt_f32_e64 s0, v11, v20
	v_cndmask_b32_e64 v20, v20, v11, s0
	s_delay_alu instid0(VALU_DEP_4) | instskip(NEXT) | instid1(VALU_DEP_4)
	v_cndmask_b32_e64 v21, v21, v3, s0
	v_cndmask_b32_e64 v22, v22, 3, s0
	;; [unrolled: 6-line block ×5, first 2 shown]
	s_delay_alu instid0(VALU_DEP_3) | instskip(NEXT) | instid1(VALU_DEP_1)
	v_cmp_gt_f32_e64 s0, v15, v23
	v_cndmask_b32_e64 v26, v24, v7, s0
	s_delay_alu instid0(VALU_DEP_3) | instskip(NEXT) | instid1(VALU_DEP_2)
	v_cndmask_b32_e64 v27, v22, 7, s0
	v_add_f32_e32 v29, v17, v26
	v_add_nc_u32_e32 v20, s7, v18
	s_delay_alu instid0(VALU_DEP_3) | instskip(SKIP_4) | instid1(VALU_DEP_1)
	v_cmp_gt_i32_e64 s1, s6, v27
	v_subrev_nc_u32_e32 v28, s5, v27
	s_add_i32 s7, s7, 1
	v_cndmask_b32_e32 v17, v17, v29, vcc_lo
	v_ashrrev_i32_e32 v21, 31, v20
	v_lshlrev_b64 v[20:21], 2, v[20:21]
	s_waitcnt lgkmcnt(0)
	s_delay_alu instid0(VALU_DEP_1) | instskip(NEXT) | instid1(VALU_DEP_1)
	v_add_co_u32 v22, s0, s8, v20
	v_add_co_ci_u32_e64 v23, s0, s9, v21, s0
	v_cmp_le_i32_e64 s0, s5, v27
	v_add_co_u32 v24, s2, s10, v20
	s_delay_alu instid0(VALU_DEP_1) | instskip(NEXT) | instid1(VALU_DEP_3)
	v_add_co_ci_u32_e64 v25, s2, s11, v21, s2
	s_and_b32 s0, s0, s1
	s_delay_alu instid0(SALU_CYCLE_1) | instskip(SKIP_3) | instid1(VALU_DEP_1)
	s_and_b32 s0, s15, s0
	s_cmp_lt_i32 s7, s4
	v_cndmask_b32_e64 v28, 8, v28, s0
	v_add_co_u32 v20, s0, s12, v20
	v_add_co_ci_u32_e64 v21, s0, s13, v21, s0
	v_cmp_ne_u32_e64 s0, 0, v27
	global_store_b32 v[22:23], v28, off
	global_store_b32 v[24:25], v19, off
	v_add_nc_u32_e32 v19, s14, v19
	global_store_b32 v[20:21], v26, off
	v_cndmask_b32_e64 v22, 0xc61c4000, v8, s0
	v_cmp_ne_u32_e64 s0, 1, v27
	s_delay_alu instid0(VALU_DEP_1) | instskip(SKIP_1) | instid1(VALU_DEP_1)
	v_cndmask_b32_e64 v23, 0xc61c4000, v9, s0
	v_cmp_ne_u32_e64 s0, 2, v27
	v_cndmask_b32_e64 v24, 0xc61c4000, v10, s0
	v_cmp_ne_u32_e64 s0, 3, v27
	s_delay_alu instid0(VALU_DEP_1) | instskip(SKIP_1) | instid1(VALU_DEP_1)
	v_cndmask_b32_e64 v25, 0xc61c4000, v11, s0
	v_cmp_ne_u32_e64 s0, 5, v27
	;; [unrolled: 5-line block ×3, first 2 shown]
	v_cndmask_b32_e64 v30, 0xc61c4000, v14, s0
	v_cmp_ne_u32_e64 s0, 4, v27
	s_delay_alu instid0(VALU_DEP_1)
	v_cndmask_b32_e64 v27, 0xc61c4000, v12, s0
	s_cselect_b32 s0, -1, 0
	s_cmp_eq_u32 s4, s7
	v_cndmask_b32_e64 v15, v15, v29, s0
	v_cndmask_b32_e64 v14, v14, v30, s0
	;; [unrolled: 1-line block ×8, first 2 shown]
	s_cbranch_scc0 .LBB155_8
; %bb.9:
	s_and_b32 vcc_lo, exec_lo, vcc_lo
	s_cbranch_vccnz .LBB155_12
	s_branch .LBB155_15
.LBB155_10:
                                        ; implicit-def: $vgpr8_vgpr9_vgpr10_vgpr11_vgpr12_vgpr13_vgpr14_vgpr15
	s_and_not1_b32 vcc_lo, exec_lo, s8
	s_cbranch_vccz .LBB155_5
	s_branch .LBB155_6
.LBB155_11:
	v_mov_b32_e32 v17, 0
	s_and_b32 vcc_lo, exec_lo, vcc_lo
	s_cbranch_vccz .LBB155_15
.LBB155_12:
	s_and_not1_b32 vcc_lo, exec_lo, s3
	s_cbranch_vccnz .LBB155_15
; %bb.13:
	v_mul_lo_u32 v0, v16, s4
	v_cmp_lt_f32_e32 vcc_lo, 0, v17
	v_cndmask_b32_e32 v2, 1.0, v17, vcc_lo
	s_delay_alu instid0(VALU_DEP_3) | instskip(NEXT) | instid1(VALU_DEP_1)
	v_ashrrev_i32_e32 v1, 31, v0
	v_lshlrev_b64 v[0:1], 2, v[0:1]
	s_delay_alu instid0(VALU_DEP_1) | instskip(NEXT) | instid1(VALU_DEP_2)
	v_add_co_u32 v0, vcc_lo, s12, v0
	v_add_co_ci_u32_e32 v1, vcc_lo, s13, v1, vcc_lo
	.p2align	6
.LBB155_14:                             ; =>This Inner Loop Header: Depth=1
	global_load_b32 v3, v[0:1], off
	s_add_i32 s4, s4, -1
	s_delay_alu instid0(SALU_CYCLE_1) | instskip(SKIP_3) | instid1(VALU_DEP_2)
	s_cmp_lg_u32 s4, 0
	s_waitcnt vmcnt(0)
	v_div_scale_f32 v4, null, v2, v2, v3
	v_div_scale_f32 v7, vcc_lo, v3, v2, v3
	v_rcp_f32_e32 v5, v4
	s_waitcnt_depctr 0xfff
	v_fma_f32 v6, -v4, v5, 1.0
	s_delay_alu instid0(VALU_DEP_1) | instskip(NEXT) | instid1(VALU_DEP_1)
	v_fmac_f32_e32 v5, v6, v5
	v_mul_f32_e32 v6, v7, v5
	s_delay_alu instid0(VALU_DEP_1) | instskip(NEXT) | instid1(VALU_DEP_1)
	v_fma_f32 v8, -v4, v6, v7
	v_fmac_f32_e32 v6, v8, v5
	s_delay_alu instid0(VALU_DEP_1) | instskip(NEXT) | instid1(VALU_DEP_1)
	v_fma_f32 v4, -v4, v6, v7
	v_div_fmas_f32 v4, v4, v5, v6
	s_delay_alu instid0(VALU_DEP_1)
	v_div_fixup_f32 v3, v4, v2, v3
	global_store_b32 v[0:1], v3, off
	v_add_co_u32 v0, vcc_lo, v0, 4
	v_add_co_ci_u32_e32 v1, vcc_lo, 0, v1, vcc_lo
	s_cbranch_scc1 .LBB155_14
.LBB155_15:
	s_nop 0
	s_sendmsg sendmsg(MSG_DEALLOC_VGPRS)
	s_endpgm
	.section	.rodata,"a",@progbits
	.p2align	6, 0x0
	.amdhsa_kernel _ZN4vllm3moe10topkGatingILi8ELi8ELi4ELi16ELi32Ej14__hip_bfloat16LNS0_11ScoringFuncE0EEEvPKT5_PKbPfiPT4_PiiiibPKf
		.amdhsa_group_segment_fixed_size 0
		.amdhsa_private_segment_fixed_size 0
		.amdhsa_kernarg_size 72
		.amdhsa_user_sgpr_count 15
		.amdhsa_user_sgpr_dispatch_ptr 0
		.amdhsa_user_sgpr_queue_ptr 0
		.amdhsa_user_sgpr_kernarg_segment_ptr 1
		.amdhsa_user_sgpr_dispatch_id 0
		.amdhsa_user_sgpr_private_segment_size 0
		.amdhsa_wavefront_size32 1
		.amdhsa_uses_dynamic_stack 0
		.amdhsa_enable_private_segment 0
		.amdhsa_system_sgpr_workgroup_id_x 1
		.amdhsa_system_sgpr_workgroup_id_y 0
		.amdhsa_system_sgpr_workgroup_id_z 0
		.amdhsa_system_sgpr_workgroup_info 0
		.amdhsa_system_vgpr_workitem_id 1
		.amdhsa_next_free_vgpr 33
		.amdhsa_next_free_sgpr 16
		.amdhsa_reserve_vcc 1
		.amdhsa_float_round_mode_32 0
		.amdhsa_float_round_mode_16_64 0
		.amdhsa_float_denorm_mode_32 3
		.amdhsa_float_denorm_mode_16_64 3
		.amdhsa_dx10_clamp 1
		.amdhsa_ieee_mode 1
		.amdhsa_fp16_overflow 0
		.amdhsa_workgroup_processor_mode 1
		.amdhsa_memory_ordered 1
		.amdhsa_forward_progress 0
		.amdhsa_shared_vgpr_count 0
		.amdhsa_exception_fp_ieee_invalid_op 0
		.amdhsa_exception_fp_denorm_src 0
		.amdhsa_exception_fp_ieee_div_zero 0
		.amdhsa_exception_fp_ieee_overflow 0
		.amdhsa_exception_fp_ieee_underflow 0
		.amdhsa_exception_fp_ieee_inexact 0
		.amdhsa_exception_int_div_zero 0
	.end_amdhsa_kernel
	.section	.text._ZN4vllm3moe10topkGatingILi8ELi8ELi4ELi16ELi32Ej14__hip_bfloat16LNS0_11ScoringFuncE0EEEvPKT5_PKbPfiPT4_PiiiibPKf,"axG",@progbits,_ZN4vllm3moe10topkGatingILi8ELi8ELi4ELi16ELi32Ej14__hip_bfloat16LNS0_11ScoringFuncE0EEEvPKT5_PKbPfiPT4_PiiiibPKf,comdat
.Lfunc_end155:
	.size	_ZN4vllm3moe10topkGatingILi8ELi8ELi4ELi16ELi32Ej14__hip_bfloat16LNS0_11ScoringFuncE0EEEvPKT5_PKbPfiPT4_PiiiibPKf, .Lfunc_end155-_ZN4vllm3moe10topkGatingILi8ELi8ELi4ELi16ELi32Ej14__hip_bfloat16LNS0_11ScoringFuncE0EEEvPKT5_PKbPfiPT4_PiiiibPKf
                                        ; -- End function
	.section	.AMDGPU.csdata,"",@progbits
; Kernel info:
; codeLenInByte = 2464
; NumSgprs: 18
; NumVgprs: 33
; ScratchSize: 0
; MemoryBound: 0
; FloatMode: 240
; IeeeMode: 1
; LDSByteSize: 0 bytes/workgroup (compile time only)
; SGPRBlocks: 2
; VGPRBlocks: 4
; NumSGPRsForWavesPerEU: 18
; NumVGPRsForWavesPerEU: 33
; Occupancy: 16
; WaveLimiterHint : 0
; COMPUTE_PGM_RSRC2:SCRATCH_EN: 0
; COMPUTE_PGM_RSRC2:USER_SGPR: 15
; COMPUTE_PGM_RSRC2:TRAP_HANDLER: 0
; COMPUTE_PGM_RSRC2:TGID_X_EN: 1
; COMPUTE_PGM_RSRC2:TGID_Y_EN: 0
; COMPUTE_PGM_RSRC2:TGID_Z_EN: 0
; COMPUTE_PGM_RSRC2:TIDIG_COMP_CNT: 1
	.section	.text._ZN4vllm3moe10topkGatingILi8ELi16ELi4ELi16ELi64Ej14__hip_bfloat16LNS0_11ScoringFuncE0EEEvPKT5_PKbPfiPT4_PiiiibPKf,"axG",@progbits,_ZN4vllm3moe10topkGatingILi8ELi16ELi4ELi16ELi64Ej14__hip_bfloat16LNS0_11ScoringFuncE0EEEvPKT5_PKbPfiPT4_PiiiibPKf,comdat
	.protected	_ZN4vllm3moe10topkGatingILi8ELi16ELi4ELi16ELi64Ej14__hip_bfloat16LNS0_11ScoringFuncE0EEEvPKT5_PKbPfiPT4_PiiiibPKf ; -- Begin function _ZN4vllm3moe10topkGatingILi8ELi16ELi4ELi16ELi64Ej14__hip_bfloat16LNS0_11ScoringFuncE0EEEvPKT5_PKbPfiPT4_PiiiibPKf
	.globl	_ZN4vllm3moe10topkGatingILi8ELi16ELi4ELi16ELi64Ej14__hip_bfloat16LNS0_11ScoringFuncE0EEEvPKT5_PKbPfiPT4_PiiiibPKf
	.p2align	8
	.type	_ZN4vllm3moe10topkGatingILi8ELi16ELi4ELi16ELi64Ej14__hip_bfloat16LNS0_11ScoringFuncE0EEEvPKT5_PKbPfiPT4_PiiiibPKf,@function
_ZN4vllm3moe10topkGatingILi8ELi16ELi4ELi16ELi64Ej14__hip_bfloat16LNS0_11ScoringFuncE0EEEvPKT5_PKbPfiPT4_PiiiibPKf: ; @_ZN4vllm3moe10topkGatingILi8ELi16ELi4ELi16ELi64Ej14__hip_bfloat16LNS0_11ScoringFuncE0EEEvPKT5_PKbPfiPT4_PiiiibPKf
; %bb.0:
	s_load_b32 s14, s[0:1], 0x18
	v_bfe_u32 v1, v0, 10, 10
	v_and_b32_e32 v0, 0x3ff, v0
	s_lshl_b32 s2, s15, 7
	s_delay_alu instid0(VALU_DEP_2) | instskip(NEXT) | instid1(VALU_DEP_2)
	v_lshlrev_b32_e32 v1, 5, v1
	v_lshrrev_b32_e32 v2, 1, v0
	s_delay_alu instid0(VALU_DEP_1) | instskip(SKIP_2) | instid1(VALU_DEP_1)
	v_add3_u32 v16, s2, v1, v2
	s_mov_b32 s2, exec_lo
	s_waitcnt lgkmcnt(0)
	v_cmpx_gt_i32_e64 s14, v16
	s_cbranch_execz .LBB156_25
; %bb.1:
	s_clause 0x1
	s_load_b128 s[4:7], s[0:1], 0x0
	s_load_b64 s[12:13], s[0:1], 0x10
	s_mov_b32 s8, -1
	s_mov_b32 s15, -1
	s_waitcnt lgkmcnt(0)
	s_cmp_eq_u64 s[6:7], 0
	s_cbranch_scc1 .LBB156_3
; %bb.2:
	v_ashrrev_i32_e32 v2, 31, v16
	v_add_co_u32 v1, vcc_lo, s6, v16
	s_delay_alu instid0(VALU_DEP_2) | instskip(SKIP_3) | instid1(VALU_DEP_1)
	v_add_co_ci_u32_e32 v2, vcc_lo, s7, v2, vcc_lo
	global_load_u8 v1, v[1:2], off
	s_waitcnt vmcnt(0)
	v_and_b32_e32 v1, 1, v1
	v_cmp_eq_u32_e32 vcc_lo, 1, v1
	s_xor_b32 s2, vcc_lo, -1
	s_delay_alu instid0(SALU_CYCLE_1)
	s_or_not1_b32 s15, s2, exec_lo
.LBB156_3:
	v_lshlrev_b32_e32 v1, 4, v16
	v_and_b32_e32 v17, 1, v0
	v_mbcnt_lo_u32_b32 v5, -1, 0
	s_load_b64 s[2:3], s[0:1], 0x40
	s_delay_alu instid0(VALU_DEP_3) | instskip(NEXT) | instid1(VALU_DEP_2)
	v_ashrrev_i32_e32 v2, 31, v1
	v_xor_b32_e32 v9, 1, v5
	v_and_b32_e32 v8, 30, v5
	s_delay_alu instid0(VALU_DEP_3) | instskip(SKIP_1) | instid1(VALU_DEP_2)
	v_lshlrev_b64 v[0:1], 1, v[1:2]
	v_lshlrev_b32_e32 v2, 4, v17
	v_add_co_u32 v0, vcc_lo, s4, v0
	s_delay_alu instid0(VALU_DEP_3) | instskip(NEXT) | instid1(VALU_DEP_2)
	v_add_co_ci_u32_e32 v1, vcc_lo, s5, v1, vcc_lo
	v_add_co_u32 v0, vcc_lo, v0, v2
	s_delay_alu instid0(VALU_DEP_2)
	v_add_co_ci_u32_e32 v1, vcc_lo, 0, v1, vcc_lo
	s_waitcnt lgkmcnt(0)
	s_cmp_eq_u64 s[2:3], 0
	global_load_b128 v[0:3], v[0:1], off
	s_waitcnt vmcnt(0)
	v_and_b32_e32 v4, 0xffff0000, v0
	v_lshlrev_b32_e32 v0, 16, v0
	v_lshlrev_b32_e32 v10, 16, v1
	s_delay_alu instid0(VALU_DEP_3) | instskip(NEXT) | instid1(VALU_DEP_3)
	v_dual_max_f32 v6, v4, v4 :: v_dual_and_b32 v1, 0xffff0000, v1
	v_max_f32_e32 v7, v0, v0
	s_delay_alu instid0(VALU_DEP_1) | instskip(SKIP_1) | instid1(VALU_DEP_2)
	v_dual_max_f32 v6, v7, v6 :: v_dual_add_nc_u32 v7, 2, v8
	v_lshlrev_b32_e32 v8, 16, v2
	v_max3_f32 v6, v6, v10, v1
	s_delay_alu instid0(VALU_DEP_3) | instskip(SKIP_4) | instid1(VALU_DEP_4)
	v_cmp_lt_i32_e32 vcc_lo, v9, v7
	v_cndmask_b32_e32 v5, v5, v9, vcc_lo
	v_lshlrev_b32_e32 v7, 16, v3
	v_and_b32_e32 v2, 0xffff0000, v2
	v_and_b32_e32 v3, 0xffff0000, v3
	v_lshlrev_b32_e32 v18, 2, v5
	s_delay_alu instid0(VALU_DEP_3) | instskip(NEXT) | instid1(VALU_DEP_1)
	v_max3_f32 v6, v6, v8, v2
	v_max3_f32 v5, v6, v7, v3
	ds_bpermute_b32 v6, v18, v5
	s_waitcnt lgkmcnt(0)
	v_max_f32_e32 v6, v6, v6
	s_delay_alu instid0(VALU_DEP_1) | instskip(NEXT) | instid1(VALU_DEP_1)
	v_max_f32_e32 v5, v5, v6
	v_sub_f32_e32 v4, v4, v5
	v_sub_f32_e32 v0, v0, v5
	;; [unrolled: 1-line block ×4, first 2 shown]
	s_delay_alu instid0(VALU_DEP_4) | instskip(SKIP_3) | instid1(VALU_DEP_4)
	v_dual_sub_f32 v2, v2, v5 :: v_dual_mul_f32 v9, 0x3fb8aa3b, v4
	v_sub_f32_e32 v6, v10, v5
	v_sub_f32_e32 v3, v3, v5
	v_cmp_ngt_f32_e32 vcc_lo, 0xc2ce8ed0, v0
	v_fma_f32 v21, 0x3fb8aa3b, v4, -v9
	s_delay_alu instid0(VALU_DEP_4) | instskip(NEXT) | instid1(VALU_DEP_4)
	v_mul_f32_e32 v10, 0x3fb8aa3b, v6
	v_dual_sub_f32 v8, v8, v5 :: v_dual_mul_f32 v15, 0x3fb8aa3b, v3
	v_mul_f32_e32 v5, 0x3fb8aa3b, v0
	v_mul_f32_e32 v11, 0x3fb8aa3b, v1
	v_rndne_f32_e32 v22, v9
	s_delay_alu instid0(VALU_DEP_4)
	v_mul_f32_e32 v12, 0x3fb8aa3b, v8
	v_fma_f32 v23, 0x3fb8aa3b, v6, -v10
	v_fma_f32 v19, 0x3fb8aa3b, v0, -v5
	v_rndne_f32_e32 v20, v5
	v_mul_f32_e32 v14, 0x3fb8aa3b, v7
	v_rndne_f32_e32 v24, v10
	v_rndne_f32_e32 v28, v12
	v_fmac_f32_e32 v19, 0x32a5705f, v0
	v_sub_f32_e32 v5, v5, v20
	v_fma_f32 v27, 0x3fb8aa3b, v8, -v12
	v_dual_sub_f32 v9, v9, v22 :: v_dual_sub_f32 v10, v10, v24
	v_dual_fmac_f32 v23, 0x32a5705f, v6 :: v_dual_sub_f32 v12, v12, v28
	v_fmac_f32_e32 v21, 0x32a5705f, v4
	v_add_f32_e32 v5, v5, v19
	v_cvt_i32_f32_e32 v20, v20
	s_delay_alu instid0(VALU_DEP_4)
	v_add_f32_e32 v10, v10, v23
	v_cvt_i32_f32_e32 v22, v22
	v_add_f32_e32 v9, v9, v21
	v_exp_f32_e32 v5, v5
	v_fma_f32 v25, 0x3fb8aa3b, v1, -v11
	v_exp_f32_e32 v10, v10
	v_fma_f32 v31, 0x3fb8aa3b, v7, -v14
	v_exp_f32_e32 v9, v9
	v_rndne_f32_e32 v32, v14
	v_cvt_i32_f32_e32 v24, v24
	v_mul_f32_e32 v13, 0x3fb8aa3b, v2
	v_rndne_f32_e32 v26, v11
	s_delay_alu instid0(VALU_DEP_4) | instskip(SKIP_1) | instid1(TRANS32_DEP_2)
	v_dual_fmac_f32 v25, 0x32a5705f, v1 :: v_dual_sub_f32 v14, v14, v32
	v_ldexp_f32 v5, v5, v20
	v_ldexp_f32 v10, v10, v24
	v_rndne_f32_e32 v30, v13
	s_delay_alu instid0(TRANS32_DEP_1)
	v_ldexp_f32 v9, v9, v22
	v_fma_f32 v29, 0x3fb8aa3b, v2, -v13
	v_cndmask_b32_e32 v5, 0, v5, vcc_lo
	v_cmp_ngt_f32_e32 vcc_lo, 0xc2ce8ed0, v4
	v_rndne_f32_e32 v34, v15
	v_fma_f32 v33, 0x3fb8aa3b, v3, -v15
	v_cvt_i32_f32_e32 v28, v28
	v_cvt_i32_f32_e32 v19, v32
	v_cndmask_b32_e32 v9, 0, v9, vcc_lo
	v_cmp_ngt_f32_e32 vcc_lo, 0xc2ce8ed0, v6
	v_fmac_f32_e32 v31, 0x32a5705f, v7
	v_cvt_i32_f32_e32 v21, v34
	v_dual_cndmask_b32 v10, 0, v10 :: v_dual_fmac_f32 v27, 0x32a5705f, v8
	s_delay_alu instid0(VALU_DEP_3) | instskip(SKIP_1) | instid1(VALU_DEP_3)
	v_dual_add_f32 v14, v14, v31 :: v_dual_sub_f32 v11, v11, v26
	v_cmp_nlt_f32_e32 vcc_lo, 0x42b17218, v0
	v_dual_sub_f32 v13, v13, v30 :: v_dual_add_f32 v12, v12, v27
	v_cvt_i32_f32_e32 v26, v26
	v_cvt_i32_f32_e32 v30, v30
	v_cndmask_b32_e32 v0, 0x7f800000, v5, vcc_lo
	v_add_f32_e32 v11, v11, v25
	v_cmp_nlt_f32_e32 vcc_lo, 0x42b17218, v4
	v_sub_f32_e32 v15, v15, v34
	v_exp_f32_e32 v12, v12
	v_exp_f32_e32 v14, v14
	;; [unrolled: 1-line block ×3, first 2 shown]
	v_cndmask_b32_e32 v4, 0x7f800000, v9, vcc_lo
	v_cmp_ngt_f32_e32 vcc_lo, 0xc2ce8ed0, v1
	s_delay_alu instid0(VALU_DEP_2) | instskip(NEXT) | instid1(TRANS32_DEP_3)
	v_add_f32_e32 v9, v0, v4
	v_ldexp_f32 v12, v12, v28
	s_waitcnt_depctr 0xfff
	v_ldexp_f32 v14, v14, v19
	v_ldexp_f32 v11, v11, v26
	v_lshlrev_b32_e32 v19, 3, v17
	s_delay_alu instid0(VALU_DEP_2) | instskip(SKIP_4) | instid1(VALU_DEP_1)
	v_cndmask_b32_e32 v5, 0, v11, vcc_lo
	v_cmp_nlt_f32_e32 vcc_lo, 0x42b17218, v6
	v_cndmask_b32_e32 v6, 0x7f800000, v10, vcc_lo
	v_cmp_ngt_f32_e32 vcc_lo, 0xc2ce8ed0, v8
	v_dual_fmac_f32 v29, 0x32a5705f, v2 :: v_dual_cndmask_b32 v10, 0, v12
	v_add_f32_e32 v13, v13, v29
	v_cmp_nlt_f32_e32 vcc_lo, 0x42b17218, v1
	s_delay_alu instid0(VALU_DEP_2)
	v_exp_f32_e32 v13, v13
	v_cndmask_b32_e32 v1, 0x7f800000, v5, vcc_lo
	v_cmp_ngt_f32_e32 vcc_lo, 0xc2ce8ed0, v2
	v_add_f32_e32 v5, v9, v6
	s_waitcnt_depctr 0xfff
	v_ldexp_f32 v13, v13, v30
	s_delay_alu instid0(VALU_DEP_1) | instskip(SKIP_4) | instid1(VALU_DEP_1)
	v_cndmask_b32_e32 v9, 0, v13, vcc_lo
	v_cmp_nlt_f32_e32 vcc_lo, 0x42b17218, v8
	v_cndmask_b32_e32 v8, 0x7f800000, v10, vcc_lo
	v_cmp_ngt_f32_e32 vcc_lo, 0xc2ce8ed0, v7
	v_dual_fmac_f32 v33, 0x32a5705f, v3 :: v_dual_cndmask_b32 v10, 0, v14
	v_add_f32_e32 v15, v15, v33
	v_cmp_nlt_f32_e32 vcc_lo, 0x42b17218, v2
	s_delay_alu instid0(VALU_DEP_2) | instskip(SKIP_3) | instid1(VALU_DEP_2)
	v_exp_f32_e32 v15, v15
	v_cndmask_b32_e32 v2, 0x7f800000, v9, vcc_lo
	v_add_f32_e32 v5, v5, v1
	v_cmp_ngt_f32_e32 vcc_lo, 0xc2ce8ed0, v3
	v_add_f32_e32 v5, v5, v8
	s_waitcnt_depctr 0xfff
	v_ldexp_f32 v15, v15, v21
	v_add_f32_e32 v5, v5, v2
	s_delay_alu instid0(VALU_DEP_2) | instskip(SKIP_3) | instid1(VALU_DEP_2)
	v_cndmask_b32_e32 v9, 0, v15, vcc_lo
	v_cmp_nlt_f32_e32 vcc_lo, 0x42b17218, v7
	v_cndmask_b32_e32 v7, 0x7f800000, v10, vcc_lo
	v_cmp_nlt_f32_e32 vcc_lo, 0x42b17218, v3
	v_add_f32_e32 v5, v5, v7
	v_cndmask_b32_e32 v3, 0x7f800000, v9, vcc_lo
	s_delay_alu instid0(VALU_DEP_1) | instskip(SKIP_3) | instid1(VALU_DEP_1)
	v_add_f32_e32 v5, v5, v3
	ds_bpermute_b32 v9, v18, v5
	s_waitcnt lgkmcnt(0)
	v_add_f32_e32 v5, v5, v9
	v_div_scale_f32 v9, null, v5, v5, 1.0
	v_div_scale_f32 v12, vcc_lo, 1.0, v5, 1.0
	s_delay_alu instid0(VALU_DEP_2) | instskip(SKIP_2) | instid1(VALU_DEP_1)
	v_rcp_f32_e32 v10, v9
	s_waitcnt_depctr 0xfff
	v_fma_f32 v11, -v9, v10, 1.0
	v_fmac_f32_e32 v10, v11, v10
	s_delay_alu instid0(VALU_DEP_1) | instskip(NEXT) | instid1(VALU_DEP_1)
	v_mul_f32_e32 v11, v12, v10
	v_fma_f32 v13, -v9, v11, v12
	s_delay_alu instid0(VALU_DEP_1) | instskip(NEXT) | instid1(VALU_DEP_1)
	v_fmac_f32_e32 v11, v13, v10
	v_fma_f32 v9, -v9, v11, v12
	s_delay_alu instid0(VALU_DEP_1) | instskip(NEXT) | instid1(VALU_DEP_1)
	v_div_fmas_f32 v9, v9, v10, v11
	v_div_fixup_f32 v5, v9, v5, 1.0
	s_delay_alu instid0(VALU_DEP_1)
	v_mul_f32_e32 v0, v5, v0
	v_mul_f32_e32 v4, v5, v4
	;; [unrolled: 1-line block ×5, first 2 shown]
	v_cmp_class_f32_e64 vcc_lo, v0, 0x1f8
	v_mul_f32_e32 v10, v5, v2
	v_mul_f32_e32 v11, v5, v3
	v_dual_mul_f32 v7, v5, v7 :: v_dual_cndmask_b32 v0, 0, v0
	v_cmp_class_f32_e64 vcc_lo, v4, 0x1f8
	v_cndmask_b32_e32 v1, 0, v4, vcc_lo
	v_cmp_class_f32_e64 vcc_lo, v6, 0x1f8
	v_cndmask_b32_e32 v2, 0, v6, vcc_lo
	v_cmp_class_f32_e64 vcc_lo, v9, 0x1f8
	v_cndmask_b32_e32 v3, 0, v9, vcc_lo
	v_cmp_class_f32_e64 vcc_lo, v8, 0x1f8
	v_cndmask_b32_e32 v4, 0, v8, vcc_lo
	v_cmp_class_f32_e64 vcc_lo, v10, 0x1f8
	v_cndmask_b32_e32 v5, 0, v10, vcc_lo
	v_cmp_class_f32_e64 vcc_lo, v7, 0x1f8
	v_cndmask_b32_e32 v6, 0, v7, vcc_lo
	v_cmp_class_f32_e64 vcc_lo, v11, 0x1f8
	v_cndmask_b32_e32 v7, 0, v11, vcc_lo
	s_cbranch_scc1 .LBB156_19
; %bb.4:
	v_lshlrev_b32_e32 v12, 2, v19
	s_clause 0x1
	global_load_b128 v[8:11], v12, s[2:3]
	global_load_b128 v[12:15], v12, s[2:3] offset:16
	s_waitcnt vmcnt(1)
	v_dual_add_f32 v9, v9, v1 :: v_dual_add_f32 v8, v8, v0
	v_dual_add_f32 v11, v11, v3 :: v_dual_add_f32 v10, v10, v2
	s_waitcnt vmcnt(0)
	v_dual_add_f32 v13, v13, v5 :: v_dual_add_f32 v12, v12, v4
	v_dual_add_f32 v15, v15, v7 :: v_dual_add_f32 v14, v14, v6
	s_cbranch_execnz .LBB156_6
.LBB156_5:
	v_dual_mov_b32 v15, v7 :: v_dual_mov_b32 v14, v6
	v_dual_mov_b32 v13, v5 :: v_dual_mov_b32 v12, v4
	;; [unrolled: 1-line block ×4, first 2 shown]
.LBB156_6:
	s_load_b128 s[4:7], s[0:1], 0x30
	v_cmp_eq_u32_e64 s2, 0, v17
	s_waitcnt lgkmcnt(0)
	s_bitcmp1_b32 s7, 0
	s_mov_b32 s7, 0
	s_cselect_b32 vcc_lo, -1, 0
	s_cmp_gt_i32 s4, 0
	s_cselect_b32 s3, -1, 0
	s_cmp_lt_i32 s4, 1
	s_cbranch_scc1 .LBB156_20
; %bb.7:
	s_load_b128 s[8:11], s[0:1], 0x20
	v_mul_lo_u32 v21, v16, s4
	v_mov_b32_e32 v20, 0
	v_mov_b32_e32 v22, v16
	s_branch .LBB156_10
.LBB156_8:                              ;   in Loop: Header=BB156_10 Depth=1
	s_or_b32 exec_lo, exec_lo, s1
.LBB156_9:                              ;   in Loop: Header=BB156_10 Depth=1
	v_add_nc_u32_e32 v22, s14, v22
	s_cmp_eq_u32 s4, s7
	s_cbranch_scc1 .LBB156_21
.LBB156_10:                             ; =>This Inner Loop Header: Depth=1
	v_cmp_gt_f32_e64 s0, v9, v8
	s_mov_b32 s17, exec_lo
	s_delay_alu instid0(VALU_DEP_1) | instskip(SKIP_2) | instid1(VALU_DEP_3)
	v_cndmask_b32_e64 v23, v8, v9, s0
	v_cndmask_b32_e64 v24, 0, 1, s0
	;; [unrolled: 1-line block ×3, first 2 shown]
	v_cmp_gt_f32_e64 s1, v10, v23
	s_delay_alu instid0(VALU_DEP_1) | instskip(NEXT) | instid1(VALU_DEP_4)
	v_cndmask_b32_e64 v23, v23, v10, s1
	v_cndmask_b32_e64 v24, v24, 2, s1
	s_delay_alu instid0(VALU_DEP_4) | instskip(NEXT) | instid1(VALU_DEP_3)
	v_cndmask_b32_e64 v25, v25, v2, s1
	v_cmp_gt_f32_e64 s0, v11, v23
	s_delay_alu instid0(VALU_DEP_1) | instskip(NEXT) | instid1(VALU_DEP_4)
	v_cndmask_b32_e64 v23, v23, v11, s0
	v_cndmask_b32_e64 v24, v24, 3, s0
	s_delay_alu instid0(VALU_DEP_4) | instskip(NEXT) | instid1(VALU_DEP_3)
	v_cndmask_b32_e64 v25, v25, v3, s0
	;; [unrolled: 6-line block ×5, first 2 shown]
	v_cmp_gt_f32_e64 s0, v15, v23
	s_delay_alu instid0(VALU_DEP_1) | instskip(NEXT) | instid1(VALU_DEP_4)
	v_cndmask_b32_e64 v27, v23, v15, s0
	v_cndmask_b32_e64 v23, v24, 7, s0
	s_delay_alu instid0(VALU_DEP_4)
	v_cndmask_b32_e64 v24, v25, v7, s0
	ds_bpermute_b32 v28, v18, v27
	v_or_b32_e32 v23, v19, v23
	ds_bpermute_b32 v26, v18, v24
	ds_bpermute_b32 v25, v18, v23
	s_waitcnt lgkmcnt(0)
	v_cmp_lt_f32_e64 s16, v27, v28
	v_cmpx_nlt_f32_e32 v27, v28
	s_cbranch_execnz .LBB156_14
; %bb.11:                               ;   in Loop: Header=BB156_10 Depth=1
	s_or_b32 exec_lo, exec_lo, s17
	s_delay_alu instid0(VALU_DEP_2)
	s_and_saveexec_b32 s0, s16
	s_cbranch_execnz .LBB156_15
.LBB156_12:                             ;   in Loop: Header=BB156_10 Depth=1
	s_or_b32 exec_lo, exec_lo, s0
	s_and_saveexec_b32 s16, s2
	s_cbranch_execnz .LBB156_16
.LBB156_13:                             ;   in Loop: Header=BB156_10 Depth=1
	s_or_b32 exec_lo, exec_lo, s16
	s_add_i32 s7, s7, 1
	s_delay_alu instid0(SALU_CYCLE_1)
	s_cmp_ge_i32 s7, s4
	s_cbranch_scc1 .LBB156_9
	s_branch .LBB156_17
.LBB156_14:                             ;   in Loop: Header=BB156_10 Depth=1
	v_cmp_eq_f32_e64 s0, v27, v28
	v_cmp_lt_i32_e64 s1, v25, v23
	s_delay_alu instid0(VALU_DEP_1) | instskip(SKIP_2) | instid1(SALU_CYCLE_1)
	s_and_b32 s0, s0, s1
	s_and_not1_b32 s1, s16, exec_lo
	s_and_b32 s0, s0, exec_lo
	s_or_b32 s16, s1, s0
	s_or_b32 exec_lo, exec_lo, s17
	s_and_saveexec_b32 s0, s16
	s_cbranch_execz .LBB156_12
.LBB156_15:                             ;   in Loop: Header=BB156_10 Depth=1
	v_dual_mov_b32 v24, v26 :: v_dual_mov_b32 v23, v25
	s_or_b32 exec_lo, exec_lo, s0
	s_and_saveexec_b32 s16, s2
	s_cbranch_execz .LBB156_13
.LBB156_16:                             ;   in Loop: Header=BB156_10 Depth=1
	s_delay_alu instid0(VALU_DEP_1) | instskip(SKIP_3) | instid1(VALU_DEP_4)
	v_dual_add_f32 v32, v20, v24 :: v_dual_add_nc_u32 v25, s7, v21
	v_cmp_le_i32_e64 s0, s5, v23
	v_cmp_gt_i32_e64 s1, s6, v23
	v_subrev_nc_u32_e32 v27, s5, v23
	v_ashrrev_i32_e32 v26, 31, v25
	v_cndmask_b32_e32 v20, v20, v32, vcc_lo
	s_delay_alu instid0(VALU_DEP_4) | instskip(NEXT) | instid1(SALU_CYCLE_1)
	s_and_b32 s0, s0, s1
	s_and_b32 s0, s15, s0
	s_delay_alu instid0(VALU_DEP_2) | instskip(SKIP_1) | instid1(VALU_DEP_2)
	v_lshlrev_b64 v[25:26], 2, v[25:26]
	v_cndmask_b32_e64 v31, 16, v27, s0
	v_add_co_u32 v27, s0, s12, v25
	s_delay_alu instid0(VALU_DEP_1) | instskip(SKIP_1) | instid1(VALU_DEP_1)
	v_add_co_ci_u32_e64 v28, s0, s13, v26, s0
	v_add_co_u32 v29, s0, s8, v25
	v_add_co_ci_u32_e64 v30, s0, s9, v26, s0
	v_add_co_u32 v25, s0, s10, v25
	s_delay_alu instid0(VALU_DEP_1)
	v_add_co_ci_u32_e64 v26, s0, s11, v26, s0
	global_store_b32 v[27:28], v24, off
	global_store_b32 v[29:30], v31, off
	;; [unrolled: 1-line block ×3, first 2 shown]
	s_or_b32 exec_lo, exec_lo, s16
	s_add_i32 s7, s7, 1
	s_delay_alu instid0(SALU_CYCLE_1)
	s_cmp_ge_i32 s7, s4
	s_cbranch_scc1 .LBB156_9
.LBB156_17:                             ;   in Loop: Header=BB156_10 Depth=1
	v_ashrrev_i32_e32 v25, 31, v23
	s_mov_b32 s1, exec_lo
	s_delay_alu instid0(VALU_DEP_1) | instskip(NEXT) | instid1(VALU_DEP_1)
	v_lshrrev_b32_e32 v24, 29, v25
	v_add_nc_u32_e32 v26, v23, v24
	s_delay_alu instid0(VALU_DEP_1) | instskip(SKIP_1) | instid1(VALU_DEP_1)
	v_ashrrev_i32_e32 v24, 3, v26
	v_lshrrev_b32_e32 v26, 31, v26
	v_add_nc_u32_e32 v26, v24, v26
	s_delay_alu instid0(VALU_DEP_1) | instskip(NEXT) | instid1(VALU_DEP_1)
	v_and_b32_e32 v26, -2, v26
	v_sub_nc_u32_e32 v26, v24, v26
	s_delay_alu instid0(VALU_DEP_1)
	v_cmpx_eq_u32_e64 v17, v26
	s_cbranch_execz .LBB156_8
; %bb.18:                               ;   in Loop: Header=BB156_10 Depth=1
	v_lshrrev_b32_e32 v25, 28, v25
	v_lshlrev_b32_e32 v24, 3, v24
	s_delay_alu instid0(VALU_DEP_2) | instskip(NEXT) | instid1(VALU_DEP_2)
	v_add_nc_u32_e32 v25, v23, v25
	v_sub_nc_u32_e32 v23, v23, v24
	s_delay_alu instid0(VALU_DEP_2) | instskip(NEXT) | instid1(VALU_DEP_1)
	v_ashrrev_i32_e32 v24, 4, v25
	v_lshl_add_u32 v23, v24, 3, v23
	s_delay_alu instid0(VALU_DEP_1) | instskip(NEXT) | instid1(VALU_DEP_1)
	v_cmp_ne_u32_e64 s0, 7, v23
	v_cndmask_b32_e64 v15, 0xc61c4000, v15, s0
	v_cmp_ne_u32_e64 s0, 6, v23
	s_delay_alu instid0(VALU_DEP_1) | instskip(SKIP_1) | instid1(VALU_DEP_1)
	v_cndmask_b32_e64 v14, 0xc61c4000, v14, s0
	v_cmp_ne_u32_e64 s0, 5, v23
	v_cndmask_b32_e64 v13, 0xc61c4000, v13, s0
	v_cmp_ne_u32_e64 s0, 4, v23
	s_delay_alu instid0(VALU_DEP_1) | instskip(SKIP_1) | instid1(VALU_DEP_1)
	v_cndmask_b32_e64 v12, 0xc61c4000, v12, s0
	;; [unrolled: 5-line block ×3, first 2 shown]
	v_cmp_ne_u32_e64 s0, 1, v23
	v_cndmask_b32_e64 v9, 0xc61c4000, v9, s0
	v_cmp_ne_u32_e64 s0, 0, v23
	s_delay_alu instid0(VALU_DEP_1)
	v_cndmask_b32_e64 v8, 0xc61c4000, v8, s0
	s_branch .LBB156_8
.LBB156_19:
                                        ; implicit-def: $vgpr8_vgpr9_vgpr10_vgpr11_vgpr12_vgpr13_vgpr14_vgpr15
	s_and_not1_b32 vcc_lo, exec_lo, s8
	s_cbranch_vccz .LBB156_5
	s_branch .LBB156_6
.LBB156_20:
	v_mov_b32_e32 v20, 0
.LBB156_21:
	v_cmp_eq_u32_e64 s0, 0, v17
	s_delay_alu instid0(VALU_DEP_1) | instskip(NEXT) | instid1(SALU_CYCLE_1)
	s_and_b32 s0, s0, vcc_lo
	s_and_b32 exec_lo, exec_lo, s0
	s_cbranch_execz .LBB156_25
; %bb.22:
	s_and_not1_b32 vcc_lo, exec_lo, s3
	s_cbranch_vccnz .LBB156_25
; %bb.23:
	v_mul_lo_u32 v0, v16, s4
	v_cmp_lt_f32_e32 vcc_lo, 0, v20
	v_cndmask_b32_e32 v2, 1.0, v20, vcc_lo
	s_delay_alu instid0(VALU_DEP_3) | instskip(NEXT) | instid1(VALU_DEP_1)
	v_ashrrev_i32_e32 v1, 31, v0
	v_lshlrev_b64 v[0:1], 2, v[0:1]
	s_delay_alu instid0(VALU_DEP_1) | instskip(NEXT) | instid1(VALU_DEP_2)
	v_add_co_u32 v0, vcc_lo, s12, v0
	v_add_co_ci_u32_e32 v1, vcc_lo, s13, v1, vcc_lo
	.p2align	6
.LBB156_24:                             ; =>This Inner Loop Header: Depth=1
	global_load_b32 v3, v[0:1], off
	s_add_i32 s4, s4, -1
	s_delay_alu instid0(SALU_CYCLE_1) | instskip(SKIP_3) | instid1(VALU_DEP_2)
	s_cmp_lg_u32 s4, 0
	s_waitcnt vmcnt(0)
	v_div_scale_f32 v4, null, v2, v2, v3
	v_div_scale_f32 v7, vcc_lo, v3, v2, v3
	v_rcp_f32_e32 v5, v4
	s_waitcnt_depctr 0xfff
	v_fma_f32 v6, -v4, v5, 1.0
	s_delay_alu instid0(VALU_DEP_1) | instskip(NEXT) | instid1(VALU_DEP_1)
	v_fmac_f32_e32 v5, v6, v5
	v_mul_f32_e32 v6, v7, v5
	s_delay_alu instid0(VALU_DEP_1) | instskip(NEXT) | instid1(VALU_DEP_1)
	v_fma_f32 v8, -v4, v6, v7
	v_fmac_f32_e32 v6, v8, v5
	s_delay_alu instid0(VALU_DEP_1) | instskip(NEXT) | instid1(VALU_DEP_1)
	v_fma_f32 v4, -v4, v6, v7
	v_div_fmas_f32 v4, v4, v5, v6
	s_delay_alu instid0(VALU_DEP_1)
	v_div_fixup_f32 v3, v4, v2, v3
	global_store_b32 v[0:1], v3, off
	v_add_co_u32 v0, vcc_lo, v0, 4
	v_add_co_ci_u32_e32 v1, vcc_lo, 0, v1, vcc_lo
	s_cbranch_scc1 .LBB156_24
.LBB156_25:
	s_nop 0
	s_sendmsg sendmsg(MSG_DEALLOC_VGPRS)
	s_endpgm
	.section	.rodata,"a",@progbits
	.p2align	6, 0x0
	.amdhsa_kernel _ZN4vllm3moe10topkGatingILi8ELi16ELi4ELi16ELi64Ej14__hip_bfloat16LNS0_11ScoringFuncE0EEEvPKT5_PKbPfiPT4_PiiiibPKf
		.amdhsa_group_segment_fixed_size 0
		.amdhsa_private_segment_fixed_size 0
		.amdhsa_kernarg_size 72
		.amdhsa_user_sgpr_count 15
		.amdhsa_user_sgpr_dispatch_ptr 0
		.amdhsa_user_sgpr_queue_ptr 0
		.amdhsa_user_sgpr_kernarg_segment_ptr 1
		.amdhsa_user_sgpr_dispatch_id 0
		.amdhsa_user_sgpr_private_segment_size 0
		.amdhsa_wavefront_size32 1
		.amdhsa_uses_dynamic_stack 0
		.amdhsa_enable_private_segment 0
		.amdhsa_system_sgpr_workgroup_id_x 1
		.amdhsa_system_sgpr_workgroup_id_y 0
		.amdhsa_system_sgpr_workgroup_id_z 0
		.amdhsa_system_sgpr_workgroup_info 0
		.amdhsa_system_vgpr_workitem_id 1
		.amdhsa_next_free_vgpr 35
		.amdhsa_next_free_sgpr 18
		.amdhsa_reserve_vcc 1
		.amdhsa_float_round_mode_32 0
		.amdhsa_float_round_mode_16_64 0
		.amdhsa_float_denorm_mode_32 3
		.amdhsa_float_denorm_mode_16_64 3
		.amdhsa_dx10_clamp 1
		.amdhsa_ieee_mode 1
		.amdhsa_fp16_overflow 0
		.amdhsa_workgroup_processor_mode 1
		.amdhsa_memory_ordered 1
		.amdhsa_forward_progress 0
		.amdhsa_shared_vgpr_count 0
		.amdhsa_exception_fp_ieee_invalid_op 0
		.amdhsa_exception_fp_denorm_src 0
		.amdhsa_exception_fp_ieee_div_zero 0
		.amdhsa_exception_fp_ieee_overflow 0
		.amdhsa_exception_fp_ieee_underflow 0
		.amdhsa_exception_fp_ieee_inexact 0
		.amdhsa_exception_int_div_zero 0
	.end_amdhsa_kernel
	.section	.text._ZN4vllm3moe10topkGatingILi8ELi16ELi4ELi16ELi64Ej14__hip_bfloat16LNS0_11ScoringFuncE0EEEvPKT5_PKbPfiPT4_PiiiibPKf,"axG",@progbits,_ZN4vllm3moe10topkGatingILi8ELi16ELi4ELi16ELi64Ej14__hip_bfloat16LNS0_11ScoringFuncE0EEEvPKT5_PKbPfiPT4_PiiiibPKf,comdat
.Lfunc_end156:
	.size	_ZN4vllm3moe10topkGatingILi8ELi16ELi4ELi16ELi64Ej14__hip_bfloat16LNS0_11ScoringFuncE0EEEvPKT5_PKbPfiPT4_PiiiibPKf, .Lfunc_end156-_ZN4vllm3moe10topkGatingILi8ELi16ELi4ELi16ELi64Ej14__hip_bfloat16LNS0_11ScoringFuncE0EEEvPKT5_PKbPfiPT4_PiiiibPKf
                                        ; -- End function
	.section	.AMDGPU.csdata,"",@progbits
; Kernel info:
; codeLenInByte = 2836
; NumSgprs: 20
; NumVgprs: 35
; ScratchSize: 0
; MemoryBound: 0
; FloatMode: 240
; IeeeMode: 1
; LDSByteSize: 0 bytes/workgroup (compile time only)
; SGPRBlocks: 2
; VGPRBlocks: 4
; NumSGPRsForWavesPerEU: 20
; NumVGPRsForWavesPerEU: 35
; Occupancy: 16
; WaveLimiterHint : 0
; COMPUTE_PGM_RSRC2:SCRATCH_EN: 0
; COMPUTE_PGM_RSRC2:USER_SGPR: 15
; COMPUTE_PGM_RSRC2:TRAP_HANDLER: 0
; COMPUTE_PGM_RSRC2:TGID_X_EN: 1
; COMPUTE_PGM_RSRC2:TGID_Y_EN: 0
; COMPUTE_PGM_RSRC2:TGID_Z_EN: 0
; COMPUTE_PGM_RSRC2:TIDIG_COMP_CNT: 1
	.section	.text._ZN4vllm3moe10topkGatingILi8ELi16ELi4ELi16ELi32Ej14__hip_bfloat16LNS0_11ScoringFuncE0EEEvPKT5_PKbPfiPT4_PiiiibPKf,"axG",@progbits,_ZN4vllm3moe10topkGatingILi8ELi16ELi4ELi16ELi32Ej14__hip_bfloat16LNS0_11ScoringFuncE0EEEvPKT5_PKbPfiPT4_PiiiibPKf,comdat
	.protected	_ZN4vllm3moe10topkGatingILi8ELi16ELi4ELi16ELi32Ej14__hip_bfloat16LNS0_11ScoringFuncE0EEEvPKT5_PKbPfiPT4_PiiiibPKf ; -- Begin function _ZN4vllm3moe10topkGatingILi8ELi16ELi4ELi16ELi32Ej14__hip_bfloat16LNS0_11ScoringFuncE0EEEvPKT5_PKbPfiPT4_PiiiibPKf
	.globl	_ZN4vllm3moe10topkGatingILi8ELi16ELi4ELi16ELi32Ej14__hip_bfloat16LNS0_11ScoringFuncE0EEEvPKT5_PKbPfiPT4_PiiiibPKf
	.p2align	8
	.type	_ZN4vllm3moe10topkGatingILi8ELi16ELi4ELi16ELi32Ej14__hip_bfloat16LNS0_11ScoringFuncE0EEEvPKT5_PKbPfiPT4_PiiiibPKf,@function
_ZN4vllm3moe10topkGatingILi8ELi16ELi4ELi16ELi32Ej14__hip_bfloat16LNS0_11ScoringFuncE0EEEvPKT5_PKbPfiPT4_PiiiibPKf: ; @_ZN4vllm3moe10topkGatingILi8ELi16ELi4ELi16ELi32Ej14__hip_bfloat16LNS0_11ScoringFuncE0EEEvPKT5_PKbPfiPT4_PiiiibPKf
; %bb.0:
	s_load_b32 s14, s[0:1], 0x18
	v_bfe_u32 v1, v0, 10, 10
	v_and_b32_e32 v0, 0x3ff, v0
	s_lshl_b32 s2, s15, 6
	s_delay_alu instid0(VALU_DEP_2) | instskip(NEXT) | instid1(VALU_DEP_2)
	v_lshlrev_b32_e32 v1, 4, v1
	v_lshrrev_b32_e32 v2, 1, v0
	s_delay_alu instid0(VALU_DEP_1) | instskip(SKIP_2) | instid1(VALU_DEP_1)
	v_add3_u32 v16, s2, v1, v2
	s_mov_b32 s2, exec_lo
	s_waitcnt lgkmcnt(0)
	v_cmpx_gt_i32_e64 s14, v16
	s_cbranch_execz .LBB157_25
; %bb.1:
	s_clause 0x1
	s_load_b128 s[4:7], s[0:1], 0x0
	s_load_b64 s[12:13], s[0:1], 0x10
	s_mov_b32 s8, -1
	s_mov_b32 s15, -1
	s_waitcnt lgkmcnt(0)
	s_cmp_eq_u64 s[6:7], 0
	s_cbranch_scc1 .LBB157_3
; %bb.2:
	v_ashrrev_i32_e32 v2, 31, v16
	v_add_co_u32 v1, vcc_lo, s6, v16
	s_delay_alu instid0(VALU_DEP_2) | instskip(SKIP_3) | instid1(VALU_DEP_1)
	v_add_co_ci_u32_e32 v2, vcc_lo, s7, v2, vcc_lo
	global_load_u8 v1, v[1:2], off
	s_waitcnt vmcnt(0)
	v_and_b32_e32 v1, 1, v1
	v_cmp_eq_u32_e32 vcc_lo, 1, v1
	s_xor_b32 s2, vcc_lo, -1
	s_delay_alu instid0(SALU_CYCLE_1)
	s_or_not1_b32 s15, s2, exec_lo
.LBB157_3:
	v_lshlrev_b32_e32 v1, 4, v16
	v_and_b32_e32 v17, 1, v0
	v_mbcnt_lo_u32_b32 v5, -1, 0
	s_load_b64 s[2:3], s[0:1], 0x40
	s_delay_alu instid0(VALU_DEP_3) | instskip(NEXT) | instid1(VALU_DEP_2)
	v_ashrrev_i32_e32 v2, 31, v1
	v_xor_b32_e32 v9, 1, v5
	v_and_b32_e32 v8, 30, v5
	s_delay_alu instid0(VALU_DEP_3) | instskip(SKIP_1) | instid1(VALU_DEP_2)
	v_lshlrev_b64 v[0:1], 1, v[1:2]
	v_lshlrev_b32_e32 v2, 4, v17
	v_add_co_u32 v0, vcc_lo, s4, v0
	s_delay_alu instid0(VALU_DEP_3) | instskip(NEXT) | instid1(VALU_DEP_2)
	v_add_co_ci_u32_e32 v1, vcc_lo, s5, v1, vcc_lo
	v_add_co_u32 v0, vcc_lo, v0, v2
	s_delay_alu instid0(VALU_DEP_2)
	v_add_co_ci_u32_e32 v1, vcc_lo, 0, v1, vcc_lo
	s_waitcnt lgkmcnt(0)
	s_cmp_eq_u64 s[2:3], 0
	global_load_b128 v[0:3], v[0:1], off
	s_waitcnt vmcnt(0)
	v_and_b32_e32 v4, 0xffff0000, v0
	v_lshlrev_b32_e32 v0, 16, v0
	v_lshlrev_b32_e32 v10, 16, v1
	s_delay_alu instid0(VALU_DEP_3) | instskip(NEXT) | instid1(VALU_DEP_3)
	v_dual_max_f32 v6, v4, v4 :: v_dual_and_b32 v1, 0xffff0000, v1
	v_max_f32_e32 v7, v0, v0
	s_delay_alu instid0(VALU_DEP_1) | instskip(SKIP_1) | instid1(VALU_DEP_2)
	v_dual_max_f32 v6, v7, v6 :: v_dual_add_nc_u32 v7, 2, v8
	v_lshlrev_b32_e32 v8, 16, v2
	v_max3_f32 v6, v6, v10, v1
	s_delay_alu instid0(VALU_DEP_3) | instskip(SKIP_4) | instid1(VALU_DEP_4)
	v_cmp_lt_i32_e32 vcc_lo, v9, v7
	v_cndmask_b32_e32 v5, v5, v9, vcc_lo
	v_lshlrev_b32_e32 v7, 16, v3
	v_and_b32_e32 v2, 0xffff0000, v2
	v_and_b32_e32 v3, 0xffff0000, v3
	v_lshlrev_b32_e32 v18, 2, v5
	s_delay_alu instid0(VALU_DEP_3) | instskip(NEXT) | instid1(VALU_DEP_1)
	v_max3_f32 v6, v6, v8, v2
	v_max3_f32 v5, v6, v7, v3
	ds_bpermute_b32 v6, v18, v5
	s_waitcnt lgkmcnt(0)
	v_max_f32_e32 v6, v6, v6
	s_delay_alu instid0(VALU_DEP_1) | instskip(NEXT) | instid1(VALU_DEP_1)
	v_max_f32_e32 v5, v5, v6
	v_sub_f32_e32 v4, v4, v5
	v_sub_f32_e32 v0, v0, v5
	;; [unrolled: 1-line block ×4, first 2 shown]
	s_delay_alu instid0(VALU_DEP_4) | instskip(SKIP_3) | instid1(VALU_DEP_4)
	v_dual_sub_f32 v2, v2, v5 :: v_dual_mul_f32 v9, 0x3fb8aa3b, v4
	v_sub_f32_e32 v6, v10, v5
	v_sub_f32_e32 v3, v3, v5
	v_cmp_ngt_f32_e32 vcc_lo, 0xc2ce8ed0, v0
	v_fma_f32 v21, 0x3fb8aa3b, v4, -v9
	s_delay_alu instid0(VALU_DEP_4) | instskip(NEXT) | instid1(VALU_DEP_4)
	v_mul_f32_e32 v10, 0x3fb8aa3b, v6
	v_dual_sub_f32 v8, v8, v5 :: v_dual_mul_f32 v15, 0x3fb8aa3b, v3
	v_mul_f32_e32 v5, 0x3fb8aa3b, v0
	v_mul_f32_e32 v11, 0x3fb8aa3b, v1
	v_rndne_f32_e32 v22, v9
	s_delay_alu instid0(VALU_DEP_4)
	v_mul_f32_e32 v12, 0x3fb8aa3b, v8
	v_fma_f32 v23, 0x3fb8aa3b, v6, -v10
	v_fma_f32 v19, 0x3fb8aa3b, v0, -v5
	v_rndne_f32_e32 v20, v5
	v_mul_f32_e32 v14, 0x3fb8aa3b, v7
	v_rndne_f32_e32 v24, v10
	v_rndne_f32_e32 v28, v12
	v_fmac_f32_e32 v19, 0x32a5705f, v0
	v_sub_f32_e32 v5, v5, v20
	v_fma_f32 v27, 0x3fb8aa3b, v8, -v12
	v_dual_sub_f32 v9, v9, v22 :: v_dual_sub_f32 v10, v10, v24
	v_dual_fmac_f32 v23, 0x32a5705f, v6 :: v_dual_sub_f32 v12, v12, v28
	v_fmac_f32_e32 v21, 0x32a5705f, v4
	v_add_f32_e32 v5, v5, v19
	v_cvt_i32_f32_e32 v20, v20
	s_delay_alu instid0(VALU_DEP_4)
	v_add_f32_e32 v10, v10, v23
	v_cvt_i32_f32_e32 v22, v22
	v_add_f32_e32 v9, v9, v21
	v_exp_f32_e32 v5, v5
	v_fma_f32 v25, 0x3fb8aa3b, v1, -v11
	v_exp_f32_e32 v10, v10
	v_fma_f32 v31, 0x3fb8aa3b, v7, -v14
	v_exp_f32_e32 v9, v9
	v_rndne_f32_e32 v32, v14
	v_cvt_i32_f32_e32 v24, v24
	v_mul_f32_e32 v13, 0x3fb8aa3b, v2
	v_rndne_f32_e32 v26, v11
	s_delay_alu instid0(VALU_DEP_4) | instskip(SKIP_1) | instid1(TRANS32_DEP_2)
	v_dual_fmac_f32 v25, 0x32a5705f, v1 :: v_dual_sub_f32 v14, v14, v32
	v_ldexp_f32 v5, v5, v20
	v_ldexp_f32 v10, v10, v24
	v_rndne_f32_e32 v30, v13
	s_delay_alu instid0(TRANS32_DEP_1)
	v_ldexp_f32 v9, v9, v22
	v_fma_f32 v29, 0x3fb8aa3b, v2, -v13
	v_cndmask_b32_e32 v5, 0, v5, vcc_lo
	v_cmp_ngt_f32_e32 vcc_lo, 0xc2ce8ed0, v4
	v_rndne_f32_e32 v34, v15
	v_fma_f32 v33, 0x3fb8aa3b, v3, -v15
	v_cvt_i32_f32_e32 v28, v28
	v_cvt_i32_f32_e32 v19, v32
	v_cndmask_b32_e32 v9, 0, v9, vcc_lo
	v_cmp_ngt_f32_e32 vcc_lo, 0xc2ce8ed0, v6
	v_fmac_f32_e32 v31, 0x32a5705f, v7
	v_cvt_i32_f32_e32 v21, v34
	v_dual_cndmask_b32 v10, 0, v10 :: v_dual_fmac_f32 v27, 0x32a5705f, v8
	s_delay_alu instid0(VALU_DEP_3) | instskip(SKIP_1) | instid1(VALU_DEP_3)
	v_dual_add_f32 v14, v14, v31 :: v_dual_sub_f32 v11, v11, v26
	v_cmp_nlt_f32_e32 vcc_lo, 0x42b17218, v0
	v_dual_sub_f32 v13, v13, v30 :: v_dual_add_f32 v12, v12, v27
	v_cvt_i32_f32_e32 v26, v26
	v_cvt_i32_f32_e32 v30, v30
	v_cndmask_b32_e32 v0, 0x7f800000, v5, vcc_lo
	v_add_f32_e32 v11, v11, v25
	v_cmp_nlt_f32_e32 vcc_lo, 0x42b17218, v4
	v_sub_f32_e32 v15, v15, v34
	v_exp_f32_e32 v12, v12
	v_exp_f32_e32 v14, v14
	;; [unrolled: 1-line block ×3, first 2 shown]
	v_cndmask_b32_e32 v4, 0x7f800000, v9, vcc_lo
	v_cmp_ngt_f32_e32 vcc_lo, 0xc2ce8ed0, v1
	s_delay_alu instid0(VALU_DEP_2) | instskip(NEXT) | instid1(TRANS32_DEP_3)
	v_add_f32_e32 v9, v0, v4
	v_ldexp_f32 v12, v12, v28
	s_waitcnt_depctr 0xfff
	v_ldexp_f32 v14, v14, v19
	v_ldexp_f32 v11, v11, v26
	v_lshlrev_b32_e32 v19, 3, v17
	s_delay_alu instid0(VALU_DEP_2) | instskip(SKIP_4) | instid1(VALU_DEP_1)
	v_cndmask_b32_e32 v5, 0, v11, vcc_lo
	v_cmp_nlt_f32_e32 vcc_lo, 0x42b17218, v6
	v_cndmask_b32_e32 v6, 0x7f800000, v10, vcc_lo
	v_cmp_ngt_f32_e32 vcc_lo, 0xc2ce8ed0, v8
	v_dual_fmac_f32 v29, 0x32a5705f, v2 :: v_dual_cndmask_b32 v10, 0, v12
	v_add_f32_e32 v13, v13, v29
	v_cmp_nlt_f32_e32 vcc_lo, 0x42b17218, v1
	s_delay_alu instid0(VALU_DEP_2)
	v_exp_f32_e32 v13, v13
	v_cndmask_b32_e32 v1, 0x7f800000, v5, vcc_lo
	v_cmp_ngt_f32_e32 vcc_lo, 0xc2ce8ed0, v2
	v_add_f32_e32 v5, v9, v6
	s_waitcnt_depctr 0xfff
	v_ldexp_f32 v13, v13, v30
	s_delay_alu instid0(VALU_DEP_1) | instskip(SKIP_4) | instid1(VALU_DEP_1)
	v_cndmask_b32_e32 v9, 0, v13, vcc_lo
	v_cmp_nlt_f32_e32 vcc_lo, 0x42b17218, v8
	v_cndmask_b32_e32 v8, 0x7f800000, v10, vcc_lo
	v_cmp_ngt_f32_e32 vcc_lo, 0xc2ce8ed0, v7
	v_dual_fmac_f32 v33, 0x32a5705f, v3 :: v_dual_cndmask_b32 v10, 0, v14
	v_add_f32_e32 v15, v15, v33
	v_cmp_nlt_f32_e32 vcc_lo, 0x42b17218, v2
	s_delay_alu instid0(VALU_DEP_2) | instskip(SKIP_3) | instid1(VALU_DEP_2)
	v_exp_f32_e32 v15, v15
	v_cndmask_b32_e32 v2, 0x7f800000, v9, vcc_lo
	v_add_f32_e32 v5, v5, v1
	v_cmp_ngt_f32_e32 vcc_lo, 0xc2ce8ed0, v3
	v_add_f32_e32 v5, v5, v8
	s_waitcnt_depctr 0xfff
	v_ldexp_f32 v15, v15, v21
	v_add_f32_e32 v5, v5, v2
	s_delay_alu instid0(VALU_DEP_2) | instskip(SKIP_3) | instid1(VALU_DEP_2)
	v_cndmask_b32_e32 v9, 0, v15, vcc_lo
	v_cmp_nlt_f32_e32 vcc_lo, 0x42b17218, v7
	v_cndmask_b32_e32 v7, 0x7f800000, v10, vcc_lo
	v_cmp_nlt_f32_e32 vcc_lo, 0x42b17218, v3
	v_add_f32_e32 v5, v5, v7
	v_cndmask_b32_e32 v3, 0x7f800000, v9, vcc_lo
	s_delay_alu instid0(VALU_DEP_1) | instskip(SKIP_3) | instid1(VALU_DEP_1)
	v_add_f32_e32 v5, v5, v3
	ds_bpermute_b32 v9, v18, v5
	s_waitcnt lgkmcnt(0)
	v_add_f32_e32 v5, v5, v9
	v_div_scale_f32 v9, null, v5, v5, 1.0
	v_div_scale_f32 v12, vcc_lo, 1.0, v5, 1.0
	s_delay_alu instid0(VALU_DEP_2) | instskip(SKIP_2) | instid1(VALU_DEP_1)
	v_rcp_f32_e32 v10, v9
	s_waitcnt_depctr 0xfff
	v_fma_f32 v11, -v9, v10, 1.0
	v_fmac_f32_e32 v10, v11, v10
	s_delay_alu instid0(VALU_DEP_1) | instskip(NEXT) | instid1(VALU_DEP_1)
	v_mul_f32_e32 v11, v12, v10
	v_fma_f32 v13, -v9, v11, v12
	s_delay_alu instid0(VALU_DEP_1) | instskip(NEXT) | instid1(VALU_DEP_1)
	v_fmac_f32_e32 v11, v13, v10
	v_fma_f32 v9, -v9, v11, v12
	s_delay_alu instid0(VALU_DEP_1) | instskip(NEXT) | instid1(VALU_DEP_1)
	v_div_fmas_f32 v9, v9, v10, v11
	v_div_fixup_f32 v5, v9, v5, 1.0
	s_delay_alu instid0(VALU_DEP_1)
	v_mul_f32_e32 v0, v5, v0
	v_mul_f32_e32 v4, v5, v4
	;; [unrolled: 1-line block ×5, first 2 shown]
	v_cmp_class_f32_e64 vcc_lo, v0, 0x1f8
	v_mul_f32_e32 v10, v5, v2
	v_mul_f32_e32 v11, v5, v3
	v_dual_mul_f32 v7, v5, v7 :: v_dual_cndmask_b32 v0, 0, v0
	v_cmp_class_f32_e64 vcc_lo, v4, 0x1f8
	v_cndmask_b32_e32 v1, 0, v4, vcc_lo
	v_cmp_class_f32_e64 vcc_lo, v6, 0x1f8
	v_cndmask_b32_e32 v2, 0, v6, vcc_lo
	;; [unrolled: 2-line block ×7, first 2 shown]
	s_cbranch_scc1 .LBB157_19
; %bb.4:
	v_lshlrev_b32_e32 v12, 2, v19
	s_clause 0x1
	global_load_b128 v[8:11], v12, s[2:3]
	global_load_b128 v[12:15], v12, s[2:3] offset:16
	s_waitcnt vmcnt(1)
	v_dual_add_f32 v9, v9, v1 :: v_dual_add_f32 v8, v8, v0
	v_dual_add_f32 v11, v11, v3 :: v_dual_add_f32 v10, v10, v2
	s_waitcnt vmcnt(0)
	v_dual_add_f32 v13, v13, v5 :: v_dual_add_f32 v12, v12, v4
	v_dual_add_f32 v15, v15, v7 :: v_dual_add_f32 v14, v14, v6
	s_cbranch_execnz .LBB157_6
.LBB157_5:
	v_dual_mov_b32 v15, v7 :: v_dual_mov_b32 v14, v6
	v_dual_mov_b32 v13, v5 :: v_dual_mov_b32 v12, v4
	;; [unrolled: 1-line block ×4, first 2 shown]
.LBB157_6:
	s_load_b128 s[4:7], s[0:1], 0x30
	v_cmp_eq_u32_e64 s2, 0, v17
	s_waitcnt lgkmcnt(0)
	s_bitcmp1_b32 s7, 0
	s_mov_b32 s7, 0
	s_cselect_b32 vcc_lo, -1, 0
	s_cmp_gt_i32 s4, 0
	s_cselect_b32 s3, -1, 0
	s_cmp_lt_i32 s4, 1
	s_cbranch_scc1 .LBB157_20
; %bb.7:
	s_load_b128 s[8:11], s[0:1], 0x20
	v_mul_lo_u32 v21, v16, s4
	v_mov_b32_e32 v20, 0
	v_mov_b32_e32 v22, v16
	s_branch .LBB157_10
.LBB157_8:                              ;   in Loop: Header=BB157_10 Depth=1
	s_or_b32 exec_lo, exec_lo, s1
.LBB157_9:                              ;   in Loop: Header=BB157_10 Depth=1
	v_add_nc_u32_e32 v22, s14, v22
	s_cmp_eq_u32 s4, s7
	s_cbranch_scc1 .LBB157_21
.LBB157_10:                             ; =>This Inner Loop Header: Depth=1
	v_cmp_gt_f32_e64 s0, v9, v8
	s_mov_b32 s17, exec_lo
	s_delay_alu instid0(VALU_DEP_1) | instskip(SKIP_2) | instid1(VALU_DEP_3)
	v_cndmask_b32_e64 v23, v8, v9, s0
	v_cndmask_b32_e64 v24, 0, 1, s0
	;; [unrolled: 1-line block ×3, first 2 shown]
	v_cmp_gt_f32_e64 s1, v10, v23
	s_delay_alu instid0(VALU_DEP_1) | instskip(NEXT) | instid1(VALU_DEP_4)
	v_cndmask_b32_e64 v23, v23, v10, s1
	v_cndmask_b32_e64 v24, v24, 2, s1
	s_delay_alu instid0(VALU_DEP_4) | instskip(NEXT) | instid1(VALU_DEP_3)
	v_cndmask_b32_e64 v25, v25, v2, s1
	v_cmp_gt_f32_e64 s0, v11, v23
	s_delay_alu instid0(VALU_DEP_1) | instskip(NEXT) | instid1(VALU_DEP_4)
	v_cndmask_b32_e64 v23, v23, v11, s0
	v_cndmask_b32_e64 v24, v24, 3, s0
	s_delay_alu instid0(VALU_DEP_4) | instskip(NEXT) | instid1(VALU_DEP_3)
	v_cndmask_b32_e64 v25, v25, v3, s0
	;; [unrolled: 6-line block ×5, first 2 shown]
	v_cmp_gt_f32_e64 s0, v15, v23
	s_delay_alu instid0(VALU_DEP_1) | instskip(NEXT) | instid1(VALU_DEP_4)
	v_cndmask_b32_e64 v27, v23, v15, s0
	v_cndmask_b32_e64 v23, v24, 7, s0
	s_delay_alu instid0(VALU_DEP_4)
	v_cndmask_b32_e64 v24, v25, v7, s0
	ds_bpermute_b32 v28, v18, v27
	v_or_b32_e32 v23, v19, v23
	ds_bpermute_b32 v26, v18, v24
	ds_bpermute_b32 v25, v18, v23
	s_waitcnt lgkmcnt(0)
	v_cmp_lt_f32_e64 s16, v27, v28
	v_cmpx_nlt_f32_e32 v27, v28
	s_cbranch_execnz .LBB157_14
; %bb.11:                               ;   in Loop: Header=BB157_10 Depth=1
	s_or_b32 exec_lo, exec_lo, s17
	s_delay_alu instid0(VALU_DEP_2)
	s_and_saveexec_b32 s0, s16
	s_cbranch_execnz .LBB157_15
.LBB157_12:                             ;   in Loop: Header=BB157_10 Depth=1
	s_or_b32 exec_lo, exec_lo, s0
	s_and_saveexec_b32 s16, s2
	s_cbranch_execnz .LBB157_16
.LBB157_13:                             ;   in Loop: Header=BB157_10 Depth=1
	s_or_b32 exec_lo, exec_lo, s16
	s_add_i32 s7, s7, 1
	s_delay_alu instid0(SALU_CYCLE_1)
	s_cmp_ge_i32 s7, s4
	s_cbranch_scc1 .LBB157_9
	s_branch .LBB157_17
.LBB157_14:                             ;   in Loop: Header=BB157_10 Depth=1
	v_cmp_eq_f32_e64 s0, v27, v28
	v_cmp_lt_i32_e64 s1, v25, v23
	s_delay_alu instid0(VALU_DEP_1) | instskip(SKIP_2) | instid1(SALU_CYCLE_1)
	s_and_b32 s0, s0, s1
	s_and_not1_b32 s1, s16, exec_lo
	s_and_b32 s0, s0, exec_lo
	s_or_b32 s16, s1, s0
	s_or_b32 exec_lo, exec_lo, s17
	s_and_saveexec_b32 s0, s16
	s_cbranch_execz .LBB157_12
.LBB157_15:                             ;   in Loop: Header=BB157_10 Depth=1
	v_dual_mov_b32 v24, v26 :: v_dual_mov_b32 v23, v25
	s_or_b32 exec_lo, exec_lo, s0
	s_and_saveexec_b32 s16, s2
	s_cbranch_execz .LBB157_13
.LBB157_16:                             ;   in Loop: Header=BB157_10 Depth=1
	s_delay_alu instid0(VALU_DEP_1) | instskip(SKIP_3) | instid1(VALU_DEP_4)
	v_dual_add_f32 v32, v20, v24 :: v_dual_add_nc_u32 v25, s7, v21
	v_cmp_le_i32_e64 s0, s5, v23
	v_cmp_gt_i32_e64 s1, s6, v23
	v_subrev_nc_u32_e32 v27, s5, v23
	v_ashrrev_i32_e32 v26, 31, v25
	v_cndmask_b32_e32 v20, v20, v32, vcc_lo
	s_delay_alu instid0(VALU_DEP_4) | instskip(NEXT) | instid1(SALU_CYCLE_1)
	s_and_b32 s0, s0, s1
	s_and_b32 s0, s15, s0
	s_delay_alu instid0(VALU_DEP_2) | instskip(SKIP_1) | instid1(VALU_DEP_2)
	v_lshlrev_b64 v[25:26], 2, v[25:26]
	v_cndmask_b32_e64 v31, 16, v27, s0
	v_add_co_u32 v27, s0, s12, v25
	s_delay_alu instid0(VALU_DEP_1) | instskip(SKIP_1) | instid1(VALU_DEP_1)
	v_add_co_ci_u32_e64 v28, s0, s13, v26, s0
	v_add_co_u32 v29, s0, s8, v25
	v_add_co_ci_u32_e64 v30, s0, s9, v26, s0
	v_add_co_u32 v25, s0, s10, v25
	s_delay_alu instid0(VALU_DEP_1)
	v_add_co_ci_u32_e64 v26, s0, s11, v26, s0
	global_store_b32 v[27:28], v24, off
	global_store_b32 v[29:30], v31, off
	;; [unrolled: 1-line block ×3, first 2 shown]
	s_or_b32 exec_lo, exec_lo, s16
	s_add_i32 s7, s7, 1
	s_delay_alu instid0(SALU_CYCLE_1)
	s_cmp_ge_i32 s7, s4
	s_cbranch_scc1 .LBB157_9
.LBB157_17:                             ;   in Loop: Header=BB157_10 Depth=1
	v_ashrrev_i32_e32 v25, 31, v23
	s_mov_b32 s1, exec_lo
	s_delay_alu instid0(VALU_DEP_1) | instskip(NEXT) | instid1(VALU_DEP_1)
	v_lshrrev_b32_e32 v24, 29, v25
	v_add_nc_u32_e32 v26, v23, v24
	s_delay_alu instid0(VALU_DEP_1) | instskip(SKIP_1) | instid1(VALU_DEP_1)
	v_ashrrev_i32_e32 v24, 3, v26
	v_lshrrev_b32_e32 v26, 31, v26
	v_add_nc_u32_e32 v26, v24, v26
	s_delay_alu instid0(VALU_DEP_1) | instskip(NEXT) | instid1(VALU_DEP_1)
	v_and_b32_e32 v26, -2, v26
	v_sub_nc_u32_e32 v26, v24, v26
	s_delay_alu instid0(VALU_DEP_1)
	v_cmpx_eq_u32_e64 v17, v26
	s_cbranch_execz .LBB157_8
; %bb.18:                               ;   in Loop: Header=BB157_10 Depth=1
	v_lshrrev_b32_e32 v25, 28, v25
	v_lshlrev_b32_e32 v24, 3, v24
	s_delay_alu instid0(VALU_DEP_2) | instskip(NEXT) | instid1(VALU_DEP_2)
	v_add_nc_u32_e32 v25, v23, v25
	v_sub_nc_u32_e32 v23, v23, v24
	s_delay_alu instid0(VALU_DEP_2) | instskip(NEXT) | instid1(VALU_DEP_1)
	v_ashrrev_i32_e32 v24, 4, v25
	v_lshl_add_u32 v23, v24, 3, v23
	s_delay_alu instid0(VALU_DEP_1) | instskip(NEXT) | instid1(VALU_DEP_1)
	v_cmp_ne_u32_e64 s0, 7, v23
	v_cndmask_b32_e64 v15, 0xc61c4000, v15, s0
	v_cmp_ne_u32_e64 s0, 6, v23
	s_delay_alu instid0(VALU_DEP_1) | instskip(SKIP_1) | instid1(VALU_DEP_1)
	v_cndmask_b32_e64 v14, 0xc61c4000, v14, s0
	v_cmp_ne_u32_e64 s0, 5, v23
	v_cndmask_b32_e64 v13, 0xc61c4000, v13, s0
	v_cmp_ne_u32_e64 s0, 4, v23
	s_delay_alu instid0(VALU_DEP_1) | instskip(SKIP_1) | instid1(VALU_DEP_1)
	v_cndmask_b32_e64 v12, 0xc61c4000, v12, s0
	;; [unrolled: 5-line block ×3, first 2 shown]
	v_cmp_ne_u32_e64 s0, 1, v23
	v_cndmask_b32_e64 v9, 0xc61c4000, v9, s0
	v_cmp_ne_u32_e64 s0, 0, v23
	s_delay_alu instid0(VALU_DEP_1)
	v_cndmask_b32_e64 v8, 0xc61c4000, v8, s0
	s_branch .LBB157_8
.LBB157_19:
                                        ; implicit-def: $vgpr8_vgpr9_vgpr10_vgpr11_vgpr12_vgpr13_vgpr14_vgpr15
	s_and_not1_b32 vcc_lo, exec_lo, s8
	s_cbranch_vccz .LBB157_5
	s_branch .LBB157_6
.LBB157_20:
	v_mov_b32_e32 v20, 0
.LBB157_21:
	v_cmp_eq_u32_e64 s0, 0, v17
	s_delay_alu instid0(VALU_DEP_1) | instskip(NEXT) | instid1(SALU_CYCLE_1)
	s_and_b32 s0, s0, vcc_lo
	s_and_b32 exec_lo, exec_lo, s0
	s_cbranch_execz .LBB157_25
; %bb.22:
	s_and_not1_b32 vcc_lo, exec_lo, s3
	s_cbranch_vccnz .LBB157_25
; %bb.23:
	v_mul_lo_u32 v0, v16, s4
	v_cmp_lt_f32_e32 vcc_lo, 0, v20
	v_cndmask_b32_e32 v2, 1.0, v20, vcc_lo
	s_delay_alu instid0(VALU_DEP_3) | instskip(NEXT) | instid1(VALU_DEP_1)
	v_ashrrev_i32_e32 v1, 31, v0
	v_lshlrev_b64 v[0:1], 2, v[0:1]
	s_delay_alu instid0(VALU_DEP_1) | instskip(NEXT) | instid1(VALU_DEP_2)
	v_add_co_u32 v0, vcc_lo, s12, v0
	v_add_co_ci_u32_e32 v1, vcc_lo, s13, v1, vcc_lo
	.p2align	6
.LBB157_24:                             ; =>This Inner Loop Header: Depth=1
	global_load_b32 v3, v[0:1], off
	s_add_i32 s4, s4, -1
	s_delay_alu instid0(SALU_CYCLE_1) | instskip(SKIP_3) | instid1(VALU_DEP_2)
	s_cmp_lg_u32 s4, 0
	s_waitcnt vmcnt(0)
	v_div_scale_f32 v4, null, v2, v2, v3
	v_div_scale_f32 v7, vcc_lo, v3, v2, v3
	v_rcp_f32_e32 v5, v4
	s_waitcnt_depctr 0xfff
	v_fma_f32 v6, -v4, v5, 1.0
	s_delay_alu instid0(VALU_DEP_1) | instskip(NEXT) | instid1(VALU_DEP_1)
	v_fmac_f32_e32 v5, v6, v5
	v_mul_f32_e32 v6, v7, v5
	s_delay_alu instid0(VALU_DEP_1) | instskip(NEXT) | instid1(VALU_DEP_1)
	v_fma_f32 v8, -v4, v6, v7
	v_fmac_f32_e32 v6, v8, v5
	s_delay_alu instid0(VALU_DEP_1) | instskip(NEXT) | instid1(VALU_DEP_1)
	v_fma_f32 v4, -v4, v6, v7
	v_div_fmas_f32 v4, v4, v5, v6
	s_delay_alu instid0(VALU_DEP_1)
	v_div_fixup_f32 v3, v4, v2, v3
	global_store_b32 v[0:1], v3, off
	v_add_co_u32 v0, vcc_lo, v0, 4
	v_add_co_ci_u32_e32 v1, vcc_lo, 0, v1, vcc_lo
	s_cbranch_scc1 .LBB157_24
.LBB157_25:
	s_nop 0
	s_sendmsg sendmsg(MSG_DEALLOC_VGPRS)
	s_endpgm
	.section	.rodata,"a",@progbits
	.p2align	6, 0x0
	.amdhsa_kernel _ZN4vllm3moe10topkGatingILi8ELi16ELi4ELi16ELi32Ej14__hip_bfloat16LNS0_11ScoringFuncE0EEEvPKT5_PKbPfiPT4_PiiiibPKf
		.amdhsa_group_segment_fixed_size 0
		.amdhsa_private_segment_fixed_size 0
		.amdhsa_kernarg_size 72
		.amdhsa_user_sgpr_count 15
		.amdhsa_user_sgpr_dispatch_ptr 0
		.amdhsa_user_sgpr_queue_ptr 0
		.amdhsa_user_sgpr_kernarg_segment_ptr 1
		.amdhsa_user_sgpr_dispatch_id 0
		.amdhsa_user_sgpr_private_segment_size 0
		.amdhsa_wavefront_size32 1
		.amdhsa_uses_dynamic_stack 0
		.amdhsa_enable_private_segment 0
		.amdhsa_system_sgpr_workgroup_id_x 1
		.amdhsa_system_sgpr_workgroup_id_y 0
		.amdhsa_system_sgpr_workgroup_id_z 0
		.amdhsa_system_sgpr_workgroup_info 0
		.amdhsa_system_vgpr_workitem_id 1
		.amdhsa_next_free_vgpr 35
		.amdhsa_next_free_sgpr 18
		.amdhsa_reserve_vcc 1
		.amdhsa_float_round_mode_32 0
		.amdhsa_float_round_mode_16_64 0
		.amdhsa_float_denorm_mode_32 3
		.amdhsa_float_denorm_mode_16_64 3
		.amdhsa_dx10_clamp 1
		.amdhsa_ieee_mode 1
		.amdhsa_fp16_overflow 0
		.amdhsa_workgroup_processor_mode 1
		.amdhsa_memory_ordered 1
		.amdhsa_forward_progress 0
		.amdhsa_shared_vgpr_count 0
		.amdhsa_exception_fp_ieee_invalid_op 0
		.amdhsa_exception_fp_denorm_src 0
		.amdhsa_exception_fp_ieee_div_zero 0
		.amdhsa_exception_fp_ieee_overflow 0
		.amdhsa_exception_fp_ieee_underflow 0
		.amdhsa_exception_fp_ieee_inexact 0
		.amdhsa_exception_int_div_zero 0
	.end_amdhsa_kernel
	.section	.text._ZN4vllm3moe10topkGatingILi8ELi16ELi4ELi16ELi32Ej14__hip_bfloat16LNS0_11ScoringFuncE0EEEvPKT5_PKbPfiPT4_PiiiibPKf,"axG",@progbits,_ZN4vllm3moe10topkGatingILi8ELi16ELi4ELi16ELi32Ej14__hip_bfloat16LNS0_11ScoringFuncE0EEEvPKT5_PKbPfiPT4_PiiiibPKf,comdat
.Lfunc_end157:
	.size	_ZN4vllm3moe10topkGatingILi8ELi16ELi4ELi16ELi32Ej14__hip_bfloat16LNS0_11ScoringFuncE0EEEvPKT5_PKbPfiPT4_PiiiibPKf, .Lfunc_end157-_ZN4vllm3moe10topkGatingILi8ELi16ELi4ELi16ELi32Ej14__hip_bfloat16LNS0_11ScoringFuncE0EEEvPKT5_PKbPfiPT4_PiiiibPKf
                                        ; -- End function
	.section	.AMDGPU.csdata,"",@progbits
; Kernel info:
; codeLenInByte = 2836
; NumSgprs: 20
; NumVgprs: 35
; ScratchSize: 0
; MemoryBound: 0
; FloatMode: 240
; IeeeMode: 1
; LDSByteSize: 0 bytes/workgroup (compile time only)
; SGPRBlocks: 2
; VGPRBlocks: 4
; NumSGPRsForWavesPerEU: 20
; NumVGPRsForWavesPerEU: 35
; Occupancy: 16
; WaveLimiterHint : 0
; COMPUTE_PGM_RSRC2:SCRATCH_EN: 0
; COMPUTE_PGM_RSRC2:USER_SGPR: 15
; COMPUTE_PGM_RSRC2:TRAP_HANDLER: 0
; COMPUTE_PGM_RSRC2:TGID_X_EN: 1
; COMPUTE_PGM_RSRC2:TGID_Y_EN: 0
; COMPUTE_PGM_RSRC2:TGID_Z_EN: 0
; COMPUTE_PGM_RSRC2:TIDIG_COMP_CNT: 1
	.section	.text._ZN4vllm3moe10topkGatingILi8ELi32ELi4ELi16ELi64Ej14__hip_bfloat16LNS0_11ScoringFuncE0EEEvPKT5_PKbPfiPT4_PiiiibPKf,"axG",@progbits,_ZN4vllm3moe10topkGatingILi8ELi32ELi4ELi16ELi64Ej14__hip_bfloat16LNS0_11ScoringFuncE0EEEvPKT5_PKbPfiPT4_PiiiibPKf,comdat
	.protected	_ZN4vllm3moe10topkGatingILi8ELi32ELi4ELi16ELi64Ej14__hip_bfloat16LNS0_11ScoringFuncE0EEEvPKT5_PKbPfiPT4_PiiiibPKf ; -- Begin function _ZN4vllm3moe10topkGatingILi8ELi32ELi4ELi16ELi64Ej14__hip_bfloat16LNS0_11ScoringFuncE0EEEvPKT5_PKbPfiPT4_PiiiibPKf
	.globl	_ZN4vllm3moe10topkGatingILi8ELi32ELi4ELi16ELi64Ej14__hip_bfloat16LNS0_11ScoringFuncE0EEEvPKT5_PKbPfiPT4_PiiiibPKf
	.p2align	8
	.type	_ZN4vllm3moe10topkGatingILi8ELi32ELi4ELi16ELi64Ej14__hip_bfloat16LNS0_11ScoringFuncE0EEEvPKT5_PKbPfiPT4_PiiiibPKf,@function
_ZN4vllm3moe10topkGatingILi8ELi32ELi4ELi16ELi64Ej14__hip_bfloat16LNS0_11ScoringFuncE0EEEvPKT5_PKbPfiPT4_PiiiibPKf: ; @_ZN4vllm3moe10topkGatingILi8ELi32ELi4ELi16ELi64Ej14__hip_bfloat16LNS0_11ScoringFuncE0EEEvPKT5_PKbPfiPT4_PiiiibPKf
; %bb.0:
	s_load_b32 s14, s[0:1], 0x18
	v_bfe_u32 v1, v0, 10, 10
	v_and_b32_e32 v0, 0x3ff, v0
	s_lshl_b32 s2, s15, 6
	s_delay_alu instid0(VALU_DEP_2) | instskip(NEXT) | instid1(VALU_DEP_2)
	v_lshlrev_b32_e32 v1, 4, v1
	v_lshrrev_b32_e32 v2, 2, v0
	s_delay_alu instid0(VALU_DEP_1) | instskip(SKIP_2) | instid1(VALU_DEP_1)
	v_add3_u32 v16, s2, v1, v2
	s_mov_b32 s2, exec_lo
	s_waitcnt lgkmcnt(0)
	v_cmpx_gt_i32_e64 s14, v16
	s_cbranch_execz .LBB158_29
; %bb.1:
	s_clause 0x1
	s_load_b128 s[4:7], s[0:1], 0x0
	s_load_b64 s[12:13], s[0:1], 0x10
	s_mov_b32 s8, -1
	s_mov_b32 s15, -1
	s_waitcnt lgkmcnt(0)
	s_cmp_eq_u64 s[6:7], 0
	s_cbranch_scc1 .LBB158_3
; %bb.2:
	v_ashrrev_i32_e32 v2, 31, v16
	v_add_co_u32 v1, vcc_lo, s6, v16
	s_delay_alu instid0(VALU_DEP_2) | instskip(SKIP_3) | instid1(VALU_DEP_1)
	v_add_co_ci_u32_e32 v2, vcc_lo, s7, v2, vcc_lo
	global_load_u8 v1, v[1:2], off
	s_waitcnt vmcnt(0)
	v_and_b32_e32 v1, 1, v1
	v_cmp_eq_u32_e32 vcc_lo, 1, v1
	s_xor_b32 s2, vcc_lo, -1
	s_delay_alu instid0(SALU_CYCLE_1)
	s_or_not1_b32 s15, s2, exec_lo
.LBB158_3:
	v_lshlrev_b32_e32 v1, 5, v16
	v_and_b32_e32 v17, 3, v0
	v_mbcnt_lo_u32_b32 v5, -1, 0
	s_load_b64 s[2:3], s[0:1], 0x40
	s_delay_alu instid0(VALU_DEP_3) | instskip(NEXT) | instid1(VALU_DEP_2)
	v_ashrrev_i32_e32 v2, 31, v1
	v_xor_b32_e32 v9, 2, v5
	v_xor_b32_e32 v12, 1, v5
	v_and_b32_e32 v8, 28, v5
	s_delay_alu instid0(VALU_DEP_4) | instskip(SKIP_1) | instid1(VALU_DEP_2)
	v_lshlrev_b64 v[0:1], 1, v[1:2]
	v_lshlrev_b32_e32 v2, 4, v17
	v_add_co_u32 v0, vcc_lo, s4, v0
	s_delay_alu instid0(VALU_DEP_3) | instskip(NEXT) | instid1(VALU_DEP_2)
	v_add_co_ci_u32_e32 v1, vcc_lo, s5, v1, vcc_lo
	v_add_co_u32 v0, vcc_lo, v0, v2
	s_delay_alu instid0(VALU_DEP_2)
	v_add_co_ci_u32_e32 v1, vcc_lo, 0, v1, vcc_lo
	s_waitcnt lgkmcnt(0)
	s_cmp_eq_u64 s[2:3], 0
	global_load_b128 v[0:3], v[0:1], off
	s_waitcnt vmcnt(0)
	v_and_b32_e32 v4, 0xffff0000, v0
	v_lshlrev_b32_e32 v0, 16, v0
	v_lshlrev_b32_e32 v10, 16, v1
	s_delay_alu instid0(VALU_DEP_3) | instskip(NEXT) | instid1(VALU_DEP_3)
	v_dual_max_f32 v6, v4, v4 :: v_dual_and_b32 v1, 0xffff0000, v1
	v_max_f32_e32 v7, v0, v0
	s_delay_alu instid0(VALU_DEP_1) | instskip(SKIP_2) | instid1(VALU_DEP_3)
	v_dual_max_f32 v6, v7, v6 :: v_dual_add_nc_u32 v7, 4, v8
	v_lshlrev_b32_e32 v8, 16, v2
	v_and_b32_e32 v2, 0xffff0000, v2
	v_max3_f32 v6, v6, v10, v1
	s_delay_alu instid0(VALU_DEP_4) | instskip(NEXT) | instid1(VALU_DEP_2)
	v_cmp_lt_i32_e32 vcc_lo, v9, v7
	v_max3_f32 v6, v6, v8, v2
	v_cndmask_b32_e32 v9, v5, v9, vcc_lo
	v_lshlrev_b32_e32 v11, 16, v3
	v_and_b32_e32 v3, 0xffff0000, v3
	v_cmp_lt_i32_e32 vcc_lo, v12, v7
	s_delay_alu instid0(VALU_DEP_4) | instskip(NEXT) | instid1(VALU_DEP_3)
	v_lshlrev_b32_e32 v18, 2, v9
	v_max3_f32 v6, v6, v11, v3
	v_cndmask_b32_e32 v5, v5, v12, vcc_lo
	ds_bpermute_b32 v9, v18, v6
	v_lshlrev_b32_e32 v19, 2, v5
	s_waitcnt lgkmcnt(0)
	v_max_f32_e32 v7, v9, v9
	s_delay_alu instid0(VALU_DEP_1) | instskip(SKIP_3) | instid1(VALU_DEP_1)
	v_max_f32_e32 v5, v6, v7
	ds_bpermute_b32 v6, v19, v5
	s_waitcnt lgkmcnt(0)
	v_max_f32_e32 v6, v6, v6
	v_max_f32_e32 v5, v5, v6
	s_delay_alu instid0(VALU_DEP_1)
	v_sub_f32_e32 v0, v0, v5
	v_sub_f32_e32 v4, v4, v5
	;; [unrolled: 1-line block ×6, first 2 shown]
	v_dual_sub_f32 v8, v11, v5 :: v_dual_mul_f32 v9, 0x3fb8aa3b, v4
	s_delay_alu instid0(VALU_DEP_3) | instskip(SKIP_1) | instid1(VALU_DEP_3)
	v_dual_sub_f32 v3, v3, v5 :: v_dual_mul_f32 v12, 0x3fb8aa3b, v7
	v_dual_mul_f32 v5, 0x3fb8aa3b, v0 :: v_dual_mul_f32 v10, 0x3fb8aa3b, v6
	v_dual_mul_f32 v11, 0x3fb8aa3b, v1 :: v_dual_mul_f32 v14, 0x3fb8aa3b, v8
	s_delay_alu instid0(VALU_DEP_4) | instskip(NEXT) | instid1(VALU_DEP_3)
	v_fma_f32 v22, 0x3fb8aa3b, v4, -v9
	v_fma_f32 v20, 0x3fb8aa3b, v0, -v5
	v_rndne_f32_e32 v21, v5
	v_rndne_f32_e32 v23, v9
	;; [unrolled: 1-line block ×3, first 2 shown]
	v_mul_f32_e32 v13, 0x3fb8aa3b, v2
	v_fma_f32 v28, 0x3fb8aa3b, v7, -v12
	v_dual_fmac_f32 v20, 0x32a5705f, v0 :: v_dual_sub_f32 v5, v5, v21
	v_fma_f32 v24, 0x3fb8aa3b, v6, -v10
	v_fma_f32 v26, 0x3fb8aa3b, v1, -v11
	v_rndne_f32_e32 v29, v12
	v_mul_f32_e32 v15, 0x3fb8aa3b, v3
	v_fma_f32 v32, 0x3fb8aa3b, v8, -v14
	v_dual_fmac_f32 v22, 0x32a5705f, v4 :: v_dual_sub_f32 v9, v9, v23
	v_sub_f32_e32 v10, v10, v25
	v_fma_f32 v30, 0x3fb8aa3b, v2, -v13
	v_rndne_f32_e32 v31, v13
	v_dual_fmac_f32 v28, 0x32a5705f, v7 :: v_dual_add_f32 v5, v5, v20
	v_rndne_f32_e32 v27, v11
	v_fmac_f32_e32 v24, 0x32a5705f, v6
	s_delay_alu instid0(VALU_DEP_4)
	v_dual_fmac_f32 v26, 0x32a5705f, v1 :: v_dual_sub_f32 v13, v13, v31
	v_sub_f32_e32 v12, v12, v29
	v_fma_f32 v34, 0x3fb8aa3b, v3, -v15
	v_rndne_f32_e32 v35, v15
	v_fmac_f32_e32 v30, 0x32a5705f, v2
	v_dual_fmac_f32 v32, 0x32a5705f, v8 :: v_dual_add_f32 v9, v9, v22
	v_exp_f32_e32 v5, v5
	v_rndne_f32_e32 v33, v14
	v_cvt_i32_f32_e32 v21, v21
	v_sub_f32_e32 v11, v11, v27
	v_sub_f32_e32 v15, v15, v35
	v_dual_fmac_f32 v34, 0x32a5705f, v3 :: v_dual_add_f32 v13, v13, v30
	v_add_f32_e32 v10, v10, v24
	v_exp_f32_e32 v9, v9
	v_cvt_i32_f32_e32 v23, v23
	s_delay_alu instid0(VALU_DEP_3)
	v_dual_add_f32 v15, v15, v34 :: v_dual_sub_f32 v14, v14, v33
	v_add_f32_e32 v11, v11, v26
	v_exp_f32_e32 v10, v10
	v_ldexp_f32 v5, v5, v21
	v_cmp_ngt_f32_e32 vcc_lo, 0xc2ce8ed0, v0
	v_cvt_i32_f32_e32 v25, v25
	v_add_f32_e32 v12, v12, v28
	v_exp_f32_e32 v11, v11
	v_ldexp_f32 v9, v9, v23
	v_cndmask_b32_e32 v5, 0, v5, vcc_lo
	v_cmp_ngt_f32_e32 vcc_lo, 0xc2ce8ed0, v4
	v_cvt_i32_f32_e32 v27, v27
	v_add_f32_e32 v14, v14, v32
	v_ldexp_f32 v10, v10, v25
	v_exp_f32_e32 v12, v12
	v_cndmask_b32_e32 v9, 0, v9, vcc_lo
	v_cmp_ngt_f32_e32 vcc_lo, 0xc2ce8ed0, v6
	v_ldexp_f32 v11, v11, v27
	v_cvt_i32_f32_e32 v29, v29
	v_exp_f32_e32 v13, v13
	v_cvt_i32_f32_e32 v31, v31
	v_cndmask_b32_e32 v10, 0, v10, vcc_lo
	v_cmp_nlt_f32_e32 vcc_lo, 0x42b17218, v0
	v_exp_f32_e32 v14, v14
	v_ldexp_f32 v12, v12, v29
	v_cvt_i32_f32_e32 v20, v33
	v_exp_f32_e32 v15, v15
	v_cndmask_b32_e32 v0, 0x7f800000, v5, vcc_lo
	v_cmp_nlt_f32_e32 vcc_lo, 0x42b17218, v4
	v_ldexp_f32 v13, v13, v31
	v_cvt_i32_f32_e32 v22, v35
	v_cndmask_b32_e32 v4, 0x7f800000, v9, vcc_lo
	v_cmp_ngt_f32_e32 vcc_lo, 0xc2ce8ed0, v1
	v_ldexp_f32 v14, v14, v20
	s_delay_alu instid0(TRANS32_DEP_1) | instid1(VALU_DEP_4)
	v_ldexp_f32 v15, v15, v22
	s_delay_alu instid0(VALU_DEP_4)
	v_dual_add_f32 v9, v0, v4 :: v_dual_lshlrev_b32 v20, 3, v17
	v_cndmask_b32_e32 v5, 0, v11, vcc_lo
	v_cmp_nlt_f32_e32 vcc_lo, 0x42b17218, v6
	v_cndmask_b32_e32 v6, 0x7f800000, v10, vcc_lo
	v_cmp_ngt_f32_e32 vcc_lo, 0xc2ce8ed0, v7
	v_cndmask_b32_e32 v10, 0, v12, vcc_lo
	v_cmp_nlt_f32_e32 vcc_lo, 0x42b17218, v1
	v_cndmask_b32_e32 v1, 0x7f800000, v5, vcc_lo
	v_cmp_ngt_f32_e32 vcc_lo, 0xc2ce8ed0, v2
	v_add_f32_e32 v5, v9, v6
	v_cndmask_b32_e32 v9, 0, v13, vcc_lo
	v_cmp_nlt_f32_e32 vcc_lo, 0x42b17218, v7
	v_cndmask_b32_e32 v7, 0x7f800000, v10, vcc_lo
	v_cmp_ngt_f32_e32 vcc_lo, 0xc2ce8ed0, v8
	v_dual_add_f32 v5, v5, v1 :: v_dual_cndmask_b32 v10, 0, v14
	v_cmp_nlt_f32_e32 vcc_lo, 0x42b17218, v2
	s_delay_alu instid0(VALU_DEP_2) | instskip(SKIP_1) | instid1(VALU_DEP_2)
	v_dual_add_f32 v5, v5, v7 :: v_dual_cndmask_b32 v2, 0x7f800000, v9
	v_cmp_ngt_f32_e32 vcc_lo, 0xc2ce8ed0, v3
	v_add_f32_e32 v5, v5, v2
	v_cndmask_b32_e32 v9, 0, v15, vcc_lo
	v_cmp_nlt_f32_e32 vcc_lo, 0x42b17218, v8
	v_cndmask_b32_e32 v8, 0x7f800000, v10, vcc_lo
	v_cmp_nlt_f32_e32 vcc_lo, 0x42b17218, v3
	s_delay_alu instid0(VALU_DEP_2) | instskip(SKIP_1) | instid1(VALU_DEP_1)
	v_add_f32_e32 v5, v5, v8
	v_cndmask_b32_e32 v3, 0x7f800000, v9, vcc_lo
	v_add_f32_e32 v5, v5, v3
	ds_bpermute_b32 v9, v18, v5
	s_waitcnt lgkmcnt(0)
	v_add_f32_e32 v5, v5, v9
	ds_bpermute_b32 v9, v19, v5
	s_waitcnt lgkmcnt(0)
	v_add_f32_e32 v5, v5, v9
	s_delay_alu instid0(VALU_DEP_1) | instskip(SKIP_1) | instid1(VALU_DEP_2)
	v_div_scale_f32 v9, null, v5, v5, 1.0
	v_div_scale_f32 v12, vcc_lo, 1.0, v5, 1.0
	v_rcp_f32_e32 v10, v9
	s_waitcnt_depctr 0xfff
	v_fma_f32 v11, -v9, v10, 1.0
	s_delay_alu instid0(VALU_DEP_1) | instskip(NEXT) | instid1(VALU_DEP_1)
	v_fmac_f32_e32 v10, v11, v10
	v_mul_f32_e32 v11, v12, v10
	s_delay_alu instid0(VALU_DEP_1) | instskip(NEXT) | instid1(VALU_DEP_1)
	v_fma_f32 v13, -v9, v11, v12
	v_fmac_f32_e32 v11, v13, v10
	s_delay_alu instid0(VALU_DEP_1) | instskip(NEXT) | instid1(VALU_DEP_1)
	v_fma_f32 v9, -v9, v11, v12
	v_div_fmas_f32 v9, v9, v10, v11
	s_delay_alu instid0(VALU_DEP_1) | instskip(NEXT) | instid1(VALU_DEP_1)
	v_div_fixup_f32 v5, v9, v5, 1.0
	v_mul_f32_e32 v0, v5, v0
	v_mul_f32_e32 v4, v5, v4
	;; [unrolled: 1-line block ×5, first 2 shown]
	v_cmp_class_f32_e64 vcc_lo, v0, 0x1f8
	v_mul_f32_e32 v11, v5, v3
	v_mul_f32_e32 v8, v5, v8
	v_cndmask_b32_e32 v0, 0, v0, vcc_lo
	v_cmp_class_f32_e64 vcc_lo, v4, 0x1f8
	v_dual_mul_f32 v6, v5, v6 :: v_dual_cndmask_b32 v1, 0, v4
	s_delay_alu instid0(VALU_DEP_1)
	v_cmp_class_f32_e64 vcc_lo, v6, 0x1f8
	v_cndmask_b32_e32 v2, 0, v6, vcc_lo
	v_cmp_class_f32_e64 vcc_lo, v9, 0x1f8
	v_cndmask_b32_e32 v3, 0, v9, vcc_lo
	;; [unrolled: 2-line block ×6, first 2 shown]
	s_cbranch_scc1 .LBB158_23
; %bb.4:
	v_lshlrev_b32_e32 v12, 2, v20
	s_clause 0x1
	global_load_b128 v[8:11], v12, s[2:3]
	global_load_b128 v[12:15], v12, s[2:3] offset:16
	s_waitcnt vmcnt(1)
	v_dual_add_f32 v9, v9, v1 :: v_dual_add_f32 v8, v8, v0
	v_dual_add_f32 v11, v11, v3 :: v_dual_add_f32 v10, v10, v2
	s_waitcnt vmcnt(0)
	v_dual_add_f32 v13, v13, v5 :: v_dual_add_f32 v12, v12, v4
	v_dual_add_f32 v15, v15, v7 :: v_dual_add_f32 v14, v14, v6
	s_cbranch_execnz .LBB158_6
.LBB158_5:
	v_dual_mov_b32 v15, v7 :: v_dual_mov_b32 v14, v6
	v_dual_mov_b32 v13, v5 :: v_dual_mov_b32 v12, v4
	;; [unrolled: 1-line block ×4, first 2 shown]
.LBB158_6:
	s_load_b128 s[4:7], s[0:1], 0x30
	v_cmp_eq_u32_e64 s2, 0, v17
	s_waitcnt lgkmcnt(0)
	s_bitcmp1_b32 s7, 0
	s_mov_b32 s7, 0
	s_cselect_b32 vcc_lo, -1, 0
	s_cmp_gt_i32 s4, 0
	s_cselect_b32 s3, -1, 0
	s_cmp_lt_i32 s4, 1
	s_cbranch_scc1 .LBB158_24
; %bb.7:
	s_load_b128 s[8:11], s[0:1], 0x20
	v_mul_lo_u32 v22, v16, s4
	v_mov_b32_e32 v21, 0
	v_mov_b32_e32 v23, v16
	s_branch .LBB158_10
.LBB158_8:                              ;   in Loop: Header=BB158_10 Depth=1
	s_or_b32 exec_lo, exec_lo, s1
.LBB158_9:                              ;   in Loop: Header=BB158_10 Depth=1
	v_add_nc_u32_e32 v23, s14, v23
	s_cmp_eq_u32 s4, s7
	s_cbranch_scc1 .LBB158_25
.LBB158_10:                             ; =>This Inner Loop Header: Depth=1
	v_cmp_gt_f32_e64 s0, v9, v8
	s_mov_b32 s17, exec_lo
	s_delay_alu instid0(VALU_DEP_1) | instskip(SKIP_2) | instid1(VALU_DEP_3)
	v_cndmask_b32_e64 v24, v8, v9, s0
	v_cndmask_b32_e64 v25, 0, 1, s0
	;; [unrolled: 1-line block ×3, first 2 shown]
	v_cmp_gt_f32_e64 s1, v10, v24
	s_delay_alu instid0(VALU_DEP_1) | instskip(NEXT) | instid1(VALU_DEP_4)
	v_cndmask_b32_e64 v24, v24, v10, s1
	v_cndmask_b32_e64 v25, v25, 2, s1
	s_delay_alu instid0(VALU_DEP_4) | instskip(NEXT) | instid1(VALU_DEP_3)
	v_cndmask_b32_e64 v26, v26, v2, s1
	v_cmp_gt_f32_e64 s0, v11, v24
	s_delay_alu instid0(VALU_DEP_1) | instskip(NEXT) | instid1(VALU_DEP_4)
	v_cndmask_b32_e64 v24, v24, v11, s0
	v_cndmask_b32_e64 v25, v25, 3, s0
	s_delay_alu instid0(VALU_DEP_4) | instskip(NEXT) | instid1(VALU_DEP_3)
	v_cndmask_b32_e64 v26, v26, v3, s0
	;; [unrolled: 6-line block ×4, first 2 shown]
	v_cmp_gt_f32_e64 s1, v14, v24
	s_delay_alu instid0(VALU_DEP_1) | instskip(NEXT) | instid1(VALU_DEP_4)
	v_cndmask_b32_e64 v24, v24, v14, s1
	v_cndmask_b32_e64 v25, v25, 6, s1
	s_waitcnt lgkmcnt(0)
	v_cndmask_b32_e64 v27, v26, v6, s1
	s_delay_alu instid0(VALU_DEP_3) | instskip(NEXT) | instid1(VALU_DEP_1)
	v_cmp_gt_f32_e64 s0, v15, v24
	v_cndmask_b32_e64 v26, v24, v15, s0
	v_cndmask_b32_e64 v24, v25, 7, s0
	s_delay_alu instid0(VALU_DEP_4)
	v_cndmask_b32_e64 v25, v27, v7, s0
	ds_bpermute_b32 v27, v18, v26
	v_or_b32_e32 v24, v20, v24
	ds_bpermute_b32 v29, v18, v25
	ds_bpermute_b32 v28, v18, v24
	s_waitcnt lgkmcnt(0)
	v_cmp_lt_f32_e64 s16, v26, v27
	v_cmpx_nlt_f32_e32 v26, v27
; %bb.11:                               ;   in Loop: Header=BB158_10 Depth=1
	v_cmp_eq_f32_e64 s0, v26, v27
	v_cmp_lt_i32_e64 s1, v28, v24
	s_delay_alu instid0(VALU_DEP_1) | instskip(SKIP_2) | instid1(SALU_CYCLE_1)
	s_and_b32 s0, s0, s1
	s_and_not1_b32 s1, s16, exec_lo
	s_and_b32 s0, s0, exec_lo
	s_or_b32 s16, s1, s0
; %bb.12:                               ;   in Loop: Header=BB158_10 Depth=1
	s_or_b32 exec_lo, exec_lo, s17
	s_and_saveexec_b32 s0, s16
; %bb.13:                               ;   in Loop: Header=BB158_10 Depth=1
	v_dual_mov_b32 v25, v29 :: v_dual_mov_b32 v26, v27
	v_mov_b32_e32 v24, v28
; %bb.14:                               ;   in Loop: Header=BB158_10 Depth=1
	s_or_b32 exec_lo, exec_lo, s0
	ds_bpermute_b32 v29, v19, v26
	ds_bpermute_b32 v28, v19, v25
	;; [unrolled: 1-line block ×3, first 2 shown]
	s_mov_b32 s17, exec_lo
	s_waitcnt lgkmcnt(2)
	v_cmp_lt_f32_e64 s16, v26, v29
	v_cmpx_nlt_f32_e32 v26, v29
	s_cbranch_execnz .LBB158_18
; %bb.15:                               ;   in Loop: Header=BB158_10 Depth=1
	s_or_b32 exec_lo, exec_lo, s17
	s_delay_alu instid0(VALU_DEP_2)
	s_and_saveexec_b32 s0, s16
	s_cbranch_execnz .LBB158_19
.LBB158_16:                             ;   in Loop: Header=BB158_10 Depth=1
	s_or_b32 exec_lo, exec_lo, s0
	s_and_saveexec_b32 s16, s2
	s_cbranch_execnz .LBB158_20
.LBB158_17:                             ;   in Loop: Header=BB158_10 Depth=1
	s_or_b32 exec_lo, exec_lo, s16
	s_add_i32 s7, s7, 1
	s_delay_alu instid0(SALU_CYCLE_1)
	s_cmp_ge_i32 s7, s4
	s_cbranch_scc1 .LBB158_9
	s_branch .LBB158_21
.LBB158_18:                             ;   in Loop: Header=BB158_10 Depth=1
	v_cmp_eq_f32_e64 s0, v26, v29
	s_waitcnt lgkmcnt(0)
	v_cmp_lt_i32_e64 s1, v27, v24
	s_delay_alu instid0(VALU_DEP_1) | instskip(SKIP_2) | instid1(SALU_CYCLE_1)
	s_and_b32 s0, s0, s1
	s_and_not1_b32 s1, s16, exec_lo
	s_and_b32 s0, s0, exec_lo
	s_or_b32 s16, s1, s0
	s_or_b32 exec_lo, exec_lo, s17
	s_and_saveexec_b32 s0, s16
	s_cbranch_execz .LBB158_16
.LBB158_19:                             ;   in Loop: Header=BB158_10 Depth=1
	s_waitcnt lgkmcnt(0)
	v_dual_mov_b32 v25, v28 :: v_dual_mov_b32 v24, v27
	s_or_b32 exec_lo, exec_lo, s0
	s_and_saveexec_b32 s16, s2
	s_cbranch_execz .LBB158_17
.LBB158_20:                             ;   in Loop: Header=BB158_10 Depth=1
	s_delay_alu instid0(VALU_DEP_1)
	v_dual_add_f32 v33, v21, v25 :: v_dual_add_nc_u32 v26, s7, v22
	v_cmp_le_i32_e64 s0, s5, v24
	v_cmp_gt_i32_e64 s1, s6, v24
	s_waitcnt lgkmcnt(1)
	v_subrev_nc_u32_e32 v28, s5, v24
	s_waitcnt lgkmcnt(0)
	v_ashrrev_i32_e32 v27, 31, v26
	v_cndmask_b32_e32 v21, v21, v33, vcc_lo
	s_and_b32 s0, s0, s1
	s_delay_alu instid0(SALU_CYCLE_1) | instskip(NEXT) | instid1(VALU_DEP_2)
	s_and_b32 s0, s15, s0
	v_lshlrev_b64 v[26:27], 2, v[26:27]
	v_cndmask_b32_e64 v32, 32, v28, s0
	s_delay_alu instid0(VALU_DEP_2) | instskip(NEXT) | instid1(VALU_DEP_1)
	v_add_co_u32 v28, s0, s12, v26
	v_add_co_ci_u32_e64 v29, s0, s13, v27, s0
	v_add_co_u32 v30, s0, s8, v26
	s_delay_alu instid0(VALU_DEP_1) | instskip(SKIP_1) | instid1(VALU_DEP_1)
	v_add_co_ci_u32_e64 v31, s0, s9, v27, s0
	v_add_co_u32 v26, s0, s10, v26
	v_add_co_ci_u32_e64 v27, s0, s11, v27, s0
	global_store_b32 v[28:29], v25, off
	global_store_b32 v[30:31], v32, off
	;; [unrolled: 1-line block ×3, first 2 shown]
	s_or_b32 exec_lo, exec_lo, s16
	s_add_i32 s7, s7, 1
	s_delay_alu instid0(SALU_CYCLE_1)
	s_cmp_ge_i32 s7, s4
	s_cbranch_scc1 .LBB158_9
.LBB158_21:                             ;   in Loop: Header=BB158_10 Depth=1
	v_ashrrev_i32_e32 v26, 31, v24
	s_mov_b32 s1, exec_lo
	s_delay_alu instid0(VALU_DEP_1) | instskip(NEXT) | instid1(VALU_DEP_1)
	v_lshrrev_b32_e32 v25, 29, v26
	v_add_nc_u32_e32 v25, v24, v25
	s_delay_alu instid0(VALU_DEP_1) | instskip(SKIP_1) | instid1(VALU_DEP_1)
	v_ashrrev_i32_e32 v25, 3, v25
	s_waitcnt lgkmcnt(0)
	v_lshrrev_b32_e32 v27, 30, v25
	s_delay_alu instid0(VALU_DEP_1) | instskip(NEXT) | instid1(VALU_DEP_1)
	v_add_nc_u32_e32 v27, v25, v27
	v_and_b32_e32 v27, -4, v27
	s_delay_alu instid0(VALU_DEP_1) | instskip(NEXT) | instid1(VALU_DEP_1)
	v_sub_nc_u32_e32 v27, v25, v27
	v_cmpx_eq_u32_e64 v17, v27
	s_cbranch_execz .LBB158_8
; %bb.22:                               ;   in Loop: Header=BB158_10 Depth=1
	v_lshrrev_b32_e32 v26, 27, v26
	v_lshlrev_b32_e32 v25, 3, v25
	s_delay_alu instid0(VALU_DEP_2) | instskip(NEXT) | instid1(VALU_DEP_2)
	v_add_nc_u32_e32 v26, v24, v26
	v_sub_nc_u32_e32 v24, v24, v25
	s_delay_alu instid0(VALU_DEP_2) | instskip(NEXT) | instid1(VALU_DEP_1)
	v_ashrrev_i32_e32 v25, 5, v26
	v_lshl_add_u32 v24, v25, 3, v24
	s_delay_alu instid0(VALU_DEP_1) | instskip(NEXT) | instid1(VALU_DEP_1)
	v_cmp_ne_u32_e64 s0, 7, v24
	v_cndmask_b32_e64 v15, 0xc61c4000, v15, s0
	v_cmp_ne_u32_e64 s0, 6, v24
	s_delay_alu instid0(VALU_DEP_1) | instskip(SKIP_1) | instid1(VALU_DEP_1)
	v_cndmask_b32_e64 v14, 0xc61c4000, v14, s0
	v_cmp_ne_u32_e64 s0, 5, v24
	v_cndmask_b32_e64 v13, 0xc61c4000, v13, s0
	v_cmp_ne_u32_e64 s0, 4, v24
	s_delay_alu instid0(VALU_DEP_1) | instskip(SKIP_1) | instid1(VALU_DEP_1)
	v_cndmask_b32_e64 v12, 0xc61c4000, v12, s0
	;; [unrolled: 5-line block ×3, first 2 shown]
	v_cmp_ne_u32_e64 s0, 1, v24
	v_cndmask_b32_e64 v9, 0xc61c4000, v9, s0
	v_cmp_ne_u32_e64 s0, 0, v24
	s_delay_alu instid0(VALU_DEP_1)
	v_cndmask_b32_e64 v8, 0xc61c4000, v8, s0
	s_branch .LBB158_8
.LBB158_23:
                                        ; implicit-def: $vgpr8_vgpr9_vgpr10_vgpr11_vgpr12_vgpr13_vgpr14_vgpr15
	s_and_not1_b32 vcc_lo, exec_lo, s8
	s_cbranch_vccz .LBB158_5
	s_branch .LBB158_6
.LBB158_24:
	v_mov_b32_e32 v21, 0
.LBB158_25:
	v_cmp_eq_u32_e64 s0, 0, v17
	s_delay_alu instid0(VALU_DEP_1) | instskip(NEXT) | instid1(SALU_CYCLE_1)
	s_and_b32 s0, s0, vcc_lo
	s_and_b32 exec_lo, exec_lo, s0
	s_cbranch_execz .LBB158_29
; %bb.26:
	s_and_not1_b32 vcc_lo, exec_lo, s3
	s_cbranch_vccnz .LBB158_29
; %bb.27:
	v_mul_lo_u32 v0, v16, s4
	v_cmp_lt_f32_e32 vcc_lo, 0, v21
	v_cndmask_b32_e32 v2, 1.0, v21, vcc_lo
	s_delay_alu instid0(VALU_DEP_3) | instskip(NEXT) | instid1(VALU_DEP_1)
	v_ashrrev_i32_e32 v1, 31, v0
	v_lshlrev_b64 v[0:1], 2, v[0:1]
	s_delay_alu instid0(VALU_DEP_1) | instskip(NEXT) | instid1(VALU_DEP_2)
	v_add_co_u32 v0, vcc_lo, s12, v0
	v_add_co_ci_u32_e32 v1, vcc_lo, s13, v1, vcc_lo
	.p2align	6
.LBB158_28:                             ; =>This Inner Loop Header: Depth=1
	global_load_b32 v3, v[0:1], off
	s_add_i32 s4, s4, -1
	s_delay_alu instid0(SALU_CYCLE_1) | instskip(SKIP_3) | instid1(VALU_DEP_2)
	s_cmp_lg_u32 s4, 0
	s_waitcnt vmcnt(0)
	v_div_scale_f32 v4, null, v2, v2, v3
	v_div_scale_f32 v7, vcc_lo, v3, v2, v3
	v_rcp_f32_e32 v5, v4
	s_waitcnt_depctr 0xfff
	v_fma_f32 v6, -v4, v5, 1.0
	s_delay_alu instid0(VALU_DEP_1) | instskip(NEXT) | instid1(VALU_DEP_1)
	v_fmac_f32_e32 v5, v6, v5
	v_mul_f32_e32 v6, v7, v5
	s_delay_alu instid0(VALU_DEP_1) | instskip(NEXT) | instid1(VALU_DEP_1)
	v_fma_f32 v8, -v4, v6, v7
	v_fmac_f32_e32 v6, v8, v5
	s_delay_alu instid0(VALU_DEP_1) | instskip(NEXT) | instid1(VALU_DEP_1)
	v_fma_f32 v4, -v4, v6, v7
	v_div_fmas_f32 v4, v4, v5, v6
	s_delay_alu instid0(VALU_DEP_1)
	v_div_fixup_f32 v3, v4, v2, v3
	global_store_b32 v[0:1], v3, off
	v_add_co_u32 v0, vcc_lo, v0, 4
	v_add_co_ci_u32_e32 v1, vcc_lo, 0, v1, vcc_lo
	s_cbranch_scc1 .LBB158_28
.LBB158_29:
	s_nop 0
	s_sendmsg sendmsg(MSG_DEALLOC_VGPRS)
	s_endpgm
	.section	.rodata,"a",@progbits
	.p2align	6, 0x0
	.amdhsa_kernel _ZN4vllm3moe10topkGatingILi8ELi32ELi4ELi16ELi64Ej14__hip_bfloat16LNS0_11ScoringFuncE0EEEvPKT5_PKbPfiPT4_PiiiibPKf
		.amdhsa_group_segment_fixed_size 0
		.amdhsa_private_segment_fixed_size 0
		.amdhsa_kernarg_size 72
		.amdhsa_user_sgpr_count 15
		.amdhsa_user_sgpr_dispatch_ptr 0
		.amdhsa_user_sgpr_queue_ptr 0
		.amdhsa_user_sgpr_kernarg_segment_ptr 1
		.amdhsa_user_sgpr_dispatch_id 0
		.amdhsa_user_sgpr_private_segment_size 0
		.amdhsa_wavefront_size32 1
		.amdhsa_uses_dynamic_stack 0
		.amdhsa_enable_private_segment 0
		.amdhsa_system_sgpr_workgroup_id_x 1
		.amdhsa_system_sgpr_workgroup_id_y 0
		.amdhsa_system_sgpr_workgroup_id_z 0
		.amdhsa_system_sgpr_workgroup_info 0
		.amdhsa_system_vgpr_workitem_id 1
		.amdhsa_next_free_vgpr 36
		.amdhsa_next_free_sgpr 18
		.amdhsa_reserve_vcc 1
		.amdhsa_float_round_mode_32 0
		.amdhsa_float_round_mode_16_64 0
		.amdhsa_float_denorm_mode_32 3
		.amdhsa_float_denorm_mode_16_64 3
		.amdhsa_dx10_clamp 1
		.amdhsa_ieee_mode 1
		.amdhsa_fp16_overflow 0
		.amdhsa_workgroup_processor_mode 1
		.amdhsa_memory_ordered 1
		.amdhsa_forward_progress 0
		.amdhsa_shared_vgpr_count 0
		.amdhsa_exception_fp_ieee_invalid_op 0
		.amdhsa_exception_fp_denorm_src 0
		.amdhsa_exception_fp_ieee_div_zero 0
		.amdhsa_exception_fp_ieee_overflow 0
		.amdhsa_exception_fp_ieee_underflow 0
		.amdhsa_exception_fp_ieee_inexact 0
		.amdhsa_exception_int_div_zero 0
	.end_amdhsa_kernel
	.section	.text._ZN4vllm3moe10topkGatingILi8ELi32ELi4ELi16ELi64Ej14__hip_bfloat16LNS0_11ScoringFuncE0EEEvPKT5_PKbPfiPT4_PiiiibPKf,"axG",@progbits,_ZN4vllm3moe10topkGatingILi8ELi32ELi4ELi16ELi64Ej14__hip_bfloat16LNS0_11ScoringFuncE0EEEvPKT5_PKbPfiPT4_PiiiibPKf,comdat
.Lfunc_end158:
	.size	_ZN4vllm3moe10topkGatingILi8ELi32ELi4ELi16ELi64Ej14__hip_bfloat16LNS0_11ScoringFuncE0EEEvPKT5_PKbPfiPT4_PiiiibPKf, .Lfunc_end158-_ZN4vllm3moe10topkGatingILi8ELi32ELi4ELi16ELi64Ej14__hip_bfloat16LNS0_11ScoringFuncE0EEEvPKT5_PKbPfiPT4_PiiiibPKf
                                        ; -- End function
	.section	.AMDGPU.csdata,"",@progbits
; Kernel info:
; codeLenInByte = 2972
; NumSgprs: 20
; NumVgprs: 36
; ScratchSize: 0
; MemoryBound: 0
; FloatMode: 240
; IeeeMode: 1
; LDSByteSize: 0 bytes/workgroup (compile time only)
; SGPRBlocks: 2
; VGPRBlocks: 4
; NumSGPRsForWavesPerEU: 20
; NumVGPRsForWavesPerEU: 36
; Occupancy: 16
; WaveLimiterHint : 0
; COMPUTE_PGM_RSRC2:SCRATCH_EN: 0
; COMPUTE_PGM_RSRC2:USER_SGPR: 15
; COMPUTE_PGM_RSRC2:TRAP_HANDLER: 0
; COMPUTE_PGM_RSRC2:TGID_X_EN: 1
; COMPUTE_PGM_RSRC2:TGID_Y_EN: 0
; COMPUTE_PGM_RSRC2:TGID_Z_EN: 0
; COMPUTE_PGM_RSRC2:TIDIG_COMP_CNT: 1
	.section	.text._ZN4vllm3moe10topkGatingILi8ELi32ELi4ELi16ELi32Ej14__hip_bfloat16LNS0_11ScoringFuncE0EEEvPKT5_PKbPfiPT4_PiiiibPKf,"axG",@progbits,_ZN4vllm3moe10topkGatingILi8ELi32ELi4ELi16ELi32Ej14__hip_bfloat16LNS0_11ScoringFuncE0EEEvPKT5_PKbPfiPT4_PiiiibPKf,comdat
	.protected	_ZN4vllm3moe10topkGatingILi8ELi32ELi4ELi16ELi32Ej14__hip_bfloat16LNS0_11ScoringFuncE0EEEvPKT5_PKbPfiPT4_PiiiibPKf ; -- Begin function _ZN4vllm3moe10topkGatingILi8ELi32ELi4ELi16ELi32Ej14__hip_bfloat16LNS0_11ScoringFuncE0EEEvPKT5_PKbPfiPT4_PiiiibPKf
	.globl	_ZN4vllm3moe10topkGatingILi8ELi32ELi4ELi16ELi32Ej14__hip_bfloat16LNS0_11ScoringFuncE0EEEvPKT5_PKbPfiPT4_PiiiibPKf
	.p2align	8
	.type	_ZN4vllm3moe10topkGatingILi8ELi32ELi4ELi16ELi32Ej14__hip_bfloat16LNS0_11ScoringFuncE0EEEvPKT5_PKbPfiPT4_PiiiibPKf,@function
_ZN4vllm3moe10topkGatingILi8ELi32ELi4ELi16ELi32Ej14__hip_bfloat16LNS0_11ScoringFuncE0EEEvPKT5_PKbPfiPT4_PiiiibPKf: ; @_ZN4vllm3moe10topkGatingILi8ELi32ELi4ELi16ELi32Ej14__hip_bfloat16LNS0_11ScoringFuncE0EEEvPKT5_PKbPfiPT4_PiiiibPKf
; %bb.0:
	s_load_b32 s14, s[0:1], 0x18
	v_bfe_u32 v1, v0, 10, 10
	v_and_b32_e32 v0, 0x3ff, v0
	s_lshl_b32 s2, s15, 5
	s_delay_alu instid0(VALU_DEP_2) | instskip(NEXT) | instid1(VALU_DEP_2)
	v_lshlrev_b32_e32 v1, 3, v1
	v_lshrrev_b32_e32 v2, 2, v0
	s_delay_alu instid0(VALU_DEP_1) | instskip(SKIP_2) | instid1(VALU_DEP_1)
	v_add3_u32 v16, s2, v1, v2
	s_mov_b32 s2, exec_lo
	s_waitcnt lgkmcnt(0)
	v_cmpx_gt_i32_e64 s14, v16
	s_cbranch_execz .LBB159_29
; %bb.1:
	s_clause 0x1
	s_load_b128 s[4:7], s[0:1], 0x0
	s_load_b64 s[12:13], s[0:1], 0x10
	s_mov_b32 s8, -1
	s_mov_b32 s15, -1
	s_waitcnt lgkmcnt(0)
	s_cmp_eq_u64 s[6:7], 0
	s_cbranch_scc1 .LBB159_3
; %bb.2:
	v_ashrrev_i32_e32 v2, 31, v16
	v_add_co_u32 v1, vcc_lo, s6, v16
	s_delay_alu instid0(VALU_DEP_2) | instskip(SKIP_3) | instid1(VALU_DEP_1)
	v_add_co_ci_u32_e32 v2, vcc_lo, s7, v2, vcc_lo
	global_load_u8 v1, v[1:2], off
	s_waitcnt vmcnt(0)
	v_and_b32_e32 v1, 1, v1
	v_cmp_eq_u32_e32 vcc_lo, 1, v1
	s_xor_b32 s2, vcc_lo, -1
	s_delay_alu instid0(SALU_CYCLE_1)
	s_or_not1_b32 s15, s2, exec_lo
.LBB159_3:
	v_lshlrev_b32_e32 v1, 5, v16
	v_and_b32_e32 v17, 3, v0
	v_mbcnt_lo_u32_b32 v5, -1, 0
	s_load_b64 s[2:3], s[0:1], 0x40
	s_delay_alu instid0(VALU_DEP_3) | instskip(NEXT) | instid1(VALU_DEP_2)
	v_ashrrev_i32_e32 v2, 31, v1
	v_xor_b32_e32 v9, 2, v5
	v_xor_b32_e32 v12, 1, v5
	v_and_b32_e32 v8, 28, v5
	s_delay_alu instid0(VALU_DEP_4) | instskip(SKIP_1) | instid1(VALU_DEP_2)
	v_lshlrev_b64 v[0:1], 1, v[1:2]
	v_lshlrev_b32_e32 v2, 4, v17
	v_add_co_u32 v0, vcc_lo, s4, v0
	s_delay_alu instid0(VALU_DEP_3) | instskip(NEXT) | instid1(VALU_DEP_2)
	v_add_co_ci_u32_e32 v1, vcc_lo, s5, v1, vcc_lo
	v_add_co_u32 v0, vcc_lo, v0, v2
	s_delay_alu instid0(VALU_DEP_2)
	v_add_co_ci_u32_e32 v1, vcc_lo, 0, v1, vcc_lo
	s_waitcnt lgkmcnt(0)
	s_cmp_eq_u64 s[2:3], 0
	global_load_b128 v[0:3], v[0:1], off
	s_waitcnt vmcnt(0)
	v_and_b32_e32 v4, 0xffff0000, v0
	v_lshlrev_b32_e32 v0, 16, v0
	v_lshlrev_b32_e32 v10, 16, v1
	s_delay_alu instid0(VALU_DEP_3) | instskip(NEXT) | instid1(VALU_DEP_3)
	v_dual_max_f32 v6, v4, v4 :: v_dual_and_b32 v1, 0xffff0000, v1
	v_max_f32_e32 v7, v0, v0
	s_delay_alu instid0(VALU_DEP_1) | instskip(SKIP_2) | instid1(VALU_DEP_3)
	v_dual_max_f32 v6, v7, v6 :: v_dual_add_nc_u32 v7, 4, v8
	v_lshlrev_b32_e32 v8, 16, v2
	v_and_b32_e32 v2, 0xffff0000, v2
	v_max3_f32 v6, v6, v10, v1
	s_delay_alu instid0(VALU_DEP_4) | instskip(NEXT) | instid1(VALU_DEP_2)
	v_cmp_lt_i32_e32 vcc_lo, v9, v7
	v_max3_f32 v6, v6, v8, v2
	v_cndmask_b32_e32 v9, v5, v9, vcc_lo
	v_lshlrev_b32_e32 v11, 16, v3
	v_and_b32_e32 v3, 0xffff0000, v3
	v_cmp_lt_i32_e32 vcc_lo, v12, v7
	s_delay_alu instid0(VALU_DEP_4) | instskip(NEXT) | instid1(VALU_DEP_3)
	v_lshlrev_b32_e32 v18, 2, v9
	v_max3_f32 v6, v6, v11, v3
	v_cndmask_b32_e32 v5, v5, v12, vcc_lo
	ds_bpermute_b32 v9, v18, v6
	v_lshlrev_b32_e32 v19, 2, v5
	s_waitcnt lgkmcnt(0)
	v_max_f32_e32 v7, v9, v9
	s_delay_alu instid0(VALU_DEP_1) | instskip(SKIP_3) | instid1(VALU_DEP_1)
	v_max_f32_e32 v5, v6, v7
	ds_bpermute_b32 v6, v19, v5
	s_waitcnt lgkmcnt(0)
	v_max_f32_e32 v6, v6, v6
	v_max_f32_e32 v5, v5, v6
	s_delay_alu instid0(VALU_DEP_1)
	v_sub_f32_e32 v0, v0, v5
	v_sub_f32_e32 v4, v4, v5
	;; [unrolled: 1-line block ×6, first 2 shown]
	v_dual_sub_f32 v8, v11, v5 :: v_dual_mul_f32 v9, 0x3fb8aa3b, v4
	s_delay_alu instid0(VALU_DEP_3) | instskip(SKIP_1) | instid1(VALU_DEP_3)
	v_dual_sub_f32 v3, v3, v5 :: v_dual_mul_f32 v12, 0x3fb8aa3b, v7
	v_dual_mul_f32 v5, 0x3fb8aa3b, v0 :: v_dual_mul_f32 v10, 0x3fb8aa3b, v6
	v_dual_mul_f32 v11, 0x3fb8aa3b, v1 :: v_dual_mul_f32 v14, 0x3fb8aa3b, v8
	s_delay_alu instid0(VALU_DEP_4) | instskip(NEXT) | instid1(VALU_DEP_3)
	v_fma_f32 v22, 0x3fb8aa3b, v4, -v9
	v_fma_f32 v20, 0x3fb8aa3b, v0, -v5
	v_rndne_f32_e32 v21, v5
	v_rndne_f32_e32 v23, v9
	;; [unrolled: 1-line block ×3, first 2 shown]
	v_mul_f32_e32 v13, 0x3fb8aa3b, v2
	v_fma_f32 v28, 0x3fb8aa3b, v7, -v12
	v_dual_fmac_f32 v20, 0x32a5705f, v0 :: v_dual_sub_f32 v5, v5, v21
	v_fma_f32 v24, 0x3fb8aa3b, v6, -v10
	v_fma_f32 v26, 0x3fb8aa3b, v1, -v11
	v_rndne_f32_e32 v29, v12
	v_mul_f32_e32 v15, 0x3fb8aa3b, v3
	v_fma_f32 v32, 0x3fb8aa3b, v8, -v14
	v_dual_fmac_f32 v22, 0x32a5705f, v4 :: v_dual_sub_f32 v9, v9, v23
	v_sub_f32_e32 v10, v10, v25
	v_fma_f32 v30, 0x3fb8aa3b, v2, -v13
	v_rndne_f32_e32 v31, v13
	v_dual_fmac_f32 v28, 0x32a5705f, v7 :: v_dual_add_f32 v5, v5, v20
	v_rndne_f32_e32 v27, v11
	v_fmac_f32_e32 v24, 0x32a5705f, v6
	s_delay_alu instid0(VALU_DEP_4)
	v_dual_fmac_f32 v26, 0x32a5705f, v1 :: v_dual_sub_f32 v13, v13, v31
	v_sub_f32_e32 v12, v12, v29
	v_fma_f32 v34, 0x3fb8aa3b, v3, -v15
	v_rndne_f32_e32 v35, v15
	v_fmac_f32_e32 v30, 0x32a5705f, v2
	v_dual_fmac_f32 v32, 0x32a5705f, v8 :: v_dual_add_f32 v9, v9, v22
	v_exp_f32_e32 v5, v5
	v_rndne_f32_e32 v33, v14
	v_cvt_i32_f32_e32 v21, v21
	v_sub_f32_e32 v11, v11, v27
	v_sub_f32_e32 v15, v15, v35
	v_dual_fmac_f32 v34, 0x32a5705f, v3 :: v_dual_add_f32 v13, v13, v30
	v_add_f32_e32 v10, v10, v24
	v_exp_f32_e32 v9, v9
	v_cvt_i32_f32_e32 v23, v23
	s_delay_alu instid0(VALU_DEP_3)
	v_dual_add_f32 v15, v15, v34 :: v_dual_sub_f32 v14, v14, v33
	v_add_f32_e32 v11, v11, v26
	v_exp_f32_e32 v10, v10
	v_ldexp_f32 v5, v5, v21
	v_cmp_ngt_f32_e32 vcc_lo, 0xc2ce8ed0, v0
	v_cvt_i32_f32_e32 v25, v25
	v_add_f32_e32 v12, v12, v28
	v_exp_f32_e32 v11, v11
	v_ldexp_f32 v9, v9, v23
	v_cndmask_b32_e32 v5, 0, v5, vcc_lo
	v_cmp_ngt_f32_e32 vcc_lo, 0xc2ce8ed0, v4
	v_cvt_i32_f32_e32 v27, v27
	v_add_f32_e32 v14, v14, v32
	v_ldexp_f32 v10, v10, v25
	v_exp_f32_e32 v12, v12
	v_cndmask_b32_e32 v9, 0, v9, vcc_lo
	v_cmp_ngt_f32_e32 vcc_lo, 0xc2ce8ed0, v6
	v_ldexp_f32 v11, v11, v27
	v_cvt_i32_f32_e32 v29, v29
	v_exp_f32_e32 v13, v13
	v_cvt_i32_f32_e32 v31, v31
	v_cndmask_b32_e32 v10, 0, v10, vcc_lo
	v_cmp_nlt_f32_e32 vcc_lo, 0x42b17218, v0
	v_exp_f32_e32 v14, v14
	v_ldexp_f32 v12, v12, v29
	v_cvt_i32_f32_e32 v20, v33
	v_exp_f32_e32 v15, v15
	v_cndmask_b32_e32 v0, 0x7f800000, v5, vcc_lo
	v_cmp_nlt_f32_e32 vcc_lo, 0x42b17218, v4
	v_ldexp_f32 v13, v13, v31
	v_cvt_i32_f32_e32 v22, v35
	v_cndmask_b32_e32 v4, 0x7f800000, v9, vcc_lo
	v_cmp_ngt_f32_e32 vcc_lo, 0xc2ce8ed0, v1
	v_ldexp_f32 v14, v14, v20
	s_delay_alu instid0(TRANS32_DEP_1) | instid1(VALU_DEP_4)
	v_ldexp_f32 v15, v15, v22
	s_delay_alu instid0(VALU_DEP_4)
	v_dual_add_f32 v9, v0, v4 :: v_dual_lshlrev_b32 v20, 3, v17
	v_cndmask_b32_e32 v5, 0, v11, vcc_lo
	v_cmp_nlt_f32_e32 vcc_lo, 0x42b17218, v6
	v_cndmask_b32_e32 v6, 0x7f800000, v10, vcc_lo
	v_cmp_ngt_f32_e32 vcc_lo, 0xc2ce8ed0, v7
	v_cndmask_b32_e32 v10, 0, v12, vcc_lo
	v_cmp_nlt_f32_e32 vcc_lo, 0x42b17218, v1
	v_cndmask_b32_e32 v1, 0x7f800000, v5, vcc_lo
	v_cmp_ngt_f32_e32 vcc_lo, 0xc2ce8ed0, v2
	v_add_f32_e32 v5, v9, v6
	v_cndmask_b32_e32 v9, 0, v13, vcc_lo
	v_cmp_nlt_f32_e32 vcc_lo, 0x42b17218, v7
	v_cndmask_b32_e32 v7, 0x7f800000, v10, vcc_lo
	v_cmp_ngt_f32_e32 vcc_lo, 0xc2ce8ed0, v8
	v_dual_add_f32 v5, v5, v1 :: v_dual_cndmask_b32 v10, 0, v14
	v_cmp_nlt_f32_e32 vcc_lo, 0x42b17218, v2
	s_delay_alu instid0(VALU_DEP_2) | instskip(SKIP_1) | instid1(VALU_DEP_2)
	v_dual_add_f32 v5, v5, v7 :: v_dual_cndmask_b32 v2, 0x7f800000, v9
	v_cmp_ngt_f32_e32 vcc_lo, 0xc2ce8ed0, v3
	v_add_f32_e32 v5, v5, v2
	v_cndmask_b32_e32 v9, 0, v15, vcc_lo
	v_cmp_nlt_f32_e32 vcc_lo, 0x42b17218, v8
	v_cndmask_b32_e32 v8, 0x7f800000, v10, vcc_lo
	v_cmp_nlt_f32_e32 vcc_lo, 0x42b17218, v3
	s_delay_alu instid0(VALU_DEP_2) | instskip(SKIP_1) | instid1(VALU_DEP_1)
	v_add_f32_e32 v5, v5, v8
	v_cndmask_b32_e32 v3, 0x7f800000, v9, vcc_lo
	v_add_f32_e32 v5, v5, v3
	ds_bpermute_b32 v9, v18, v5
	s_waitcnt lgkmcnt(0)
	v_add_f32_e32 v5, v5, v9
	ds_bpermute_b32 v9, v19, v5
	s_waitcnt lgkmcnt(0)
	v_add_f32_e32 v5, v5, v9
	s_delay_alu instid0(VALU_DEP_1) | instskip(SKIP_1) | instid1(VALU_DEP_2)
	v_div_scale_f32 v9, null, v5, v5, 1.0
	v_div_scale_f32 v12, vcc_lo, 1.0, v5, 1.0
	v_rcp_f32_e32 v10, v9
	s_waitcnt_depctr 0xfff
	v_fma_f32 v11, -v9, v10, 1.0
	s_delay_alu instid0(VALU_DEP_1) | instskip(NEXT) | instid1(VALU_DEP_1)
	v_fmac_f32_e32 v10, v11, v10
	v_mul_f32_e32 v11, v12, v10
	s_delay_alu instid0(VALU_DEP_1) | instskip(NEXT) | instid1(VALU_DEP_1)
	v_fma_f32 v13, -v9, v11, v12
	v_fmac_f32_e32 v11, v13, v10
	s_delay_alu instid0(VALU_DEP_1) | instskip(NEXT) | instid1(VALU_DEP_1)
	v_fma_f32 v9, -v9, v11, v12
	v_div_fmas_f32 v9, v9, v10, v11
	s_delay_alu instid0(VALU_DEP_1) | instskip(NEXT) | instid1(VALU_DEP_1)
	v_div_fixup_f32 v5, v9, v5, 1.0
	v_mul_f32_e32 v0, v5, v0
	v_mul_f32_e32 v4, v5, v4
	;; [unrolled: 1-line block ×5, first 2 shown]
	v_cmp_class_f32_e64 vcc_lo, v0, 0x1f8
	v_mul_f32_e32 v11, v5, v3
	v_mul_f32_e32 v8, v5, v8
	v_cndmask_b32_e32 v0, 0, v0, vcc_lo
	v_cmp_class_f32_e64 vcc_lo, v4, 0x1f8
	v_dual_mul_f32 v6, v5, v6 :: v_dual_cndmask_b32 v1, 0, v4
	s_delay_alu instid0(VALU_DEP_1)
	v_cmp_class_f32_e64 vcc_lo, v6, 0x1f8
	v_cndmask_b32_e32 v2, 0, v6, vcc_lo
	v_cmp_class_f32_e64 vcc_lo, v9, 0x1f8
	v_cndmask_b32_e32 v3, 0, v9, vcc_lo
	;; [unrolled: 2-line block ×6, first 2 shown]
	s_cbranch_scc1 .LBB159_23
; %bb.4:
	v_lshlrev_b32_e32 v12, 2, v20
	s_clause 0x1
	global_load_b128 v[8:11], v12, s[2:3]
	global_load_b128 v[12:15], v12, s[2:3] offset:16
	s_waitcnt vmcnt(1)
	v_dual_add_f32 v9, v9, v1 :: v_dual_add_f32 v8, v8, v0
	v_dual_add_f32 v11, v11, v3 :: v_dual_add_f32 v10, v10, v2
	s_waitcnt vmcnt(0)
	v_dual_add_f32 v13, v13, v5 :: v_dual_add_f32 v12, v12, v4
	v_dual_add_f32 v15, v15, v7 :: v_dual_add_f32 v14, v14, v6
	s_cbranch_execnz .LBB159_6
.LBB159_5:
	v_dual_mov_b32 v15, v7 :: v_dual_mov_b32 v14, v6
	v_dual_mov_b32 v13, v5 :: v_dual_mov_b32 v12, v4
	;; [unrolled: 1-line block ×4, first 2 shown]
.LBB159_6:
	s_load_b128 s[4:7], s[0:1], 0x30
	v_cmp_eq_u32_e64 s2, 0, v17
	s_waitcnt lgkmcnt(0)
	s_bitcmp1_b32 s7, 0
	s_mov_b32 s7, 0
	s_cselect_b32 vcc_lo, -1, 0
	s_cmp_gt_i32 s4, 0
	s_cselect_b32 s3, -1, 0
	s_cmp_lt_i32 s4, 1
	s_cbranch_scc1 .LBB159_24
; %bb.7:
	s_load_b128 s[8:11], s[0:1], 0x20
	v_mul_lo_u32 v22, v16, s4
	v_mov_b32_e32 v21, 0
	v_mov_b32_e32 v23, v16
	s_branch .LBB159_10
.LBB159_8:                              ;   in Loop: Header=BB159_10 Depth=1
	s_or_b32 exec_lo, exec_lo, s1
.LBB159_9:                              ;   in Loop: Header=BB159_10 Depth=1
	v_add_nc_u32_e32 v23, s14, v23
	s_cmp_eq_u32 s4, s7
	s_cbranch_scc1 .LBB159_25
.LBB159_10:                             ; =>This Inner Loop Header: Depth=1
	v_cmp_gt_f32_e64 s0, v9, v8
	s_mov_b32 s17, exec_lo
	s_delay_alu instid0(VALU_DEP_1) | instskip(SKIP_2) | instid1(VALU_DEP_3)
	v_cndmask_b32_e64 v24, v8, v9, s0
	v_cndmask_b32_e64 v25, 0, 1, s0
	;; [unrolled: 1-line block ×3, first 2 shown]
	v_cmp_gt_f32_e64 s1, v10, v24
	s_delay_alu instid0(VALU_DEP_1) | instskip(NEXT) | instid1(VALU_DEP_4)
	v_cndmask_b32_e64 v24, v24, v10, s1
	v_cndmask_b32_e64 v25, v25, 2, s1
	s_delay_alu instid0(VALU_DEP_4) | instskip(NEXT) | instid1(VALU_DEP_3)
	v_cndmask_b32_e64 v26, v26, v2, s1
	v_cmp_gt_f32_e64 s0, v11, v24
	s_delay_alu instid0(VALU_DEP_1) | instskip(NEXT) | instid1(VALU_DEP_4)
	v_cndmask_b32_e64 v24, v24, v11, s0
	v_cndmask_b32_e64 v25, v25, 3, s0
	s_delay_alu instid0(VALU_DEP_4) | instskip(NEXT) | instid1(VALU_DEP_3)
	v_cndmask_b32_e64 v26, v26, v3, s0
	;; [unrolled: 6-line block ×4, first 2 shown]
	v_cmp_gt_f32_e64 s1, v14, v24
	s_delay_alu instid0(VALU_DEP_1) | instskip(NEXT) | instid1(VALU_DEP_4)
	v_cndmask_b32_e64 v24, v24, v14, s1
	v_cndmask_b32_e64 v25, v25, 6, s1
	s_waitcnt lgkmcnt(0)
	v_cndmask_b32_e64 v27, v26, v6, s1
	s_delay_alu instid0(VALU_DEP_3) | instskip(NEXT) | instid1(VALU_DEP_1)
	v_cmp_gt_f32_e64 s0, v15, v24
	v_cndmask_b32_e64 v26, v24, v15, s0
	v_cndmask_b32_e64 v24, v25, 7, s0
	s_delay_alu instid0(VALU_DEP_4)
	v_cndmask_b32_e64 v25, v27, v7, s0
	ds_bpermute_b32 v27, v18, v26
	v_or_b32_e32 v24, v20, v24
	ds_bpermute_b32 v29, v18, v25
	ds_bpermute_b32 v28, v18, v24
	s_waitcnt lgkmcnt(0)
	v_cmp_lt_f32_e64 s16, v26, v27
	v_cmpx_nlt_f32_e32 v26, v27
; %bb.11:                               ;   in Loop: Header=BB159_10 Depth=1
	v_cmp_eq_f32_e64 s0, v26, v27
	v_cmp_lt_i32_e64 s1, v28, v24
	s_delay_alu instid0(VALU_DEP_1) | instskip(SKIP_2) | instid1(SALU_CYCLE_1)
	s_and_b32 s0, s0, s1
	s_and_not1_b32 s1, s16, exec_lo
	s_and_b32 s0, s0, exec_lo
	s_or_b32 s16, s1, s0
; %bb.12:                               ;   in Loop: Header=BB159_10 Depth=1
	s_or_b32 exec_lo, exec_lo, s17
	s_and_saveexec_b32 s0, s16
; %bb.13:                               ;   in Loop: Header=BB159_10 Depth=1
	v_dual_mov_b32 v25, v29 :: v_dual_mov_b32 v26, v27
	v_mov_b32_e32 v24, v28
; %bb.14:                               ;   in Loop: Header=BB159_10 Depth=1
	s_or_b32 exec_lo, exec_lo, s0
	ds_bpermute_b32 v29, v19, v26
	ds_bpermute_b32 v28, v19, v25
	;; [unrolled: 1-line block ×3, first 2 shown]
	s_mov_b32 s17, exec_lo
	s_waitcnt lgkmcnt(2)
	v_cmp_lt_f32_e64 s16, v26, v29
	v_cmpx_nlt_f32_e32 v26, v29
	s_cbranch_execnz .LBB159_18
; %bb.15:                               ;   in Loop: Header=BB159_10 Depth=1
	s_or_b32 exec_lo, exec_lo, s17
	s_delay_alu instid0(VALU_DEP_2)
	s_and_saveexec_b32 s0, s16
	s_cbranch_execnz .LBB159_19
.LBB159_16:                             ;   in Loop: Header=BB159_10 Depth=1
	s_or_b32 exec_lo, exec_lo, s0
	s_and_saveexec_b32 s16, s2
	s_cbranch_execnz .LBB159_20
.LBB159_17:                             ;   in Loop: Header=BB159_10 Depth=1
	s_or_b32 exec_lo, exec_lo, s16
	s_add_i32 s7, s7, 1
	s_delay_alu instid0(SALU_CYCLE_1)
	s_cmp_ge_i32 s7, s4
	s_cbranch_scc1 .LBB159_9
	s_branch .LBB159_21
.LBB159_18:                             ;   in Loop: Header=BB159_10 Depth=1
	v_cmp_eq_f32_e64 s0, v26, v29
	s_waitcnt lgkmcnt(0)
	v_cmp_lt_i32_e64 s1, v27, v24
	s_delay_alu instid0(VALU_DEP_1) | instskip(SKIP_2) | instid1(SALU_CYCLE_1)
	s_and_b32 s0, s0, s1
	s_and_not1_b32 s1, s16, exec_lo
	s_and_b32 s0, s0, exec_lo
	s_or_b32 s16, s1, s0
	s_or_b32 exec_lo, exec_lo, s17
	s_and_saveexec_b32 s0, s16
	s_cbranch_execz .LBB159_16
.LBB159_19:                             ;   in Loop: Header=BB159_10 Depth=1
	s_waitcnt lgkmcnt(0)
	v_dual_mov_b32 v25, v28 :: v_dual_mov_b32 v24, v27
	s_or_b32 exec_lo, exec_lo, s0
	s_and_saveexec_b32 s16, s2
	s_cbranch_execz .LBB159_17
.LBB159_20:                             ;   in Loop: Header=BB159_10 Depth=1
	s_delay_alu instid0(VALU_DEP_1)
	v_dual_add_f32 v33, v21, v25 :: v_dual_add_nc_u32 v26, s7, v22
	v_cmp_le_i32_e64 s0, s5, v24
	v_cmp_gt_i32_e64 s1, s6, v24
	s_waitcnt lgkmcnt(1)
	v_subrev_nc_u32_e32 v28, s5, v24
	s_waitcnt lgkmcnt(0)
	v_ashrrev_i32_e32 v27, 31, v26
	v_cndmask_b32_e32 v21, v21, v33, vcc_lo
	s_and_b32 s0, s0, s1
	s_delay_alu instid0(SALU_CYCLE_1) | instskip(NEXT) | instid1(VALU_DEP_2)
	s_and_b32 s0, s15, s0
	v_lshlrev_b64 v[26:27], 2, v[26:27]
	v_cndmask_b32_e64 v32, 32, v28, s0
	s_delay_alu instid0(VALU_DEP_2) | instskip(NEXT) | instid1(VALU_DEP_1)
	v_add_co_u32 v28, s0, s12, v26
	v_add_co_ci_u32_e64 v29, s0, s13, v27, s0
	v_add_co_u32 v30, s0, s8, v26
	s_delay_alu instid0(VALU_DEP_1) | instskip(SKIP_1) | instid1(VALU_DEP_1)
	v_add_co_ci_u32_e64 v31, s0, s9, v27, s0
	v_add_co_u32 v26, s0, s10, v26
	v_add_co_ci_u32_e64 v27, s0, s11, v27, s0
	global_store_b32 v[28:29], v25, off
	global_store_b32 v[30:31], v32, off
	;; [unrolled: 1-line block ×3, first 2 shown]
	s_or_b32 exec_lo, exec_lo, s16
	s_add_i32 s7, s7, 1
	s_delay_alu instid0(SALU_CYCLE_1)
	s_cmp_ge_i32 s7, s4
	s_cbranch_scc1 .LBB159_9
.LBB159_21:                             ;   in Loop: Header=BB159_10 Depth=1
	v_ashrrev_i32_e32 v26, 31, v24
	s_mov_b32 s1, exec_lo
	s_delay_alu instid0(VALU_DEP_1) | instskip(NEXT) | instid1(VALU_DEP_1)
	v_lshrrev_b32_e32 v25, 29, v26
	v_add_nc_u32_e32 v25, v24, v25
	s_delay_alu instid0(VALU_DEP_1) | instskip(SKIP_1) | instid1(VALU_DEP_1)
	v_ashrrev_i32_e32 v25, 3, v25
	s_waitcnt lgkmcnt(0)
	v_lshrrev_b32_e32 v27, 30, v25
	s_delay_alu instid0(VALU_DEP_1) | instskip(NEXT) | instid1(VALU_DEP_1)
	v_add_nc_u32_e32 v27, v25, v27
	v_and_b32_e32 v27, -4, v27
	s_delay_alu instid0(VALU_DEP_1) | instskip(NEXT) | instid1(VALU_DEP_1)
	v_sub_nc_u32_e32 v27, v25, v27
	v_cmpx_eq_u32_e64 v17, v27
	s_cbranch_execz .LBB159_8
; %bb.22:                               ;   in Loop: Header=BB159_10 Depth=1
	v_lshrrev_b32_e32 v26, 27, v26
	v_lshlrev_b32_e32 v25, 3, v25
	s_delay_alu instid0(VALU_DEP_2) | instskip(NEXT) | instid1(VALU_DEP_2)
	v_add_nc_u32_e32 v26, v24, v26
	v_sub_nc_u32_e32 v24, v24, v25
	s_delay_alu instid0(VALU_DEP_2) | instskip(NEXT) | instid1(VALU_DEP_1)
	v_ashrrev_i32_e32 v25, 5, v26
	v_lshl_add_u32 v24, v25, 3, v24
	s_delay_alu instid0(VALU_DEP_1) | instskip(NEXT) | instid1(VALU_DEP_1)
	v_cmp_ne_u32_e64 s0, 7, v24
	v_cndmask_b32_e64 v15, 0xc61c4000, v15, s0
	v_cmp_ne_u32_e64 s0, 6, v24
	s_delay_alu instid0(VALU_DEP_1) | instskip(SKIP_1) | instid1(VALU_DEP_1)
	v_cndmask_b32_e64 v14, 0xc61c4000, v14, s0
	v_cmp_ne_u32_e64 s0, 5, v24
	v_cndmask_b32_e64 v13, 0xc61c4000, v13, s0
	v_cmp_ne_u32_e64 s0, 4, v24
	s_delay_alu instid0(VALU_DEP_1) | instskip(SKIP_1) | instid1(VALU_DEP_1)
	v_cndmask_b32_e64 v12, 0xc61c4000, v12, s0
	;; [unrolled: 5-line block ×3, first 2 shown]
	v_cmp_ne_u32_e64 s0, 1, v24
	v_cndmask_b32_e64 v9, 0xc61c4000, v9, s0
	v_cmp_ne_u32_e64 s0, 0, v24
	s_delay_alu instid0(VALU_DEP_1)
	v_cndmask_b32_e64 v8, 0xc61c4000, v8, s0
	s_branch .LBB159_8
.LBB159_23:
                                        ; implicit-def: $vgpr8_vgpr9_vgpr10_vgpr11_vgpr12_vgpr13_vgpr14_vgpr15
	s_and_not1_b32 vcc_lo, exec_lo, s8
	s_cbranch_vccz .LBB159_5
	s_branch .LBB159_6
.LBB159_24:
	v_mov_b32_e32 v21, 0
.LBB159_25:
	v_cmp_eq_u32_e64 s0, 0, v17
	s_delay_alu instid0(VALU_DEP_1) | instskip(NEXT) | instid1(SALU_CYCLE_1)
	s_and_b32 s0, s0, vcc_lo
	s_and_b32 exec_lo, exec_lo, s0
	s_cbranch_execz .LBB159_29
; %bb.26:
	s_and_not1_b32 vcc_lo, exec_lo, s3
	s_cbranch_vccnz .LBB159_29
; %bb.27:
	v_mul_lo_u32 v0, v16, s4
	v_cmp_lt_f32_e32 vcc_lo, 0, v21
	v_cndmask_b32_e32 v2, 1.0, v21, vcc_lo
	s_delay_alu instid0(VALU_DEP_3) | instskip(NEXT) | instid1(VALU_DEP_1)
	v_ashrrev_i32_e32 v1, 31, v0
	v_lshlrev_b64 v[0:1], 2, v[0:1]
	s_delay_alu instid0(VALU_DEP_1) | instskip(NEXT) | instid1(VALU_DEP_2)
	v_add_co_u32 v0, vcc_lo, s12, v0
	v_add_co_ci_u32_e32 v1, vcc_lo, s13, v1, vcc_lo
	.p2align	6
.LBB159_28:                             ; =>This Inner Loop Header: Depth=1
	global_load_b32 v3, v[0:1], off
	s_add_i32 s4, s4, -1
	s_delay_alu instid0(SALU_CYCLE_1) | instskip(SKIP_3) | instid1(VALU_DEP_2)
	s_cmp_lg_u32 s4, 0
	s_waitcnt vmcnt(0)
	v_div_scale_f32 v4, null, v2, v2, v3
	v_div_scale_f32 v7, vcc_lo, v3, v2, v3
	v_rcp_f32_e32 v5, v4
	s_waitcnt_depctr 0xfff
	v_fma_f32 v6, -v4, v5, 1.0
	s_delay_alu instid0(VALU_DEP_1) | instskip(NEXT) | instid1(VALU_DEP_1)
	v_fmac_f32_e32 v5, v6, v5
	v_mul_f32_e32 v6, v7, v5
	s_delay_alu instid0(VALU_DEP_1) | instskip(NEXT) | instid1(VALU_DEP_1)
	v_fma_f32 v8, -v4, v6, v7
	v_fmac_f32_e32 v6, v8, v5
	s_delay_alu instid0(VALU_DEP_1) | instskip(NEXT) | instid1(VALU_DEP_1)
	v_fma_f32 v4, -v4, v6, v7
	v_div_fmas_f32 v4, v4, v5, v6
	s_delay_alu instid0(VALU_DEP_1)
	v_div_fixup_f32 v3, v4, v2, v3
	global_store_b32 v[0:1], v3, off
	v_add_co_u32 v0, vcc_lo, v0, 4
	v_add_co_ci_u32_e32 v1, vcc_lo, 0, v1, vcc_lo
	s_cbranch_scc1 .LBB159_28
.LBB159_29:
	s_nop 0
	s_sendmsg sendmsg(MSG_DEALLOC_VGPRS)
	s_endpgm
	.section	.rodata,"a",@progbits
	.p2align	6, 0x0
	.amdhsa_kernel _ZN4vllm3moe10topkGatingILi8ELi32ELi4ELi16ELi32Ej14__hip_bfloat16LNS0_11ScoringFuncE0EEEvPKT5_PKbPfiPT4_PiiiibPKf
		.amdhsa_group_segment_fixed_size 0
		.amdhsa_private_segment_fixed_size 0
		.amdhsa_kernarg_size 72
		.amdhsa_user_sgpr_count 15
		.amdhsa_user_sgpr_dispatch_ptr 0
		.amdhsa_user_sgpr_queue_ptr 0
		.amdhsa_user_sgpr_kernarg_segment_ptr 1
		.amdhsa_user_sgpr_dispatch_id 0
		.amdhsa_user_sgpr_private_segment_size 0
		.amdhsa_wavefront_size32 1
		.amdhsa_uses_dynamic_stack 0
		.amdhsa_enable_private_segment 0
		.amdhsa_system_sgpr_workgroup_id_x 1
		.amdhsa_system_sgpr_workgroup_id_y 0
		.amdhsa_system_sgpr_workgroup_id_z 0
		.amdhsa_system_sgpr_workgroup_info 0
		.amdhsa_system_vgpr_workitem_id 1
		.amdhsa_next_free_vgpr 36
		.amdhsa_next_free_sgpr 18
		.amdhsa_reserve_vcc 1
		.amdhsa_float_round_mode_32 0
		.amdhsa_float_round_mode_16_64 0
		.amdhsa_float_denorm_mode_32 3
		.amdhsa_float_denorm_mode_16_64 3
		.amdhsa_dx10_clamp 1
		.amdhsa_ieee_mode 1
		.amdhsa_fp16_overflow 0
		.amdhsa_workgroup_processor_mode 1
		.amdhsa_memory_ordered 1
		.amdhsa_forward_progress 0
		.amdhsa_shared_vgpr_count 0
		.amdhsa_exception_fp_ieee_invalid_op 0
		.amdhsa_exception_fp_denorm_src 0
		.amdhsa_exception_fp_ieee_div_zero 0
		.amdhsa_exception_fp_ieee_overflow 0
		.amdhsa_exception_fp_ieee_underflow 0
		.amdhsa_exception_fp_ieee_inexact 0
		.amdhsa_exception_int_div_zero 0
	.end_amdhsa_kernel
	.section	.text._ZN4vllm3moe10topkGatingILi8ELi32ELi4ELi16ELi32Ej14__hip_bfloat16LNS0_11ScoringFuncE0EEEvPKT5_PKbPfiPT4_PiiiibPKf,"axG",@progbits,_ZN4vllm3moe10topkGatingILi8ELi32ELi4ELi16ELi32Ej14__hip_bfloat16LNS0_11ScoringFuncE0EEEvPKT5_PKbPfiPT4_PiiiibPKf,comdat
.Lfunc_end159:
	.size	_ZN4vllm3moe10topkGatingILi8ELi32ELi4ELi16ELi32Ej14__hip_bfloat16LNS0_11ScoringFuncE0EEEvPKT5_PKbPfiPT4_PiiiibPKf, .Lfunc_end159-_ZN4vllm3moe10topkGatingILi8ELi32ELi4ELi16ELi32Ej14__hip_bfloat16LNS0_11ScoringFuncE0EEEvPKT5_PKbPfiPT4_PiiiibPKf
                                        ; -- End function
	.section	.AMDGPU.csdata,"",@progbits
; Kernel info:
; codeLenInByte = 2972
; NumSgprs: 20
; NumVgprs: 36
; ScratchSize: 0
; MemoryBound: 0
; FloatMode: 240
; IeeeMode: 1
; LDSByteSize: 0 bytes/workgroup (compile time only)
; SGPRBlocks: 2
; VGPRBlocks: 4
; NumSGPRsForWavesPerEU: 20
; NumVGPRsForWavesPerEU: 36
; Occupancy: 16
; WaveLimiterHint : 0
; COMPUTE_PGM_RSRC2:SCRATCH_EN: 0
; COMPUTE_PGM_RSRC2:USER_SGPR: 15
; COMPUTE_PGM_RSRC2:TRAP_HANDLER: 0
; COMPUTE_PGM_RSRC2:TGID_X_EN: 1
; COMPUTE_PGM_RSRC2:TGID_Y_EN: 0
; COMPUTE_PGM_RSRC2:TGID_Z_EN: 0
; COMPUTE_PGM_RSRC2:TIDIG_COMP_CNT: 1
	.section	.text._ZN4vllm3moe10topkGatingILi8ELi64ELi4ELi16ELi64Ej14__hip_bfloat16LNS0_11ScoringFuncE0EEEvPKT5_PKbPfiPT4_PiiiibPKf,"axG",@progbits,_ZN4vllm3moe10topkGatingILi8ELi64ELi4ELi16ELi64Ej14__hip_bfloat16LNS0_11ScoringFuncE0EEEvPKT5_PKbPfiPT4_PiiiibPKf,comdat
	.protected	_ZN4vllm3moe10topkGatingILi8ELi64ELi4ELi16ELi64Ej14__hip_bfloat16LNS0_11ScoringFuncE0EEEvPKT5_PKbPfiPT4_PiiiibPKf ; -- Begin function _ZN4vllm3moe10topkGatingILi8ELi64ELi4ELi16ELi64Ej14__hip_bfloat16LNS0_11ScoringFuncE0EEEvPKT5_PKbPfiPT4_PiiiibPKf
	.globl	_ZN4vllm3moe10topkGatingILi8ELi64ELi4ELi16ELi64Ej14__hip_bfloat16LNS0_11ScoringFuncE0EEEvPKT5_PKbPfiPT4_PiiiibPKf
	.p2align	8
	.type	_ZN4vllm3moe10topkGatingILi8ELi64ELi4ELi16ELi64Ej14__hip_bfloat16LNS0_11ScoringFuncE0EEEvPKT5_PKbPfiPT4_PiiiibPKf,@function
_ZN4vllm3moe10topkGatingILi8ELi64ELi4ELi16ELi64Ej14__hip_bfloat16LNS0_11ScoringFuncE0EEEvPKT5_PKbPfiPT4_PiiiibPKf: ; @_ZN4vllm3moe10topkGatingILi8ELi64ELi4ELi16ELi64Ej14__hip_bfloat16LNS0_11ScoringFuncE0EEEvPKT5_PKbPfiPT4_PiiiibPKf
; %bb.0:
	s_load_b32 s14, s[0:1], 0x18
	v_bfe_u32 v1, v0, 10, 10
	v_and_b32_e32 v0, 0x3ff, v0
	s_lshl_b32 s2, s15, 5
	s_delay_alu instid0(VALU_DEP_2) | instskip(NEXT) | instid1(VALU_DEP_2)
	v_lshlrev_b32_e32 v1, 3, v1
	v_lshrrev_b32_e32 v2, 3, v0
	s_delay_alu instid0(VALU_DEP_1) | instskip(SKIP_2) | instid1(VALU_DEP_1)
	v_add3_u32 v16, s2, v1, v2
	s_mov_b32 s2, exec_lo
	s_waitcnt lgkmcnt(0)
	v_cmpx_gt_i32_e64 s14, v16
	s_cbranch_execz .LBB160_33
; %bb.1:
	s_clause 0x1
	s_load_b128 s[4:7], s[0:1], 0x0
	s_load_b64 s[12:13], s[0:1], 0x10
	s_mov_b32 s8, -1
	s_mov_b32 s15, -1
	s_waitcnt lgkmcnt(0)
	s_cmp_eq_u64 s[6:7], 0
	s_cbranch_scc1 .LBB160_3
; %bb.2:
	v_ashrrev_i32_e32 v2, 31, v16
	v_add_co_u32 v1, vcc_lo, s6, v16
	s_delay_alu instid0(VALU_DEP_2) | instskip(SKIP_3) | instid1(VALU_DEP_1)
	v_add_co_ci_u32_e32 v2, vcc_lo, s7, v2, vcc_lo
	global_load_u8 v1, v[1:2], off
	s_waitcnt vmcnt(0)
	v_and_b32_e32 v1, 1, v1
	v_cmp_eq_u32_e32 vcc_lo, 1, v1
	s_xor_b32 s2, vcc_lo, -1
	s_delay_alu instid0(SALU_CYCLE_1)
	s_or_not1_b32 s15, s2, exec_lo
.LBB160_3:
	v_lshlrev_b32_e32 v1, 6, v16
	v_and_b32_e32 v17, 7, v0
	v_mbcnt_lo_u32_b32 v5, -1, 0
	s_load_b64 s[2:3], s[0:1], 0x40
	s_delay_alu instid0(VALU_DEP_3) | instskip(NEXT) | instid1(VALU_DEP_2)
	v_ashrrev_i32_e32 v2, 31, v1
	v_xor_b32_e32 v9, 4, v5
	v_and_b32_e32 v8, 24, v5
	v_xor_b32_e32 v12, 2, v5
	s_delay_alu instid0(VALU_DEP_4) | instskip(SKIP_1) | instid1(VALU_DEP_2)
	v_lshlrev_b64 v[0:1], 1, v[1:2]
	v_lshlrev_b32_e32 v2, 4, v17
	v_add_co_u32 v0, vcc_lo, s4, v0
	s_delay_alu instid0(VALU_DEP_3) | instskip(NEXT) | instid1(VALU_DEP_2)
	v_add_co_ci_u32_e32 v1, vcc_lo, s5, v1, vcc_lo
	v_add_co_u32 v0, vcc_lo, v0, v2
	s_delay_alu instid0(VALU_DEP_2)
	v_add_co_ci_u32_e32 v1, vcc_lo, 0, v1, vcc_lo
	s_waitcnt lgkmcnt(0)
	s_cmp_eq_u64 s[2:3], 0
	global_load_b128 v[0:3], v[0:1], off
	s_waitcnt vmcnt(0)
	v_and_b32_e32 v4, 0xffff0000, v0
	v_lshlrev_b32_e32 v0, 16, v0
	v_lshlrev_b32_e32 v10, 16, v1
	s_delay_alu instid0(VALU_DEP_3) | instskip(NEXT) | instid1(VALU_DEP_3)
	v_dual_max_f32 v6, v4, v4 :: v_dual_and_b32 v1, 0xffff0000, v1
	v_max_f32_e32 v7, v0, v0
	s_delay_alu instid0(VALU_DEP_1) | instskip(SKIP_2) | instid1(VALU_DEP_3)
	v_dual_max_f32 v6, v7, v6 :: v_dual_add_nc_u32 v7, 8, v8
	v_lshlrev_b32_e32 v8, 16, v2
	v_and_b32_e32 v2, 0xffff0000, v2
	v_max3_f32 v6, v6, v10, v1
	s_delay_alu instid0(VALU_DEP_4) | instskip(NEXT) | instid1(VALU_DEP_2)
	v_cmp_lt_i32_e32 vcc_lo, v9, v7
	v_max3_f32 v6, v6, v8, v2
	v_cndmask_b32_e32 v9, v5, v9, vcc_lo
	v_cmp_lt_i32_e32 vcc_lo, v12, v7
	v_lshlrev_b32_e32 v11, 16, v3
	v_and_b32_e32 v3, 0xffff0000, v3
	s_delay_alu instid0(VALU_DEP_4) | instskip(SKIP_1) | instid1(VALU_DEP_3)
	v_lshlrev_b32_e32 v18, 2, v9
	v_cndmask_b32_e32 v12, v5, v12, vcc_lo
	v_max3_f32 v6, v6, v11, v3
	s_delay_alu instid0(VALU_DEP_2) | instskip(SKIP_4) | instid1(VALU_DEP_1)
	v_lshlrev_b32_e32 v19, 2, v12
	v_xor_b32_e32 v12, 1, v5
	ds_bpermute_b32 v9, v18, v6
	v_cmp_lt_i32_e32 vcc_lo, v12, v7
	v_cndmask_b32_e32 v5, v5, v12, vcc_lo
	v_lshlrev_b32_e32 v20, 2, v5
	s_waitcnt lgkmcnt(0)
	v_max_f32_e32 v9, v9, v9
	s_delay_alu instid0(VALU_DEP_1) | instskip(SKIP_3) | instid1(VALU_DEP_1)
	v_max_f32_e32 v6, v6, v9
	ds_bpermute_b32 v9, v19, v6
	s_waitcnt lgkmcnt(0)
	v_max_f32_e32 v7, v9, v9
	v_max_f32_e32 v5, v6, v7
	ds_bpermute_b32 v6, v20, v5
	s_waitcnt lgkmcnt(0)
	v_max_f32_e32 v6, v6, v6
	s_delay_alu instid0(VALU_DEP_1) | instskip(NEXT) | instid1(VALU_DEP_1)
	v_max_f32_e32 v5, v5, v6
	v_sub_f32_e32 v4, v4, v5
	v_sub_f32_e32 v6, v10, v5
	;; [unrolled: 1-line block ×4, first 2 shown]
	s_delay_alu instid0(VALU_DEP_4) | instskip(NEXT) | instid1(VALU_DEP_4)
	v_mul_f32_e32 v9, 0x3fb8aa3b, v4
	v_dual_sub_f32 v7, v8, v5 :: v_dual_mul_f32 v10, 0x3fb8aa3b, v6
	v_sub_f32_e32 v3, v3, v5
	v_cmp_ngt_f32_e32 vcc_lo, 0xc2ce8ed0, v0
	s_delay_alu instid0(VALU_DEP_4) | instskip(NEXT) | instid1(VALU_DEP_4)
	v_fma_f32 v23, 0x3fb8aa3b, v4, -v9
	v_mul_f32_e32 v12, 0x3fb8aa3b, v7
	s_delay_alu instid0(VALU_DEP_4) | instskip(SKIP_1) | instid1(VALU_DEP_3)
	v_dual_sub_f32 v2, v2, v5 :: v_dual_mul_f32 v15, 0x3fb8aa3b, v3
	v_dual_sub_f32 v8, v11, v5 :: v_dual_mul_f32 v5, 0x3fb8aa3b, v0
	v_fma_f32 v29, 0x3fb8aa3b, v7, -v12
	s_delay_alu instid0(VALU_DEP_3)
	v_mul_f32_e32 v13, 0x3fb8aa3b, v2
	v_rndne_f32_e32 v30, v12
	v_fma_f32 v25, 0x3fb8aa3b, v6, -v10
	v_fma_f32 v21, 0x3fb8aa3b, v0, -v5
	v_rndne_f32_e32 v22, v5
	v_rndne_f32_e32 v26, v10
	v_dual_fmac_f32 v23, 0x32a5705f, v4 :: v_dual_sub_f32 v12, v12, v30
	v_fmac_f32_e32 v29, 0x32a5705f, v7
	v_dual_mul_f32 v11, 0x3fb8aa3b, v1 :: v_dual_mul_f32 v14, 0x3fb8aa3b, v8
	v_rndne_f32_e32 v24, v9
	v_dual_fmac_f32 v21, 0x32a5705f, v0 :: v_dual_sub_f32 v10, v10, v26
	s_delay_alu instid0(VALU_DEP_4) | instskip(SKIP_2) | instid1(VALU_DEP_3)
	v_dual_fmac_f32 v25, 0x32a5705f, v6 :: v_dual_add_f32 v12, v12, v29
	v_sub_f32_e32 v5, v5, v22
	v_rndne_f32_e32 v34, v14
	v_dual_sub_f32 v9, v9, v24 :: v_dual_add_f32 v10, v10, v25
	v_fma_f32 v33, 0x3fb8aa3b, v8, -v14
	s_delay_alu instid0(VALU_DEP_3) | instskip(NEXT) | instid1(VALU_DEP_3)
	v_dual_add_f32 v5, v5, v21 :: v_dual_sub_f32 v14, v14, v34
	v_add_f32_e32 v9, v9, v23
	v_cvt_i32_f32_e32 v22, v22
	v_cvt_i32_f32_e32 v24, v24
	s_delay_alu instid0(VALU_DEP_4)
	v_exp_f32_e32 v5, v5
	v_exp_f32_e32 v10, v10
	;; [unrolled: 1-line block ×3, first 2 shown]
	v_fma_f32 v27, 0x3fb8aa3b, v1, -v11
	v_rndne_f32_e32 v28, v11
	v_cvt_i32_f32_e32 v26, v26
	v_fmac_f32_e32 v33, 0x32a5705f, v8
	v_rndne_f32_e32 v32, v13
	v_fma_f32 v31, 0x3fb8aa3b, v2, -v13
	v_sub_f32_e32 v11, v11, v28
	v_ldexp_f32 v5, v5, v22
	v_add_f32_e32 v14, v14, v33
	v_ldexp_f32 v9, v9, v24
	v_ldexp_f32 v10, v10, v26
	v_rndne_f32_e32 v36, v15
	v_cndmask_b32_e32 v5, 0, v5, vcc_lo
	v_cmp_ngt_f32_e32 vcc_lo, 0xc2ce8ed0, v4
	v_cvt_i32_f32_e32 v28, v28
	v_fma_f32 v35, 0x3fb8aa3b, v3, -v15
	v_exp_f32_e32 v12, v12
	v_cvt_i32_f32_e32 v30, v30
	v_cndmask_b32_e32 v9, 0, v9, vcc_lo
	v_cmp_ngt_f32_e32 vcc_lo, 0xc2ce8ed0, v6
	v_fmac_f32_e32 v27, 0x32a5705f, v1
	v_fmac_f32_e32 v35, 0x32a5705f, v3
	v_exp_f32_e32 v14, v14
	v_cvt_i32_f32_e32 v21, v34
	s_delay_alu instid0(VALU_DEP_3)
	v_dual_cndmask_b32 v10, 0, v10 :: v_dual_add_f32 v11, v11, v27
	v_cmp_nlt_f32_e32 vcc_lo, 0x42b17218, v0
	v_sub_f32_e32 v13, v13, v32
	v_ldexp_f32 v12, v12, v30
	v_cvt_i32_f32_e32 v32, v32
	v_exp_f32_e32 v11, v11
	v_cndmask_b32_e32 v0, 0x7f800000, v5, vcc_lo
	v_cmp_nlt_f32_e32 vcc_lo, 0x42b17218, v4
	v_fmac_f32_e32 v31, 0x32a5705f, v2
	v_sub_f32_e32 v15, v15, v36
	v_ldexp_f32 v14, v14, v21
	v_cvt_i32_f32_e32 v23, v36
	v_cndmask_b32_e32 v4, 0x7f800000, v9, vcc_lo
	v_cmp_ngt_f32_e32 vcc_lo, 0xc2ce8ed0, v1
	v_add_f32_e32 v13, v13, v31
	v_ldexp_f32 v11, v11, v28
	v_add_f32_e32 v15, v15, v35
	v_add_f32_e32 v9, v0, v4
	v_lshlrev_b32_e32 v21, 3, v17
	v_exp_f32_e32 v13, v13
	v_cndmask_b32_e32 v5, 0, v11, vcc_lo
	v_cmp_nlt_f32_e32 vcc_lo, 0x42b17218, v6
	v_exp_f32_e32 v15, v15
	v_cndmask_b32_e32 v6, 0x7f800000, v10, vcc_lo
	v_cmp_ngt_f32_e32 vcc_lo, 0xc2ce8ed0, v7
	s_waitcnt_depctr 0xfff
	v_ldexp_f32 v13, v13, v32
	v_cndmask_b32_e32 v10, 0, v12, vcc_lo
	v_cmp_nlt_f32_e32 vcc_lo, 0x42b17218, v1
	v_ldexp_f32 v15, v15, v23
	v_cndmask_b32_e32 v1, 0x7f800000, v5, vcc_lo
	v_cmp_ngt_f32_e32 vcc_lo, 0xc2ce8ed0, v2
	v_add_f32_e32 v5, v9, v6
	v_cndmask_b32_e32 v9, 0, v13, vcc_lo
	v_cmp_nlt_f32_e32 vcc_lo, 0x42b17218, v7
	s_delay_alu instid0(VALU_DEP_3) | instskip(SKIP_2) | instid1(VALU_DEP_2)
	v_add_f32_e32 v5, v5, v1
	v_cndmask_b32_e32 v7, 0x7f800000, v10, vcc_lo
	v_cmp_ngt_f32_e32 vcc_lo, 0xc2ce8ed0, v8
	v_dual_add_f32 v5, v5, v7 :: v_dual_cndmask_b32 v10, 0, v14
	v_cmp_nlt_f32_e32 vcc_lo, 0x42b17218, v2
	v_cndmask_b32_e32 v2, 0x7f800000, v9, vcc_lo
	v_cmp_ngt_f32_e32 vcc_lo, 0xc2ce8ed0, v3
	s_delay_alu instid0(VALU_DEP_2) | instskip(SKIP_4) | instid1(VALU_DEP_2)
	v_add_f32_e32 v5, v5, v2
	v_cndmask_b32_e32 v9, 0, v15, vcc_lo
	v_cmp_nlt_f32_e32 vcc_lo, 0x42b17218, v8
	v_cndmask_b32_e32 v8, 0x7f800000, v10, vcc_lo
	v_cmp_nlt_f32_e32 vcc_lo, 0x42b17218, v3
	v_add_f32_e32 v5, v5, v8
	v_cndmask_b32_e32 v3, 0x7f800000, v9, vcc_lo
	s_delay_alu instid0(VALU_DEP_1)
	v_add_f32_e32 v5, v5, v3
	ds_bpermute_b32 v9, v18, v5
	s_waitcnt lgkmcnt(0)
	v_add_f32_e32 v5, v5, v9
	ds_bpermute_b32 v9, v19, v5
	s_waitcnt lgkmcnt(0)
	;; [unrolled: 3-line block ×3, first 2 shown]
	v_add_f32_e32 v5, v5, v9
	s_delay_alu instid0(VALU_DEP_1) | instskip(SKIP_1) | instid1(VALU_DEP_2)
	v_div_scale_f32 v9, null, v5, v5, 1.0
	v_div_scale_f32 v12, vcc_lo, 1.0, v5, 1.0
	v_rcp_f32_e32 v10, v9
	s_waitcnt_depctr 0xfff
	v_fma_f32 v11, -v9, v10, 1.0
	s_delay_alu instid0(VALU_DEP_1) | instskip(NEXT) | instid1(VALU_DEP_1)
	v_fmac_f32_e32 v10, v11, v10
	v_mul_f32_e32 v11, v12, v10
	s_delay_alu instid0(VALU_DEP_1) | instskip(NEXT) | instid1(VALU_DEP_1)
	v_fma_f32 v13, -v9, v11, v12
	v_fmac_f32_e32 v11, v13, v10
	s_delay_alu instid0(VALU_DEP_1) | instskip(NEXT) | instid1(VALU_DEP_1)
	v_fma_f32 v9, -v9, v11, v12
	v_div_fmas_f32 v9, v9, v10, v11
	s_delay_alu instid0(VALU_DEP_1) | instskip(NEXT) | instid1(VALU_DEP_1)
	v_div_fixup_f32 v5, v9, v5, 1.0
	v_mul_f32_e32 v0, v5, v0
	v_mul_f32_e32 v4, v5, v4
	;; [unrolled: 1-line block ×5, first 2 shown]
	v_cmp_class_f32_e64 vcc_lo, v0, 0x1f8
	v_mul_f32_e32 v7, v5, v7
	v_mul_f32_e32 v10, v5, v2
	v_dual_mul_f32 v11, v5, v3 :: v_dual_cndmask_b32 v0, 0, v0
	v_cmp_class_f32_e64 vcc_lo, v4, 0x1f8
	v_cndmask_b32_e32 v1, 0, v4, vcc_lo
	v_cmp_class_f32_e64 vcc_lo, v6, 0x1f8
	v_cndmask_b32_e32 v2, 0, v6, vcc_lo
	;; [unrolled: 2-line block ×7, first 2 shown]
	s_cbranch_scc1 .LBB160_27
; %bb.4:
	v_lshlrev_b32_e32 v12, 2, v21
	s_clause 0x1
	global_load_b128 v[8:11], v12, s[2:3]
	global_load_b128 v[12:15], v12, s[2:3] offset:16
	s_waitcnt vmcnt(1)
	v_dual_add_f32 v11, v11, v3 :: v_dual_add_f32 v8, v8, v0
	v_dual_add_f32 v9, v9, v1 :: v_dual_add_f32 v10, v10, v2
	s_waitcnt vmcnt(0)
	v_dual_add_f32 v13, v13, v5 :: v_dual_add_f32 v12, v12, v4
	v_dual_add_f32 v15, v15, v7 :: v_dual_add_f32 v14, v14, v6
	s_cbranch_execnz .LBB160_6
.LBB160_5:
	v_dual_mov_b32 v15, v7 :: v_dual_mov_b32 v14, v6
	v_dual_mov_b32 v13, v5 :: v_dual_mov_b32 v12, v4
	;; [unrolled: 1-line block ×4, first 2 shown]
.LBB160_6:
	s_load_b128 s[4:7], s[0:1], 0x30
	v_cmp_eq_u32_e64 s2, 0, v17
	s_waitcnt lgkmcnt(0)
	s_bitcmp1_b32 s7, 0
	s_mov_b32 s7, 0
	s_cselect_b32 vcc_lo, -1, 0
	s_cmp_gt_i32 s4, 0
	s_cselect_b32 s3, -1, 0
	s_cmp_lt_i32 s4, 1
	s_cbranch_scc1 .LBB160_28
; %bb.7:
	s_load_b128 s[8:11], s[0:1], 0x20
	v_mul_lo_u32 v23, v16, s4
	v_mov_b32_e32 v22, 0
	v_mov_b32_e32 v24, v16
	s_branch .LBB160_10
.LBB160_8:                              ;   in Loop: Header=BB160_10 Depth=1
	s_or_b32 exec_lo, exec_lo, s1
.LBB160_9:                              ;   in Loop: Header=BB160_10 Depth=1
	v_add_nc_u32_e32 v24, s14, v24
	s_cmp_eq_u32 s4, s7
	s_cbranch_scc1 .LBB160_29
.LBB160_10:                             ; =>This Inner Loop Header: Depth=1
	v_cmp_gt_f32_e64 s0, v9, v8
	s_mov_b32 s17, exec_lo
	s_delay_alu instid0(VALU_DEP_1) | instskip(SKIP_2) | instid1(VALU_DEP_3)
	v_cndmask_b32_e64 v25, v8, v9, s0
	v_cndmask_b32_e64 v26, 0, 1, s0
	;; [unrolled: 1-line block ×3, first 2 shown]
	v_cmp_gt_f32_e64 s1, v10, v25
	s_delay_alu instid0(VALU_DEP_1) | instskip(NEXT) | instid1(VALU_DEP_4)
	v_cndmask_b32_e64 v25, v25, v10, s1
	v_cndmask_b32_e64 v26, v26, 2, s1
	s_delay_alu instid0(VALU_DEP_4) | instskip(NEXT) | instid1(VALU_DEP_3)
	v_cndmask_b32_e64 v27, v27, v2, s1
	v_cmp_gt_f32_e64 s0, v11, v25
	s_delay_alu instid0(VALU_DEP_1) | instskip(NEXT) | instid1(VALU_DEP_4)
	v_cndmask_b32_e64 v25, v25, v11, s0
	v_cndmask_b32_e64 v26, v26, 3, s0
	s_delay_alu instid0(VALU_DEP_4) | instskip(NEXT) | instid1(VALU_DEP_3)
	v_cndmask_b32_e64 v27, v27, v3, s0
	;; [unrolled: 6-line block ×4, first 2 shown]
	v_cmp_gt_f32_e64 s1, v14, v25
	s_delay_alu instid0(VALU_DEP_1) | instskip(NEXT) | instid1(VALU_DEP_4)
	v_cndmask_b32_e64 v25, v25, v14, s1
	v_cndmask_b32_e64 v26, v26, 6, s1
	s_waitcnt lgkmcnt(0)
	v_cndmask_b32_e64 v28, v27, v6, s1
	s_delay_alu instid0(VALU_DEP_3) | instskip(NEXT) | instid1(VALU_DEP_1)
	v_cmp_gt_f32_e64 s0, v15, v25
	v_cndmask_b32_e64 v27, v25, v15, s0
	v_cndmask_b32_e64 v25, v26, 7, s0
	s_delay_alu instid0(VALU_DEP_4)
	v_cndmask_b32_e64 v26, v28, v7, s0
	ds_bpermute_b32 v28, v18, v27
	v_or_b32_e32 v25, v21, v25
	ds_bpermute_b32 v30, v18, v26
	ds_bpermute_b32 v29, v18, v25
	s_waitcnt lgkmcnt(0)
	v_cmp_lt_f32_e64 s16, v27, v28
	v_cmpx_nlt_f32_e32 v27, v28
; %bb.11:                               ;   in Loop: Header=BB160_10 Depth=1
	v_cmp_eq_f32_e64 s0, v27, v28
	v_cmp_lt_i32_e64 s1, v29, v25
	s_delay_alu instid0(VALU_DEP_1) | instskip(SKIP_2) | instid1(SALU_CYCLE_1)
	s_and_b32 s0, s0, s1
	s_and_not1_b32 s1, s16, exec_lo
	s_and_b32 s0, s0, exec_lo
	s_or_b32 s16, s1, s0
; %bb.12:                               ;   in Loop: Header=BB160_10 Depth=1
	s_or_b32 exec_lo, exec_lo, s17
	s_and_saveexec_b32 s0, s16
; %bb.13:                               ;   in Loop: Header=BB160_10 Depth=1
	v_dual_mov_b32 v26, v30 :: v_dual_mov_b32 v27, v28
	v_mov_b32_e32 v25, v29
; %bb.14:                               ;   in Loop: Header=BB160_10 Depth=1
	s_or_b32 exec_lo, exec_lo, s0
	ds_bpermute_b32 v29, v19, v27
	ds_bpermute_b32 v30, v19, v26
	;; [unrolled: 1-line block ×3, first 2 shown]
	s_mov_b32 s17, exec_lo
	s_waitcnt lgkmcnt(2)
	v_cmp_lt_f32_e64 s16, v27, v29
	v_cmpx_nlt_f32_e32 v27, v29
	s_cbranch_execz .LBB160_16
; %bb.15:                               ;   in Loop: Header=BB160_10 Depth=1
	v_cmp_eq_f32_e64 s0, v27, v29
	s_waitcnt lgkmcnt(0)
	v_cmp_lt_i32_e64 s1, v28, v25
	s_delay_alu instid0(VALU_DEP_1) | instskip(SKIP_2) | instid1(SALU_CYCLE_1)
	s_and_b32 s0, s0, s1
	s_and_not1_b32 s1, s16, exec_lo
	s_and_b32 s0, s0, exec_lo
	s_or_b32 s16, s1, s0
.LBB160_16:                             ;   in Loop: Header=BB160_10 Depth=1
	s_or_b32 exec_lo, exec_lo, s17
	s_delay_alu instid0(VALU_DEP_2)
	s_and_saveexec_b32 s0, s16
	s_cbranch_execz .LBB160_18
; %bb.17:                               ;   in Loop: Header=BB160_10 Depth=1
	s_waitcnt lgkmcnt(1)
	v_dual_mov_b32 v26, v30 :: v_dual_mov_b32 v27, v29
	s_waitcnt lgkmcnt(0)
	v_mov_b32_e32 v25, v28
.LBB160_18:                             ;   in Loop: Header=BB160_10 Depth=1
	s_or_b32 exec_lo, exec_lo, s0
	s_waitcnt lgkmcnt(1)
	ds_bpermute_b32 v30, v20, v27
	ds_bpermute_b32 v29, v20, v26
	s_waitcnt lgkmcnt(2)
	ds_bpermute_b32 v28, v20, v25
	s_mov_b32 s17, exec_lo
	s_waitcnt lgkmcnt(2)
	v_cmp_lt_f32_e64 s16, v27, v30
	v_cmpx_nlt_f32_e32 v27, v30
	s_cbranch_execnz .LBB160_22
; %bb.19:                               ;   in Loop: Header=BB160_10 Depth=1
	s_or_b32 exec_lo, exec_lo, s17
	s_delay_alu instid0(VALU_DEP_2)
	s_and_saveexec_b32 s0, s16
	s_cbranch_execnz .LBB160_23
.LBB160_20:                             ;   in Loop: Header=BB160_10 Depth=1
	s_or_b32 exec_lo, exec_lo, s0
	s_and_saveexec_b32 s16, s2
	s_cbranch_execnz .LBB160_24
.LBB160_21:                             ;   in Loop: Header=BB160_10 Depth=1
	s_or_b32 exec_lo, exec_lo, s16
	s_add_i32 s7, s7, 1
	s_delay_alu instid0(SALU_CYCLE_1)
	s_cmp_ge_i32 s7, s4
	s_cbranch_scc1 .LBB160_9
	s_branch .LBB160_25
.LBB160_22:                             ;   in Loop: Header=BB160_10 Depth=1
	v_cmp_eq_f32_e64 s0, v27, v30
	s_waitcnt lgkmcnt(0)
	v_cmp_lt_i32_e64 s1, v28, v25
	s_delay_alu instid0(VALU_DEP_1) | instskip(SKIP_2) | instid1(SALU_CYCLE_1)
	s_and_b32 s0, s0, s1
	s_and_not1_b32 s1, s16, exec_lo
	s_and_b32 s0, s0, exec_lo
	s_or_b32 s16, s1, s0
	s_or_b32 exec_lo, exec_lo, s17
	s_and_saveexec_b32 s0, s16
	s_cbranch_execz .LBB160_20
.LBB160_23:                             ;   in Loop: Header=BB160_10 Depth=1
	s_waitcnt lgkmcnt(0)
	v_dual_mov_b32 v26, v29 :: v_dual_mov_b32 v25, v28
	s_or_b32 exec_lo, exec_lo, s0
	s_and_saveexec_b32 s16, s2
	s_cbranch_execz .LBB160_21
.LBB160_24:                             ;   in Loop: Header=BB160_10 Depth=1
	s_delay_alu instid0(VALU_DEP_1)
	v_dual_add_f32 v34, v22, v26 :: v_dual_add_nc_u32 v27, s7, v23
	v_cmp_le_i32_e64 s0, s5, v25
	v_cmp_gt_i32_e64 s1, s6, v25
	s_waitcnt lgkmcnt(1)
	v_subrev_nc_u32_e32 v29, s5, v25
	s_waitcnt lgkmcnt(0)
	v_ashrrev_i32_e32 v28, 31, v27
	v_cndmask_b32_e32 v22, v22, v34, vcc_lo
	s_and_b32 s0, s0, s1
	s_delay_alu instid0(SALU_CYCLE_1) | instskip(NEXT) | instid1(VALU_DEP_2)
	s_and_b32 s0, s15, s0
	v_lshlrev_b64 v[27:28], 2, v[27:28]
	v_cndmask_b32_e64 v33, 64, v29, s0
	s_delay_alu instid0(VALU_DEP_2) | instskip(NEXT) | instid1(VALU_DEP_1)
	v_add_co_u32 v29, s0, s12, v27
	v_add_co_ci_u32_e64 v30, s0, s13, v28, s0
	v_add_co_u32 v31, s0, s8, v27
	s_delay_alu instid0(VALU_DEP_1) | instskip(SKIP_1) | instid1(VALU_DEP_1)
	v_add_co_ci_u32_e64 v32, s0, s9, v28, s0
	v_add_co_u32 v27, s0, s10, v27
	v_add_co_ci_u32_e64 v28, s0, s11, v28, s0
	global_store_b32 v[29:30], v26, off
	global_store_b32 v[31:32], v33, off
	;; [unrolled: 1-line block ×3, first 2 shown]
	s_or_b32 exec_lo, exec_lo, s16
	s_add_i32 s7, s7, 1
	s_delay_alu instid0(SALU_CYCLE_1)
	s_cmp_ge_i32 s7, s4
	s_cbranch_scc1 .LBB160_9
.LBB160_25:                             ;   in Loop: Header=BB160_10 Depth=1
	v_ashrrev_i32_e32 v27, 31, v25
	s_mov_b32 s1, exec_lo
	s_delay_alu instid0(VALU_DEP_1) | instskip(NEXT) | instid1(VALU_DEP_1)
	v_lshrrev_b32_e32 v26, 29, v27
	v_add_nc_u32_e32 v26, v25, v26
	s_delay_alu instid0(VALU_DEP_1) | instskip(SKIP_1) | instid1(VALU_DEP_1)
	v_ashrrev_i32_e32 v26, 3, v26
	s_waitcnt lgkmcnt(0)
	v_lshrrev_b32_e32 v28, 29, v26
	s_delay_alu instid0(VALU_DEP_1) | instskip(NEXT) | instid1(VALU_DEP_1)
	v_add_nc_u32_e32 v28, v26, v28
	v_and_b32_e32 v28, -8, v28
	s_delay_alu instid0(VALU_DEP_1) | instskip(NEXT) | instid1(VALU_DEP_1)
	v_sub_nc_u32_e32 v28, v26, v28
	v_cmpx_eq_u32_e64 v17, v28
	s_cbranch_execz .LBB160_8
; %bb.26:                               ;   in Loop: Header=BB160_10 Depth=1
	v_lshrrev_b32_e32 v27, 26, v27
	v_lshlrev_b32_e32 v26, 3, v26
	s_delay_alu instid0(VALU_DEP_2) | instskip(NEXT) | instid1(VALU_DEP_2)
	v_add_nc_u32_e32 v27, v25, v27
	v_sub_nc_u32_e32 v25, v25, v26
	s_delay_alu instid0(VALU_DEP_2) | instskip(NEXT) | instid1(VALU_DEP_1)
	v_ashrrev_i32_e32 v26, 6, v27
	v_lshl_add_u32 v25, v26, 3, v25
	s_delay_alu instid0(VALU_DEP_1) | instskip(NEXT) | instid1(VALU_DEP_1)
	v_cmp_ne_u32_e64 s0, 7, v25
	v_cndmask_b32_e64 v15, 0xc61c4000, v15, s0
	v_cmp_ne_u32_e64 s0, 6, v25
	s_delay_alu instid0(VALU_DEP_1) | instskip(SKIP_1) | instid1(VALU_DEP_1)
	v_cndmask_b32_e64 v14, 0xc61c4000, v14, s0
	v_cmp_ne_u32_e64 s0, 5, v25
	v_cndmask_b32_e64 v13, 0xc61c4000, v13, s0
	v_cmp_ne_u32_e64 s0, 4, v25
	s_delay_alu instid0(VALU_DEP_1) | instskip(SKIP_1) | instid1(VALU_DEP_1)
	v_cndmask_b32_e64 v12, 0xc61c4000, v12, s0
	;; [unrolled: 5-line block ×3, first 2 shown]
	v_cmp_ne_u32_e64 s0, 1, v25
	v_cndmask_b32_e64 v9, 0xc61c4000, v9, s0
	v_cmp_ne_u32_e64 s0, 0, v25
	s_delay_alu instid0(VALU_DEP_1)
	v_cndmask_b32_e64 v8, 0xc61c4000, v8, s0
	s_branch .LBB160_8
.LBB160_27:
                                        ; implicit-def: $vgpr8_vgpr9_vgpr10_vgpr11_vgpr12_vgpr13_vgpr14_vgpr15
	s_and_not1_b32 vcc_lo, exec_lo, s8
	s_cbranch_vccz .LBB160_5
	s_branch .LBB160_6
.LBB160_28:
	v_mov_b32_e32 v22, 0
.LBB160_29:
	v_cmp_eq_u32_e64 s0, 0, v17
	s_delay_alu instid0(VALU_DEP_1) | instskip(NEXT) | instid1(SALU_CYCLE_1)
	s_and_b32 s0, s0, vcc_lo
	s_and_b32 exec_lo, exec_lo, s0
	s_cbranch_execz .LBB160_33
; %bb.30:
	s_and_not1_b32 vcc_lo, exec_lo, s3
	s_cbranch_vccnz .LBB160_33
; %bb.31:
	v_mul_lo_u32 v0, v16, s4
	v_cmp_lt_f32_e32 vcc_lo, 0, v22
	v_cndmask_b32_e32 v2, 1.0, v22, vcc_lo
	s_delay_alu instid0(VALU_DEP_3) | instskip(NEXT) | instid1(VALU_DEP_1)
	v_ashrrev_i32_e32 v1, 31, v0
	v_lshlrev_b64 v[0:1], 2, v[0:1]
	s_delay_alu instid0(VALU_DEP_1) | instskip(NEXT) | instid1(VALU_DEP_2)
	v_add_co_u32 v0, vcc_lo, s12, v0
	v_add_co_ci_u32_e32 v1, vcc_lo, s13, v1, vcc_lo
	.p2align	6
.LBB160_32:                             ; =>This Inner Loop Header: Depth=1
	global_load_b32 v3, v[0:1], off
	s_add_i32 s4, s4, -1
	s_delay_alu instid0(SALU_CYCLE_1) | instskip(SKIP_3) | instid1(VALU_DEP_2)
	s_cmp_lg_u32 s4, 0
	s_waitcnt vmcnt(0)
	v_div_scale_f32 v4, null, v2, v2, v3
	v_div_scale_f32 v7, vcc_lo, v3, v2, v3
	v_rcp_f32_e32 v5, v4
	s_waitcnt_depctr 0xfff
	v_fma_f32 v6, -v4, v5, 1.0
	s_delay_alu instid0(VALU_DEP_1) | instskip(NEXT) | instid1(VALU_DEP_1)
	v_fmac_f32_e32 v5, v6, v5
	v_mul_f32_e32 v6, v7, v5
	s_delay_alu instid0(VALU_DEP_1) | instskip(NEXT) | instid1(VALU_DEP_1)
	v_fma_f32 v8, -v4, v6, v7
	v_fmac_f32_e32 v6, v8, v5
	s_delay_alu instid0(VALU_DEP_1) | instskip(NEXT) | instid1(VALU_DEP_1)
	v_fma_f32 v4, -v4, v6, v7
	v_div_fmas_f32 v4, v4, v5, v6
	s_delay_alu instid0(VALU_DEP_1)
	v_div_fixup_f32 v3, v4, v2, v3
	global_store_b32 v[0:1], v3, off
	v_add_co_u32 v0, vcc_lo, v0, 4
	v_add_co_ci_u32_e32 v1, vcc_lo, 0, v1, vcc_lo
	s_cbranch_scc1 .LBB160_32
.LBB160_33:
	s_nop 0
	s_sendmsg sendmsg(MSG_DEALLOC_VGPRS)
	s_endpgm
	.section	.rodata,"a",@progbits
	.p2align	6, 0x0
	.amdhsa_kernel _ZN4vllm3moe10topkGatingILi8ELi64ELi4ELi16ELi64Ej14__hip_bfloat16LNS0_11ScoringFuncE0EEEvPKT5_PKbPfiPT4_PiiiibPKf
		.amdhsa_group_segment_fixed_size 0
		.amdhsa_private_segment_fixed_size 0
		.amdhsa_kernarg_size 72
		.amdhsa_user_sgpr_count 15
		.amdhsa_user_sgpr_dispatch_ptr 0
		.amdhsa_user_sgpr_queue_ptr 0
		.amdhsa_user_sgpr_kernarg_segment_ptr 1
		.amdhsa_user_sgpr_dispatch_id 0
		.amdhsa_user_sgpr_private_segment_size 0
		.amdhsa_wavefront_size32 1
		.amdhsa_uses_dynamic_stack 0
		.amdhsa_enable_private_segment 0
		.amdhsa_system_sgpr_workgroup_id_x 1
		.amdhsa_system_sgpr_workgroup_id_y 0
		.amdhsa_system_sgpr_workgroup_id_z 0
		.amdhsa_system_sgpr_workgroup_info 0
		.amdhsa_system_vgpr_workitem_id 1
		.amdhsa_next_free_vgpr 37
		.amdhsa_next_free_sgpr 18
		.amdhsa_reserve_vcc 1
		.amdhsa_float_round_mode_32 0
		.amdhsa_float_round_mode_16_64 0
		.amdhsa_float_denorm_mode_32 3
		.amdhsa_float_denorm_mode_16_64 3
		.amdhsa_dx10_clamp 1
		.amdhsa_ieee_mode 1
		.amdhsa_fp16_overflow 0
		.amdhsa_workgroup_processor_mode 1
		.amdhsa_memory_ordered 1
		.amdhsa_forward_progress 0
		.amdhsa_shared_vgpr_count 0
		.amdhsa_exception_fp_ieee_invalid_op 0
		.amdhsa_exception_fp_denorm_src 0
		.amdhsa_exception_fp_ieee_div_zero 0
		.amdhsa_exception_fp_ieee_overflow 0
		.amdhsa_exception_fp_ieee_underflow 0
		.amdhsa_exception_fp_ieee_inexact 0
		.amdhsa_exception_int_div_zero 0
	.end_amdhsa_kernel
	.section	.text._ZN4vllm3moe10topkGatingILi8ELi64ELi4ELi16ELi64Ej14__hip_bfloat16LNS0_11ScoringFuncE0EEEvPKT5_PKbPfiPT4_PiiiibPKf,"axG",@progbits,_ZN4vllm3moe10topkGatingILi8ELi64ELi4ELi16ELi64Ej14__hip_bfloat16LNS0_11ScoringFuncE0EEEvPKT5_PKbPfiPT4_PiiiibPKf,comdat
.Lfunc_end160:
	.size	_ZN4vllm3moe10topkGatingILi8ELi64ELi4ELi16ELi64Ej14__hip_bfloat16LNS0_11ScoringFuncE0EEEvPKT5_PKbPfiPT4_PiiiibPKf, .Lfunc_end160-_ZN4vllm3moe10topkGatingILi8ELi64ELi4ELi16ELi64Ej14__hip_bfloat16LNS0_11ScoringFuncE0EEEvPKT5_PKbPfiPT4_PiiiibPKf
                                        ; -- End function
	.section	.AMDGPU.csdata,"",@progbits
; Kernel info:
; codeLenInByte = 3180
; NumSgprs: 20
; NumVgprs: 37
; ScratchSize: 0
; MemoryBound: 0
; FloatMode: 240
; IeeeMode: 1
; LDSByteSize: 0 bytes/workgroup (compile time only)
; SGPRBlocks: 2
; VGPRBlocks: 4
; NumSGPRsForWavesPerEU: 20
; NumVGPRsForWavesPerEU: 37
; Occupancy: 16
; WaveLimiterHint : 0
; COMPUTE_PGM_RSRC2:SCRATCH_EN: 0
; COMPUTE_PGM_RSRC2:USER_SGPR: 15
; COMPUTE_PGM_RSRC2:TRAP_HANDLER: 0
; COMPUTE_PGM_RSRC2:TGID_X_EN: 1
; COMPUTE_PGM_RSRC2:TGID_Y_EN: 0
; COMPUTE_PGM_RSRC2:TGID_Z_EN: 0
; COMPUTE_PGM_RSRC2:TIDIG_COMP_CNT: 1
	.section	.text._ZN4vllm3moe10topkGatingILi8ELi64ELi4ELi16ELi32Ej14__hip_bfloat16LNS0_11ScoringFuncE0EEEvPKT5_PKbPfiPT4_PiiiibPKf,"axG",@progbits,_ZN4vllm3moe10topkGatingILi8ELi64ELi4ELi16ELi32Ej14__hip_bfloat16LNS0_11ScoringFuncE0EEEvPKT5_PKbPfiPT4_PiiiibPKf,comdat
	.protected	_ZN4vllm3moe10topkGatingILi8ELi64ELi4ELi16ELi32Ej14__hip_bfloat16LNS0_11ScoringFuncE0EEEvPKT5_PKbPfiPT4_PiiiibPKf ; -- Begin function _ZN4vllm3moe10topkGatingILi8ELi64ELi4ELi16ELi32Ej14__hip_bfloat16LNS0_11ScoringFuncE0EEEvPKT5_PKbPfiPT4_PiiiibPKf
	.globl	_ZN4vllm3moe10topkGatingILi8ELi64ELi4ELi16ELi32Ej14__hip_bfloat16LNS0_11ScoringFuncE0EEEvPKT5_PKbPfiPT4_PiiiibPKf
	.p2align	8
	.type	_ZN4vllm3moe10topkGatingILi8ELi64ELi4ELi16ELi32Ej14__hip_bfloat16LNS0_11ScoringFuncE0EEEvPKT5_PKbPfiPT4_PiiiibPKf,@function
_ZN4vllm3moe10topkGatingILi8ELi64ELi4ELi16ELi32Ej14__hip_bfloat16LNS0_11ScoringFuncE0EEEvPKT5_PKbPfiPT4_PiiiibPKf: ; @_ZN4vllm3moe10topkGatingILi8ELi64ELi4ELi16ELi32Ej14__hip_bfloat16LNS0_11ScoringFuncE0EEEvPKT5_PKbPfiPT4_PiiiibPKf
; %bb.0:
	s_load_b32 s14, s[0:1], 0x18
	v_bfe_u32 v1, v0, 10, 10
	v_and_b32_e32 v0, 0x3ff, v0
	s_lshl_b32 s2, s15, 4
	s_delay_alu instid0(VALU_DEP_2) | instskip(NEXT) | instid1(VALU_DEP_2)
	v_lshlrev_b32_e32 v1, 2, v1
	v_lshrrev_b32_e32 v2, 3, v0
	s_delay_alu instid0(VALU_DEP_1) | instskip(SKIP_2) | instid1(VALU_DEP_1)
	v_add3_u32 v16, s2, v1, v2
	s_mov_b32 s2, exec_lo
	s_waitcnt lgkmcnt(0)
	v_cmpx_gt_i32_e64 s14, v16
	s_cbranch_execz .LBB161_33
; %bb.1:
	s_clause 0x1
	s_load_b128 s[4:7], s[0:1], 0x0
	s_load_b64 s[12:13], s[0:1], 0x10
	s_mov_b32 s8, -1
	s_mov_b32 s15, -1
	s_waitcnt lgkmcnt(0)
	s_cmp_eq_u64 s[6:7], 0
	s_cbranch_scc1 .LBB161_3
; %bb.2:
	v_ashrrev_i32_e32 v2, 31, v16
	v_add_co_u32 v1, vcc_lo, s6, v16
	s_delay_alu instid0(VALU_DEP_2) | instskip(SKIP_3) | instid1(VALU_DEP_1)
	v_add_co_ci_u32_e32 v2, vcc_lo, s7, v2, vcc_lo
	global_load_u8 v1, v[1:2], off
	s_waitcnt vmcnt(0)
	v_and_b32_e32 v1, 1, v1
	v_cmp_eq_u32_e32 vcc_lo, 1, v1
	s_xor_b32 s2, vcc_lo, -1
	s_delay_alu instid0(SALU_CYCLE_1)
	s_or_not1_b32 s15, s2, exec_lo
.LBB161_3:
	v_lshlrev_b32_e32 v1, 6, v16
	v_and_b32_e32 v17, 7, v0
	v_mbcnt_lo_u32_b32 v5, -1, 0
	s_load_b64 s[2:3], s[0:1], 0x40
	s_delay_alu instid0(VALU_DEP_3) | instskip(NEXT) | instid1(VALU_DEP_2)
	v_ashrrev_i32_e32 v2, 31, v1
	v_xor_b32_e32 v9, 4, v5
	v_and_b32_e32 v8, 24, v5
	v_xor_b32_e32 v12, 2, v5
	s_delay_alu instid0(VALU_DEP_4) | instskip(SKIP_1) | instid1(VALU_DEP_2)
	v_lshlrev_b64 v[0:1], 1, v[1:2]
	v_lshlrev_b32_e32 v2, 4, v17
	v_add_co_u32 v0, vcc_lo, s4, v0
	s_delay_alu instid0(VALU_DEP_3) | instskip(NEXT) | instid1(VALU_DEP_2)
	v_add_co_ci_u32_e32 v1, vcc_lo, s5, v1, vcc_lo
	v_add_co_u32 v0, vcc_lo, v0, v2
	s_delay_alu instid0(VALU_DEP_2)
	v_add_co_ci_u32_e32 v1, vcc_lo, 0, v1, vcc_lo
	s_waitcnt lgkmcnt(0)
	s_cmp_eq_u64 s[2:3], 0
	global_load_b128 v[0:3], v[0:1], off
	s_waitcnt vmcnt(0)
	v_and_b32_e32 v4, 0xffff0000, v0
	v_lshlrev_b32_e32 v0, 16, v0
	v_lshlrev_b32_e32 v10, 16, v1
	s_delay_alu instid0(VALU_DEP_3) | instskip(NEXT) | instid1(VALU_DEP_3)
	v_dual_max_f32 v6, v4, v4 :: v_dual_and_b32 v1, 0xffff0000, v1
	v_max_f32_e32 v7, v0, v0
	s_delay_alu instid0(VALU_DEP_1) | instskip(SKIP_2) | instid1(VALU_DEP_3)
	v_dual_max_f32 v6, v7, v6 :: v_dual_add_nc_u32 v7, 8, v8
	v_lshlrev_b32_e32 v8, 16, v2
	v_and_b32_e32 v2, 0xffff0000, v2
	v_max3_f32 v6, v6, v10, v1
	s_delay_alu instid0(VALU_DEP_4) | instskip(NEXT) | instid1(VALU_DEP_2)
	v_cmp_lt_i32_e32 vcc_lo, v9, v7
	v_max3_f32 v6, v6, v8, v2
	v_cndmask_b32_e32 v9, v5, v9, vcc_lo
	v_cmp_lt_i32_e32 vcc_lo, v12, v7
	v_lshlrev_b32_e32 v11, 16, v3
	v_and_b32_e32 v3, 0xffff0000, v3
	s_delay_alu instid0(VALU_DEP_4) | instskip(SKIP_1) | instid1(VALU_DEP_3)
	v_lshlrev_b32_e32 v18, 2, v9
	v_cndmask_b32_e32 v12, v5, v12, vcc_lo
	v_max3_f32 v6, v6, v11, v3
	s_delay_alu instid0(VALU_DEP_2) | instskip(SKIP_4) | instid1(VALU_DEP_1)
	v_lshlrev_b32_e32 v19, 2, v12
	v_xor_b32_e32 v12, 1, v5
	ds_bpermute_b32 v9, v18, v6
	v_cmp_lt_i32_e32 vcc_lo, v12, v7
	v_cndmask_b32_e32 v5, v5, v12, vcc_lo
	v_lshlrev_b32_e32 v20, 2, v5
	s_waitcnt lgkmcnt(0)
	v_max_f32_e32 v9, v9, v9
	s_delay_alu instid0(VALU_DEP_1) | instskip(SKIP_3) | instid1(VALU_DEP_1)
	v_max_f32_e32 v6, v6, v9
	ds_bpermute_b32 v9, v19, v6
	s_waitcnt lgkmcnt(0)
	v_max_f32_e32 v7, v9, v9
	v_max_f32_e32 v5, v6, v7
	ds_bpermute_b32 v6, v20, v5
	s_waitcnt lgkmcnt(0)
	v_max_f32_e32 v6, v6, v6
	s_delay_alu instid0(VALU_DEP_1) | instskip(NEXT) | instid1(VALU_DEP_1)
	v_max_f32_e32 v5, v5, v6
	v_sub_f32_e32 v4, v4, v5
	v_sub_f32_e32 v6, v10, v5
	;; [unrolled: 1-line block ×4, first 2 shown]
	s_delay_alu instid0(VALU_DEP_4) | instskip(NEXT) | instid1(VALU_DEP_4)
	v_mul_f32_e32 v9, 0x3fb8aa3b, v4
	v_dual_sub_f32 v7, v8, v5 :: v_dual_mul_f32 v10, 0x3fb8aa3b, v6
	v_sub_f32_e32 v3, v3, v5
	v_cmp_ngt_f32_e32 vcc_lo, 0xc2ce8ed0, v0
	s_delay_alu instid0(VALU_DEP_4) | instskip(NEXT) | instid1(VALU_DEP_4)
	v_fma_f32 v23, 0x3fb8aa3b, v4, -v9
	v_mul_f32_e32 v12, 0x3fb8aa3b, v7
	s_delay_alu instid0(VALU_DEP_4) | instskip(SKIP_1) | instid1(VALU_DEP_3)
	v_dual_sub_f32 v2, v2, v5 :: v_dual_mul_f32 v15, 0x3fb8aa3b, v3
	v_dual_sub_f32 v8, v11, v5 :: v_dual_mul_f32 v5, 0x3fb8aa3b, v0
	v_fma_f32 v29, 0x3fb8aa3b, v7, -v12
	s_delay_alu instid0(VALU_DEP_3)
	v_mul_f32_e32 v13, 0x3fb8aa3b, v2
	v_rndne_f32_e32 v30, v12
	v_fma_f32 v25, 0x3fb8aa3b, v6, -v10
	v_fma_f32 v21, 0x3fb8aa3b, v0, -v5
	v_rndne_f32_e32 v22, v5
	v_rndne_f32_e32 v26, v10
	v_dual_fmac_f32 v23, 0x32a5705f, v4 :: v_dual_sub_f32 v12, v12, v30
	v_fmac_f32_e32 v29, 0x32a5705f, v7
	v_dual_mul_f32 v11, 0x3fb8aa3b, v1 :: v_dual_mul_f32 v14, 0x3fb8aa3b, v8
	v_rndne_f32_e32 v24, v9
	v_dual_fmac_f32 v21, 0x32a5705f, v0 :: v_dual_sub_f32 v10, v10, v26
	s_delay_alu instid0(VALU_DEP_4) | instskip(SKIP_2) | instid1(VALU_DEP_3)
	v_dual_fmac_f32 v25, 0x32a5705f, v6 :: v_dual_add_f32 v12, v12, v29
	v_sub_f32_e32 v5, v5, v22
	v_rndne_f32_e32 v34, v14
	v_dual_sub_f32 v9, v9, v24 :: v_dual_add_f32 v10, v10, v25
	v_fma_f32 v33, 0x3fb8aa3b, v8, -v14
	s_delay_alu instid0(VALU_DEP_3) | instskip(NEXT) | instid1(VALU_DEP_3)
	v_dual_add_f32 v5, v5, v21 :: v_dual_sub_f32 v14, v14, v34
	v_add_f32_e32 v9, v9, v23
	v_cvt_i32_f32_e32 v22, v22
	v_cvt_i32_f32_e32 v24, v24
	s_delay_alu instid0(VALU_DEP_4)
	v_exp_f32_e32 v5, v5
	v_exp_f32_e32 v10, v10
	;; [unrolled: 1-line block ×3, first 2 shown]
	v_fma_f32 v27, 0x3fb8aa3b, v1, -v11
	v_rndne_f32_e32 v28, v11
	v_cvt_i32_f32_e32 v26, v26
	v_fmac_f32_e32 v33, 0x32a5705f, v8
	v_rndne_f32_e32 v32, v13
	v_fma_f32 v31, 0x3fb8aa3b, v2, -v13
	v_sub_f32_e32 v11, v11, v28
	v_ldexp_f32 v5, v5, v22
	v_add_f32_e32 v14, v14, v33
	v_ldexp_f32 v9, v9, v24
	v_ldexp_f32 v10, v10, v26
	v_rndne_f32_e32 v36, v15
	v_cndmask_b32_e32 v5, 0, v5, vcc_lo
	v_cmp_ngt_f32_e32 vcc_lo, 0xc2ce8ed0, v4
	v_cvt_i32_f32_e32 v28, v28
	v_fma_f32 v35, 0x3fb8aa3b, v3, -v15
	v_exp_f32_e32 v12, v12
	v_cvt_i32_f32_e32 v30, v30
	v_cndmask_b32_e32 v9, 0, v9, vcc_lo
	v_cmp_ngt_f32_e32 vcc_lo, 0xc2ce8ed0, v6
	v_fmac_f32_e32 v27, 0x32a5705f, v1
	v_fmac_f32_e32 v35, 0x32a5705f, v3
	v_exp_f32_e32 v14, v14
	v_cvt_i32_f32_e32 v21, v34
	s_delay_alu instid0(VALU_DEP_3)
	v_dual_cndmask_b32 v10, 0, v10 :: v_dual_add_f32 v11, v11, v27
	v_cmp_nlt_f32_e32 vcc_lo, 0x42b17218, v0
	v_sub_f32_e32 v13, v13, v32
	v_ldexp_f32 v12, v12, v30
	v_cvt_i32_f32_e32 v32, v32
	v_exp_f32_e32 v11, v11
	v_cndmask_b32_e32 v0, 0x7f800000, v5, vcc_lo
	v_cmp_nlt_f32_e32 vcc_lo, 0x42b17218, v4
	v_fmac_f32_e32 v31, 0x32a5705f, v2
	v_sub_f32_e32 v15, v15, v36
	v_ldexp_f32 v14, v14, v21
	v_cvt_i32_f32_e32 v23, v36
	v_cndmask_b32_e32 v4, 0x7f800000, v9, vcc_lo
	v_cmp_ngt_f32_e32 vcc_lo, 0xc2ce8ed0, v1
	v_add_f32_e32 v13, v13, v31
	v_ldexp_f32 v11, v11, v28
	v_add_f32_e32 v15, v15, v35
	v_add_f32_e32 v9, v0, v4
	v_lshlrev_b32_e32 v21, 3, v17
	v_exp_f32_e32 v13, v13
	v_cndmask_b32_e32 v5, 0, v11, vcc_lo
	v_cmp_nlt_f32_e32 vcc_lo, 0x42b17218, v6
	v_exp_f32_e32 v15, v15
	v_cndmask_b32_e32 v6, 0x7f800000, v10, vcc_lo
	v_cmp_ngt_f32_e32 vcc_lo, 0xc2ce8ed0, v7
	s_waitcnt_depctr 0xfff
	v_ldexp_f32 v13, v13, v32
	v_cndmask_b32_e32 v10, 0, v12, vcc_lo
	v_cmp_nlt_f32_e32 vcc_lo, 0x42b17218, v1
	v_ldexp_f32 v15, v15, v23
	v_cndmask_b32_e32 v1, 0x7f800000, v5, vcc_lo
	v_cmp_ngt_f32_e32 vcc_lo, 0xc2ce8ed0, v2
	v_add_f32_e32 v5, v9, v6
	v_cndmask_b32_e32 v9, 0, v13, vcc_lo
	v_cmp_nlt_f32_e32 vcc_lo, 0x42b17218, v7
	s_delay_alu instid0(VALU_DEP_3) | instskip(SKIP_2) | instid1(VALU_DEP_2)
	v_add_f32_e32 v5, v5, v1
	v_cndmask_b32_e32 v7, 0x7f800000, v10, vcc_lo
	v_cmp_ngt_f32_e32 vcc_lo, 0xc2ce8ed0, v8
	v_dual_add_f32 v5, v5, v7 :: v_dual_cndmask_b32 v10, 0, v14
	v_cmp_nlt_f32_e32 vcc_lo, 0x42b17218, v2
	v_cndmask_b32_e32 v2, 0x7f800000, v9, vcc_lo
	v_cmp_ngt_f32_e32 vcc_lo, 0xc2ce8ed0, v3
	s_delay_alu instid0(VALU_DEP_2) | instskip(SKIP_4) | instid1(VALU_DEP_2)
	v_add_f32_e32 v5, v5, v2
	v_cndmask_b32_e32 v9, 0, v15, vcc_lo
	v_cmp_nlt_f32_e32 vcc_lo, 0x42b17218, v8
	v_cndmask_b32_e32 v8, 0x7f800000, v10, vcc_lo
	v_cmp_nlt_f32_e32 vcc_lo, 0x42b17218, v3
	v_add_f32_e32 v5, v5, v8
	v_cndmask_b32_e32 v3, 0x7f800000, v9, vcc_lo
	s_delay_alu instid0(VALU_DEP_1)
	v_add_f32_e32 v5, v5, v3
	ds_bpermute_b32 v9, v18, v5
	s_waitcnt lgkmcnt(0)
	v_add_f32_e32 v5, v5, v9
	ds_bpermute_b32 v9, v19, v5
	s_waitcnt lgkmcnt(0)
	;; [unrolled: 3-line block ×3, first 2 shown]
	v_add_f32_e32 v5, v5, v9
	s_delay_alu instid0(VALU_DEP_1) | instskip(SKIP_1) | instid1(VALU_DEP_2)
	v_div_scale_f32 v9, null, v5, v5, 1.0
	v_div_scale_f32 v12, vcc_lo, 1.0, v5, 1.0
	v_rcp_f32_e32 v10, v9
	s_waitcnt_depctr 0xfff
	v_fma_f32 v11, -v9, v10, 1.0
	s_delay_alu instid0(VALU_DEP_1) | instskip(NEXT) | instid1(VALU_DEP_1)
	v_fmac_f32_e32 v10, v11, v10
	v_mul_f32_e32 v11, v12, v10
	s_delay_alu instid0(VALU_DEP_1) | instskip(NEXT) | instid1(VALU_DEP_1)
	v_fma_f32 v13, -v9, v11, v12
	v_fmac_f32_e32 v11, v13, v10
	s_delay_alu instid0(VALU_DEP_1) | instskip(NEXT) | instid1(VALU_DEP_1)
	v_fma_f32 v9, -v9, v11, v12
	v_div_fmas_f32 v9, v9, v10, v11
	s_delay_alu instid0(VALU_DEP_1) | instskip(NEXT) | instid1(VALU_DEP_1)
	v_div_fixup_f32 v5, v9, v5, 1.0
	v_mul_f32_e32 v0, v5, v0
	v_mul_f32_e32 v4, v5, v4
	;; [unrolled: 1-line block ×5, first 2 shown]
	v_cmp_class_f32_e64 vcc_lo, v0, 0x1f8
	v_mul_f32_e32 v7, v5, v7
	v_mul_f32_e32 v10, v5, v2
	v_dual_mul_f32 v11, v5, v3 :: v_dual_cndmask_b32 v0, 0, v0
	v_cmp_class_f32_e64 vcc_lo, v4, 0x1f8
	v_cndmask_b32_e32 v1, 0, v4, vcc_lo
	v_cmp_class_f32_e64 vcc_lo, v6, 0x1f8
	v_cndmask_b32_e32 v2, 0, v6, vcc_lo
	;; [unrolled: 2-line block ×7, first 2 shown]
	s_cbranch_scc1 .LBB161_27
; %bb.4:
	v_lshlrev_b32_e32 v12, 2, v21
	s_clause 0x1
	global_load_b128 v[8:11], v12, s[2:3]
	global_load_b128 v[12:15], v12, s[2:3] offset:16
	s_waitcnt vmcnt(1)
	v_dual_add_f32 v11, v11, v3 :: v_dual_add_f32 v8, v8, v0
	v_dual_add_f32 v9, v9, v1 :: v_dual_add_f32 v10, v10, v2
	s_waitcnt vmcnt(0)
	v_dual_add_f32 v13, v13, v5 :: v_dual_add_f32 v12, v12, v4
	v_dual_add_f32 v15, v15, v7 :: v_dual_add_f32 v14, v14, v6
	s_cbranch_execnz .LBB161_6
.LBB161_5:
	v_dual_mov_b32 v15, v7 :: v_dual_mov_b32 v14, v6
	v_dual_mov_b32 v13, v5 :: v_dual_mov_b32 v12, v4
	;; [unrolled: 1-line block ×4, first 2 shown]
.LBB161_6:
	s_load_b128 s[4:7], s[0:1], 0x30
	v_cmp_eq_u32_e64 s2, 0, v17
	s_waitcnt lgkmcnt(0)
	s_bitcmp1_b32 s7, 0
	s_mov_b32 s7, 0
	s_cselect_b32 vcc_lo, -1, 0
	s_cmp_gt_i32 s4, 0
	s_cselect_b32 s3, -1, 0
	s_cmp_lt_i32 s4, 1
	s_cbranch_scc1 .LBB161_28
; %bb.7:
	s_load_b128 s[8:11], s[0:1], 0x20
	v_mul_lo_u32 v23, v16, s4
	v_mov_b32_e32 v22, 0
	v_mov_b32_e32 v24, v16
	s_branch .LBB161_10
.LBB161_8:                              ;   in Loop: Header=BB161_10 Depth=1
	s_or_b32 exec_lo, exec_lo, s1
.LBB161_9:                              ;   in Loop: Header=BB161_10 Depth=1
	v_add_nc_u32_e32 v24, s14, v24
	s_cmp_eq_u32 s4, s7
	s_cbranch_scc1 .LBB161_29
.LBB161_10:                             ; =>This Inner Loop Header: Depth=1
	v_cmp_gt_f32_e64 s0, v9, v8
	s_mov_b32 s17, exec_lo
	s_delay_alu instid0(VALU_DEP_1) | instskip(SKIP_2) | instid1(VALU_DEP_3)
	v_cndmask_b32_e64 v25, v8, v9, s0
	v_cndmask_b32_e64 v26, 0, 1, s0
	;; [unrolled: 1-line block ×3, first 2 shown]
	v_cmp_gt_f32_e64 s1, v10, v25
	s_delay_alu instid0(VALU_DEP_1) | instskip(NEXT) | instid1(VALU_DEP_4)
	v_cndmask_b32_e64 v25, v25, v10, s1
	v_cndmask_b32_e64 v26, v26, 2, s1
	s_delay_alu instid0(VALU_DEP_4) | instskip(NEXT) | instid1(VALU_DEP_3)
	v_cndmask_b32_e64 v27, v27, v2, s1
	v_cmp_gt_f32_e64 s0, v11, v25
	s_delay_alu instid0(VALU_DEP_1) | instskip(NEXT) | instid1(VALU_DEP_4)
	v_cndmask_b32_e64 v25, v25, v11, s0
	v_cndmask_b32_e64 v26, v26, 3, s0
	s_delay_alu instid0(VALU_DEP_4) | instskip(NEXT) | instid1(VALU_DEP_3)
	v_cndmask_b32_e64 v27, v27, v3, s0
	;; [unrolled: 6-line block ×4, first 2 shown]
	v_cmp_gt_f32_e64 s1, v14, v25
	s_delay_alu instid0(VALU_DEP_1) | instskip(NEXT) | instid1(VALU_DEP_4)
	v_cndmask_b32_e64 v25, v25, v14, s1
	v_cndmask_b32_e64 v26, v26, 6, s1
	s_waitcnt lgkmcnt(0)
	v_cndmask_b32_e64 v28, v27, v6, s1
	s_delay_alu instid0(VALU_DEP_3) | instskip(NEXT) | instid1(VALU_DEP_1)
	v_cmp_gt_f32_e64 s0, v15, v25
	v_cndmask_b32_e64 v27, v25, v15, s0
	v_cndmask_b32_e64 v25, v26, 7, s0
	s_delay_alu instid0(VALU_DEP_4)
	v_cndmask_b32_e64 v26, v28, v7, s0
	ds_bpermute_b32 v28, v18, v27
	v_or_b32_e32 v25, v21, v25
	ds_bpermute_b32 v30, v18, v26
	ds_bpermute_b32 v29, v18, v25
	s_waitcnt lgkmcnt(0)
	v_cmp_lt_f32_e64 s16, v27, v28
	v_cmpx_nlt_f32_e32 v27, v28
; %bb.11:                               ;   in Loop: Header=BB161_10 Depth=1
	v_cmp_eq_f32_e64 s0, v27, v28
	v_cmp_lt_i32_e64 s1, v29, v25
	s_delay_alu instid0(VALU_DEP_1) | instskip(SKIP_2) | instid1(SALU_CYCLE_1)
	s_and_b32 s0, s0, s1
	s_and_not1_b32 s1, s16, exec_lo
	s_and_b32 s0, s0, exec_lo
	s_or_b32 s16, s1, s0
; %bb.12:                               ;   in Loop: Header=BB161_10 Depth=1
	s_or_b32 exec_lo, exec_lo, s17
	s_and_saveexec_b32 s0, s16
; %bb.13:                               ;   in Loop: Header=BB161_10 Depth=1
	v_dual_mov_b32 v26, v30 :: v_dual_mov_b32 v27, v28
	v_mov_b32_e32 v25, v29
; %bb.14:                               ;   in Loop: Header=BB161_10 Depth=1
	s_or_b32 exec_lo, exec_lo, s0
	ds_bpermute_b32 v29, v19, v27
	ds_bpermute_b32 v30, v19, v26
	;; [unrolled: 1-line block ×3, first 2 shown]
	s_mov_b32 s17, exec_lo
	s_waitcnt lgkmcnt(2)
	v_cmp_lt_f32_e64 s16, v27, v29
	v_cmpx_nlt_f32_e32 v27, v29
	s_cbranch_execz .LBB161_16
; %bb.15:                               ;   in Loop: Header=BB161_10 Depth=1
	v_cmp_eq_f32_e64 s0, v27, v29
	s_waitcnt lgkmcnt(0)
	v_cmp_lt_i32_e64 s1, v28, v25
	s_delay_alu instid0(VALU_DEP_1) | instskip(SKIP_2) | instid1(SALU_CYCLE_1)
	s_and_b32 s0, s0, s1
	s_and_not1_b32 s1, s16, exec_lo
	s_and_b32 s0, s0, exec_lo
	s_or_b32 s16, s1, s0
.LBB161_16:                             ;   in Loop: Header=BB161_10 Depth=1
	s_or_b32 exec_lo, exec_lo, s17
	s_delay_alu instid0(VALU_DEP_2)
	s_and_saveexec_b32 s0, s16
	s_cbranch_execz .LBB161_18
; %bb.17:                               ;   in Loop: Header=BB161_10 Depth=1
	s_waitcnt lgkmcnt(1)
	v_dual_mov_b32 v26, v30 :: v_dual_mov_b32 v27, v29
	s_waitcnt lgkmcnt(0)
	v_mov_b32_e32 v25, v28
.LBB161_18:                             ;   in Loop: Header=BB161_10 Depth=1
	s_or_b32 exec_lo, exec_lo, s0
	s_waitcnt lgkmcnt(1)
	ds_bpermute_b32 v30, v20, v27
	ds_bpermute_b32 v29, v20, v26
	s_waitcnt lgkmcnt(2)
	ds_bpermute_b32 v28, v20, v25
	s_mov_b32 s17, exec_lo
	s_waitcnt lgkmcnt(2)
	v_cmp_lt_f32_e64 s16, v27, v30
	v_cmpx_nlt_f32_e32 v27, v30
	s_cbranch_execnz .LBB161_22
; %bb.19:                               ;   in Loop: Header=BB161_10 Depth=1
	s_or_b32 exec_lo, exec_lo, s17
	s_delay_alu instid0(VALU_DEP_2)
	s_and_saveexec_b32 s0, s16
	s_cbranch_execnz .LBB161_23
.LBB161_20:                             ;   in Loop: Header=BB161_10 Depth=1
	s_or_b32 exec_lo, exec_lo, s0
	s_and_saveexec_b32 s16, s2
	s_cbranch_execnz .LBB161_24
.LBB161_21:                             ;   in Loop: Header=BB161_10 Depth=1
	s_or_b32 exec_lo, exec_lo, s16
	s_add_i32 s7, s7, 1
	s_delay_alu instid0(SALU_CYCLE_1)
	s_cmp_ge_i32 s7, s4
	s_cbranch_scc1 .LBB161_9
	s_branch .LBB161_25
.LBB161_22:                             ;   in Loop: Header=BB161_10 Depth=1
	v_cmp_eq_f32_e64 s0, v27, v30
	s_waitcnt lgkmcnt(0)
	v_cmp_lt_i32_e64 s1, v28, v25
	s_delay_alu instid0(VALU_DEP_1) | instskip(SKIP_2) | instid1(SALU_CYCLE_1)
	s_and_b32 s0, s0, s1
	s_and_not1_b32 s1, s16, exec_lo
	s_and_b32 s0, s0, exec_lo
	s_or_b32 s16, s1, s0
	s_or_b32 exec_lo, exec_lo, s17
	s_and_saveexec_b32 s0, s16
	s_cbranch_execz .LBB161_20
.LBB161_23:                             ;   in Loop: Header=BB161_10 Depth=1
	s_waitcnt lgkmcnt(0)
	v_dual_mov_b32 v26, v29 :: v_dual_mov_b32 v25, v28
	s_or_b32 exec_lo, exec_lo, s0
	s_and_saveexec_b32 s16, s2
	s_cbranch_execz .LBB161_21
.LBB161_24:                             ;   in Loop: Header=BB161_10 Depth=1
	s_delay_alu instid0(VALU_DEP_1)
	v_dual_add_f32 v34, v22, v26 :: v_dual_add_nc_u32 v27, s7, v23
	v_cmp_le_i32_e64 s0, s5, v25
	v_cmp_gt_i32_e64 s1, s6, v25
	s_waitcnt lgkmcnt(1)
	v_subrev_nc_u32_e32 v29, s5, v25
	s_waitcnt lgkmcnt(0)
	v_ashrrev_i32_e32 v28, 31, v27
	v_cndmask_b32_e32 v22, v22, v34, vcc_lo
	s_and_b32 s0, s0, s1
	s_delay_alu instid0(SALU_CYCLE_1) | instskip(NEXT) | instid1(VALU_DEP_2)
	s_and_b32 s0, s15, s0
	v_lshlrev_b64 v[27:28], 2, v[27:28]
	v_cndmask_b32_e64 v33, 64, v29, s0
	s_delay_alu instid0(VALU_DEP_2) | instskip(NEXT) | instid1(VALU_DEP_1)
	v_add_co_u32 v29, s0, s12, v27
	v_add_co_ci_u32_e64 v30, s0, s13, v28, s0
	v_add_co_u32 v31, s0, s8, v27
	s_delay_alu instid0(VALU_DEP_1) | instskip(SKIP_1) | instid1(VALU_DEP_1)
	v_add_co_ci_u32_e64 v32, s0, s9, v28, s0
	v_add_co_u32 v27, s0, s10, v27
	v_add_co_ci_u32_e64 v28, s0, s11, v28, s0
	global_store_b32 v[29:30], v26, off
	global_store_b32 v[31:32], v33, off
	;; [unrolled: 1-line block ×3, first 2 shown]
	s_or_b32 exec_lo, exec_lo, s16
	s_add_i32 s7, s7, 1
	s_delay_alu instid0(SALU_CYCLE_1)
	s_cmp_ge_i32 s7, s4
	s_cbranch_scc1 .LBB161_9
.LBB161_25:                             ;   in Loop: Header=BB161_10 Depth=1
	v_ashrrev_i32_e32 v27, 31, v25
	s_mov_b32 s1, exec_lo
	s_delay_alu instid0(VALU_DEP_1) | instskip(NEXT) | instid1(VALU_DEP_1)
	v_lshrrev_b32_e32 v26, 29, v27
	v_add_nc_u32_e32 v26, v25, v26
	s_delay_alu instid0(VALU_DEP_1) | instskip(SKIP_1) | instid1(VALU_DEP_1)
	v_ashrrev_i32_e32 v26, 3, v26
	s_waitcnt lgkmcnt(0)
	v_lshrrev_b32_e32 v28, 29, v26
	s_delay_alu instid0(VALU_DEP_1) | instskip(NEXT) | instid1(VALU_DEP_1)
	v_add_nc_u32_e32 v28, v26, v28
	v_and_b32_e32 v28, -8, v28
	s_delay_alu instid0(VALU_DEP_1) | instskip(NEXT) | instid1(VALU_DEP_1)
	v_sub_nc_u32_e32 v28, v26, v28
	v_cmpx_eq_u32_e64 v17, v28
	s_cbranch_execz .LBB161_8
; %bb.26:                               ;   in Loop: Header=BB161_10 Depth=1
	v_lshrrev_b32_e32 v27, 26, v27
	v_lshlrev_b32_e32 v26, 3, v26
	s_delay_alu instid0(VALU_DEP_2) | instskip(NEXT) | instid1(VALU_DEP_2)
	v_add_nc_u32_e32 v27, v25, v27
	v_sub_nc_u32_e32 v25, v25, v26
	s_delay_alu instid0(VALU_DEP_2) | instskip(NEXT) | instid1(VALU_DEP_1)
	v_ashrrev_i32_e32 v26, 6, v27
	v_lshl_add_u32 v25, v26, 3, v25
	s_delay_alu instid0(VALU_DEP_1) | instskip(NEXT) | instid1(VALU_DEP_1)
	v_cmp_ne_u32_e64 s0, 7, v25
	v_cndmask_b32_e64 v15, 0xc61c4000, v15, s0
	v_cmp_ne_u32_e64 s0, 6, v25
	s_delay_alu instid0(VALU_DEP_1) | instskip(SKIP_1) | instid1(VALU_DEP_1)
	v_cndmask_b32_e64 v14, 0xc61c4000, v14, s0
	v_cmp_ne_u32_e64 s0, 5, v25
	v_cndmask_b32_e64 v13, 0xc61c4000, v13, s0
	v_cmp_ne_u32_e64 s0, 4, v25
	s_delay_alu instid0(VALU_DEP_1) | instskip(SKIP_1) | instid1(VALU_DEP_1)
	v_cndmask_b32_e64 v12, 0xc61c4000, v12, s0
	;; [unrolled: 5-line block ×3, first 2 shown]
	v_cmp_ne_u32_e64 s0, 1, v25
	v_cndmask_b32_e64 v9, 0xc61c4000, v9, s0
	v_cmp_ne_u32_e64 s0, 0, v25
	s_delay_alu instid0(VALU_DEP_1)
	v_cndmask_b32_e64 v8, 0xc61c4000, v8, s0
	s_branch .LBB161_8
.LBB161_27:
                                        ; implicit-def: $vgpr8_vgpr9_vgpr10_vgpr11_vgpr12_vgpr13_vgpr14_vgpr15
	s_and_not1_b32 vcc_lo, exec_lo, s8
	s_cbranch_vccz .LBB161_5
	s_branch .LBB161_6
.LBB161_28:
	v_mov_b32_e32 v22, 0
.LBB161_29:
	v_cmp_eq_u32_e64 s0, 0, v17
	s_delay_alu instid0(VALU_DEP_1) | instskip(NEXT) | instid1(SALU_CYCLE_1)
	s_and_b32 s0, s0, vcc_lo
	s_and_b32 exec_lo, exec_lo, s0
	s_cbranch_execz .LBB161_33
; %bb.30:
	s_and_not1_b32 vcc_lo, exec_lo, s3
	s_cbranch_vccnz .LBB161_33
; %bb.31:
	v_mul_lo_u32 v0, v16, s4
	v_cmp_lt_f32_e32 vcc_lo, 0, v22
	v_cndmask_b32_e32 v2, 1.0, v22, vcc_lo
	s_delay_alu instid0(VALU_DEP_3) | instskip(NEXT) | instid1(VALU_DEP_1)
	v_ashrrev_i32_e32 v1, 31, v0
	v_lshlrev_b64 v[0:1], 2, v[0:1]
	s_delay_alu instid0(VALU_DEP_1) | instskip(NEXT) | instid1(VALU_DEP_2)
	v_add_co_u32 v0, vcc_lo, s12, v0
	v_add_co_ci_u32_e32 v1, vcc_lo, s13, v1, vcc_lo
	.p2align	6
.LBB161_32:                             ; =>This Inner Loop Header: Depth=1
	global_load_b32 v3, v[0:1], off
	s_add_i32 s4, s4, -1
	s_delay_alu instid0(SALU_CYCLE_1) | instskip(SKIP_3) | instid1(VALU_DEP_2)
	s_cmp_lg_u32 s4, 0
	s_waitcnt vmcnt(0)
	v_div_scale_f32 v4, null, v2, v2, v3
	v_div_scale_f32 v7, vcc_lo, v3, v2, v3
	v_rcp_f32_e32 v5, v4
	s_waitcnt_depctr 0xfff
	v_fma_f32 v6, -v4, v5, 1.0
	s_delay_alu instid0(VALU_DEP_1) | instskip(NEXT) | instid1(VALU_DEP_1)
	v_fmac_f32_e32 v5, v6, v5
	v_mul_f32_e32 v6, v7, v5
	s_delay_alu instid0(VALU_DEP_1) | instskip(NEXT) | instid1(VALU_DEP_1)
	v_fma_f32 v8, -v4, v6, v7
	v_fmac_f32_e32 v6, v8, v5
	s_delay_alu instid0(VALU_DEP_1) | instskip(NEXT) | instid1(VALU_DEP_1)
	v_fma_f32 v4, -v4, v6, v7
	v_div_fmas_f32 v4, v4, v5, v6
	s_delay_alu instid0(VALU_DEP_1)
	v_div_fixup_f32 v3, v4, v2, v3
	global_store_b32 v[0:1], v3, off
	v_add_co_u32 v0, vcc_lo, v0, 4
	v_add_co_ci_u32_e32 v1, vcc_lo, 0, v1, vcc_lo
	s_cbranch_scc1 .LBB161_32
.LBB161_33:
	s_nop 0
	s_sendmsg sendmsg(MSG_DEALLOC_VGPRS)
	s_endpgm
	.section	.rodata,"a",@progbits
	.p2align	6, 0x0
	.amdhsa_kernel _ZN4vllm3moe10topkGatingILi8ELi64ELi4ELi16ELi32Ej14__hip_bfloat16LNS0_11ScoringFuncE0EEEvPKT5_PKbPfiPT4_PiiiibPKf
		.amdhsa_group_segment_fixed_size 0
		.amdhsa_private_segment_fixed_size 0
		.amdhsa_kernarg_size 72
		.amdhsa_user_sgpr_count 15
		.amdhsa_user_sgpr_dispatch_ptr 0
		.amdhsa_user_sgpr_queue_ptr 0
		.amdhsa_user_sgpr_kernarg_segment_ptr 1
		.amdhsa_user_sgpr_dispatch_id 0
		.amdhsa_user_sgpr_private_segment_size 0
		.amdhsa_wavefront_size32 1
		.amdhsa_uses_dynamic_stack 0
		.amdhsa_enable_private_segment 0
		.amdhsa_system_sgpr_workgroup_id_x 1
		.amdhsa_system_sgpr_workgroup_id_y 0
		.amdhsa_system_sgpr_workgroup_id_z 0
		.amdhsa_system_sgpr_workgroup_info 0
		.amdhsa_system_vgpr_workitem_id 1
		.amdhsa_next_free_vgpr 37
		.amdhsa_next_free_sgpr 18
		.amdhsa_reserve_vcc 1
		.amdhsa_float_round_mode_32 0
		.amdhsa_float_round_mode_16_64 0
		.amdhsa_float_denorm_mode_32 3
		.amdhsa_float_denorm_mode_16_64 3
		.amdhsa_dx10_clamp 1
		.amdhsa_ieee_mode 1
		.amdhsa_fp16_overflow 0
		.amdhsa_workgroup_processor_mode 1
		.amdhsa_memory_ordered 1
		.amdhsa_forward_progress 0
		.amdhsa_shared_vgpr_count 0
		.amdhsa_exception_fp_ieee_invalid_op 0
		.amdhsa_exception_fp_denorm_src 0
		.amdhsa_exception_fp_ieee_div_zero 0
		.amdhsa_exception_fp_ieee_overflow 0
		.amdhsa_exception_fp_ieee_underflow 0
		.amdhsa_exception_fp_ieee_inexact 0
		.amdhsa_exception_int_div_zero 0
	.end_amdhsa_kernel
	.section	.text._ZN4vllm3moe10topkGatingILi8ELi64ELi4ELi16ELi32Ej14__hip_bfloat16LNS0_11ScoringFuncE0EEEvPKT5_PKbPfiPT4_PiiiibPKf,"axG",@progbits,_ZN4vllm3moe10topkGatingILi8ELi64ELi4ELi16ELi32Ej14__hip_bfloat16LNS0_11ScoringFuncE0EEEvPKT5_PKbPfiPT4_PiiiibPKf,comdat
.Lfunc_end161:
	.size	_ZN4vllm3moe10topkGatingILi8ELi64ELi4ELi16ELi32Ej14__hip_bfloat16LNS0_11ScoringFuncE0EEEvPKT5_PKbPfiPT4_PiiiibPKf, .Lfunc_end161-_ZN4vllm3moe10topkGatingILi8ELi64ELi4ELi16ELi32Ej14__hip_bfloat16LNS0_11ScoringFuncE0EEEvPKT5_PKbPfiPT4_PiiiibPKf
                                        ; -- End function
	.section	.AMDGPU.csdata,"",@progbits
; Kernel info:
; codeLenInByte = 3180
; NumSgprs: 20
; NumVgprs: 37
; ScratchSize: 0
; MemoryBound: 0
; FloatMode: 240
; IeeeMode: 1
; LDSByteSize: 0 bytes/workgroup (compile time only)
; SGPRBlocks: 2
; VGPRBlocks: 4
; NumSGPRsForWavesPerEU: 20
; NumVGPRsForWavesPerEU: 37
; Occupancy: 16
; WaveLimiterHint : 0
; COMPUTE_PGM_RSRC2:SCRATCH_EN: 0
; COMPUTE_PGM_RSRC2:USER_SGPR: 15
; COMPUTE_PGM_RSRC2:TRAP_HANDLER: 0
; COMPUTE_PGM_RSRC2:TGID_X_EN: 1
; COMPUTE_PGM_RSRC2:TGID_Y_EN: 0
; COMPUTE_PGM_RSRC2:TGID_Z_EN: 0
; COMPUTE_PGM_RSRC2:TIDIG_COMP_CNT: 1
	.section	.text._ZN4vllm3moe10topkGatingILi8ELi128ELi4ELi16ELi64Ej14__hip_bfloat16LNS0_11ScoringFuncE0EEEvPKT5_PKbPfiPT4_PiiiibPKf,"axG",@progbits,_ZN4vllm3moe10topkGatingILi8ELi128ELi4ELi16ELi64Ej14__hip_bfloat16LNS0_11ScoringFuncE0EEEvPKT5_PKbPfiPT4_PiiiibPKf,comdat
	.protected	_ZN4vllm3moe10topkGatingILi8ELi128ELi4ELi16ELi64Ej14__hip_bfloat16LNS0_11ScoringFuncE0EEEvPKT5_PKbPfiPT4_PiiiibPKf ; -- Begin function _ZN4vllm3moe10topkGatingILi8ELi128ELi4ELi16ELi64Ej14__hip_bfloat16LNS0_11ScoringFuncE0EEEvPKT5_PKbPfiPT4_PiiiibPKf
	.globl	_ZN4vllm3moe10topkGatingILi8ELi128ELi4ELi16ELi64Ej14__hip_bfloat16LNS0_11ScoringFuncE0EEEvPKT5_PKbPfiPT4_PiiiibPKf
	.p2align	8
	.type	_ZN4vllm3moe10topkGatingILi8ELi128ELi4ELi16ELi64Ej14__hip_bfloat16LNS0_11ScoringFuncE0EEEvPKT5_PKbPfiPT4_PiiiibPKf,@function
_ZN4vllm3moe10topkGatingILi8ELi128ELi4ELi16ELi64Ej14__hip_bfloat16LNS0_11ScoringFuncE0EEEvPKT5_PKbPfiPT4_PiiiibPKf: ; @_ZN4vllm3moe10topkGatingILi8ELi128ELi4ELi16ELi64Ej14__hip_bfloat16LNS0_11ScoringFuncE0EEEvPKT5_PKbPfiPT4_PiiiibPKf
; %bb.0:
	s_load_b32 s14, s[0:1], 0x18
	v_bfe_u32 v1, v0, 10, 10
	v_and_b32_e32 v0, 0x3ff, v0
	s_lshl_b32 s2, s15, 4
	s_delay_alu instid0(VALU_DEP_2) | instskip(NEXT) | instid1(VALU_DEP_2)
	v_lshlrev_b32_e32 v1, 2, v1
	v_lshrrev_b32_e32 v2, 4, v0
	s_delay_alu instid0(VALU_DEP_1) | instskip(SKIP_2) | instid1(VALU_DEP_1)
	v_add3_u32 v16, s2, v1, v2
	s_mov_b32 s2, exec_lo
	s_waitcnt lgkmcnt(0)
	v_cmpx_gt_i32_e64 s14, v16
	s_cbranch_execz .LBB162_37
; %bb.1:
	s_clause 0x1
	s_load_b128 s[4:7], s[0:1], 0x0
	s_load_b64 s[12:13], s[0:1], 0x10
	s_mov_b32 s8, -1
	s_mov_b32 s15, -1
	s_waitcnt lgkmcnt(0)
	s_cmp_eq_u64 s[6:7], 0
	s_cbranch_scc1 .LBB162_3
; %bb.2:
	v_ashrrev_i32_e32 v2, 31, v16
	v_add_co_u32 v1, vcc_lo, s6, v16
	s_delay_alu instid0(VALU_DEP_2) | instskip(SKIP_3) | instid1(VALU_DEP_1)
	v_add_co_ci_u32_e32 v2, vcc_lo, s7, v2, vcc_lo
	global_load_u8 v1, v[1:2], off
	s_waitcnt vmcnt(0)
	v_and_b32_e32 v1, 1, v1
	v_cmp_eq_u32_e32 vcc_lo, 1, v1
	s_xor_b32 s2, vcc_lo, -1
	s_delay_alu instid0(SALU_CYCLE_1)
	s_or_not1_b32 s15, s2, exec_lo
.LBB162_3:
	v_lshlrev_b32_e32 v1, 7, v16
	v_and_b32_e32 v17, 15, v0
	v_mbcnt_lo_u32_b32 v5, -1, 0
	s_load_b64 s[2:3], s[0:1], 0x40
	s_delay_alu instid0(VALU_DEP_3) | instskip(NEXT) | instid1(VALU_DEP_2)
	v_ashrrev_i32_e32 v2, 31, v1
	v_xor_b32_e32 v9, 8, v5
	v_and_b32_e32 v8, 16, v5
	v_xor_b32_e32 v12, 4, v5
	s_delay_alu instid0(VALU_DEP_4) | instskip(SKIP_1) | instid1(VALU_DEP_2)
	v_lshlrev_b64 v[0:1], 1, v[1:2]
	v_lshlrev_b32_e32 v2, 4, v17
	v_add_co_u32 v0, vcc_lo, s4, v0
	s_delay_alu instid0(VALU_DEP_3) | instskip(NEXT) | instid1(VALU_DEP_2)
	v_add_co_ci_u32_e32 v1, vcc_lo, s5, v1, vcc_lo
	v_add_co_u32 v0, vcc_lo, v0, v2
	s_delay_alu instid0(VALU_DEP_2)
	v_add_co_ci_u32_e32 v1, vcc_lo, 0, v1, vcc_lo
	s_waitcnt lgkmcnt(0)
	s_cmp_eq_u64 s[2:3], 0
	global_load_b128 v[0:3], v[0:1], off
	s_waitcnt vmcnt(0)
	v_and_b32_e32 v4, 0xffff0000, v0
	v_lshlrev_b32_e32 v0, 16, v0
	v_lshlrev_b32_e32 v10, 16, v1
	s_delay_alu instid0(VALU_DEP_3) | instskip(NEXT) | instid1(VALU_DEP_3)
	v_dual_max_f32 v6, v4, v4 :: v_dual_and_b32 v1, 0xffff0000, v1
	v_max_f32_e32 v7, v0, v0
	s_delay_alu instid0(VALU_DEP_1) | instskip(SKIP_2) | instid1(VALU_DEP_3)
	v_dual_max_f32 v6, v7, v6 :: v_dual_add_nc_u32 v7, 16, v8
	v_lshlrev_b32_e32 v8, 16, v2
	v_and_b32_e32 v2, 0xffff0000, v2
	v_max3_f32 v6, v6, v10, v1
	s_delay_alu instid0(VALU_DEP_4) | instskip(NEXT) | instid1(VALU_DEP_2)
	v_cmp_lt_i32_e32 vcc_lo, v9, v7
	v_max3_f32 v6, v6, v8, v2
	v_cndmask_b32_e32 v9, v5, v9, vcc_lo
	v_cmp_lt_i32_e32 vcc_lo, v12, v7
	v_lshlrev_b32_e32 v11, 16, v3
	s_delay_alu instid0(VALU_DEP_3) | instskip(SKIP_1) | instid1(VALU_DEP_1)
	v_lshlrev_b32_e32 v18, 2, v9
	v_cndmask_b32_e32 v12, v5, v12, vcc_lo
	v_lshlrev_b32_e32 v19, 2, v12
	v_xor_b32_e32 v12, 2, v5
	v_and_b32_e32 v3, 0xffff0000, v3
	s_delay_alu instid0(VALU_DEP_1) | instskip(SKIP_3) | instid1(VALU_DEP_1)
	v_max3_f32 v6, v6, v11, v3
	ds_bpermute_b32 v9, v18, v6
	s_waitcnt lgkmcnt(0)
	v_max_f32_e32 v9, v9, v9
	v_max_f32_e32 v6, v6, v9
	ds_bpermute_b32 v9, v19, v6
	s_waitcnt lgkmcnt(0)
	v_max_f32_e32 v9, v9, v9
	s_delay_alu instid0(VALU_DEP_1) | instskip(SKIP_2) | instid1(VALU_DEP_1)
	v_max_f32_e32 v6, v6, v9
	v_cmp_lt_i32_e32 vcc_lo, v12, v7
	v_cndmask_b32_e32 v12, v5, v12, vcc_lo
	v_lshlrev_b32_e32 v20, 2, v12
	v_xor_b32_e32 v12, 1, v5
	ds_bpermute_b32 v9, v20, v6
	v_cmp_lt_i32_e32 vcc_lo, v12, v7
	v_cndmask_b32_e32 v5, v5, v12, vcc_lo
	s_delay_alu instid0(VALU_DEP_1) | instskip(SKIP_2) | instid1(VALU_DEP_1)
	v_lshlrev_b32_e32 v21, 2, v5
	s_waitcnt lgkmcnt(0)
	v_max_f32_e32 v7, v9, v9
	v_max_f32_e32 v5, v6, v7
	ds_bpermute_b32 v6, v21, v5
	s_waitcnt lgkmcnt(0)
	v_max_f32_e32 v6, v6, v6
	s_delay_alu instid0(VALU_DEP_1) | instskip(NEXT) | instid1(VALU_DEP_1)
	v_max_f32_e32 v5, v5, v6
	v_sub_f32_e32 v7, v8, v5
	v_sub_f32_e32 v3, v3, v5
	;; [unrolled: 1-line block ×6, first 2 shown]
	v_dual_mul_f32 v15, 0x3fb8aa3b, v3 :: v_dual_sub_f32 v6, v10, v5
	v_dual_sub_f32 v8, v11, v5 :: v_dual_mul_f32 v9, 0x3fb8aa3b, v4
	v_mul_f32_e32 v5, 0x3fb8aa3b, v0
	v_mul_f32_e32 v13, 0x3fb8aa3b, v2
	s_delay_alu instid0(VALU_DEP_4)
	v_mul_f32_e32 v10, 0x3fb8aa3b, v6
	v_cmp_ngt_f32_e32 vcc_lo, 0xc2ce8ed0, v0
	v_fma_f32 v24, 0x3fb8aa3b, v4, -v9
	v_fma_f32 v22, 0x3fb8aa3b, v0, -v5
	v_rndne_f32_e32 v23, v5
	v_rndne_f32_e32 v27, v10
	v_mul_f32_e32 v11, 0x3fb8aa3b, v1
	v_rndne_f32_e32 v25, v9
	v_fma_f32 v26, 0x3fb8aa3b, v6, -v10
	v_dual_fmac_f32 v22, 0x32a5705f, v0 :: v_dual_sub_f32 v5, v5, v23
	s_delay_alu instid0(VALU_DEP_3)
	v_dual_mul_f32 v14, 0x3fb8aa3b, v8 :: v_dual_sub_f32 v9, v9, v25
	v_mul_f32_e32 v12, 0x3fb8aa3b, v7
	v_sub_f32_e32 v10, v10, v27
	v_fma_f32 v28, 0x3fb8aa3b, v1, -v11
	v_rndne_f32_e32 v29, v11
	v_fmac_f32_e32 v24, 0x32a5705f, v4
	v_rndne_f32_e32 v31, v12
	s_delay_alu instid0(VALU_DEP_4) | instskip(SKIP_1) | instid1(VALU_DEP_3)
	v_dual_add_f32 v5, v5, v22 :: v_dual_fmac_f32 v28, 0x32a5705f, v1
	v_fma_f32 v30, 0x3fb8aa3b, v7, -v12
	v_dual_sub_f32 v11, v11, v29 :: v_dual_sub_f32 v12, v12, v31
	v_add_f32_e32 v9, v9, v24
	s_delay_alu instid0(VALU_DEP_4)
	v_exp_f32_e32 v5, v5
	v_cvt_i32_f32_e32 v23, v23
	v_fma_f32 v34, 0x3fb8aa3b, v8, -v14
	v_cvt_i32_f32_e32 v25, v25
	v_exp_f32_e32 v9, v9
	v_fma_f32 v32, 0x3fb8aa3b, v2, -v13
	v_rndne_f32_e32 v33, v13
	v_fma_f32 v36, 0x3fb8aa3b, v3, -v15
	v_rndne_f32_e32 v37, v15
	v_fmac_f32_e32 v26, 0x32a5705f, v6
	v_ldexp_f32 v5, v5, v23
	v_dual_sub_f32 v13, v13, v33 :: v_dual_fmac_f32 v34, 0x32a5705f, v8
	v_rndne_f32_e32 v35, v14
	s_delay_alu instid0(TRANS32_DEP_1) | instskip(NEXT) | instid1(VALU_DEP_4)
	v_ldexp_f32 v9, v9, v25
	v_cndmask_b32_e32 v5, 0, v5, vcc_lo
	v_cmp_ngt_f32_e32 vcc_lo, 0xc2ce8ed0, v4
	v_dual_fmac_f32 v30, 0x32a5705f, v7 :: v_dual_sub_f32 v15, v15, v37
	v_dual_fmac_f32 v32, 0x32a5705f, v2 :: v_dual_add_f32 v11, v11, v28
	v_dual_fmac_f32 v36, 0x32a5705f, v3 :: v_dual_cndmask_b32 v9, 0, v9
	v_add_f32_e32 v10, v10, v26
	s_delay_alu instid0(VALU_DEP_3) | instskip(NEXT) | instid1(VALU_DEP_3)
	v_dual_sub_f32 v14, v14, v35 :: v_dual_add_f32 v13, v13, v32
	v_add_f32_e32 v15, v15, v36
	v_cvt_i32_f32_e32 v27, v27
	s_delay_alu instid0(VALU_DEP_4)
	v_exp_f32_e32 v10, v10
	v_cvt_i32_f32_e32 v33, v33
	v_exp_f32_e32 v13, v13
	v_cmp_ngt_f32_e32 vcc_lo, 0xc2ce8ed0, v6
	v_exp_f32_e32 v11, v11
	v_cvt_i32_f32_e32 v29, v29
	v_cvt_i32_f32_e32 v31, v31
	v_exp_f32_e32 v15, v15
	v_cvt_i32_f32_e32 v24, v37
	v_cvt_i32_f32_e32 v22, v35
	v_ldexp_f32 v10, v10, v27
	s_delay_alu instid0(TRANS32_DEP_3) | instskip(NEXT) | instid1(TRANS32_DEP_2)
	v_ldexp_f32 v13, v13, v33
	v_ldexp_f32 v11, v11, v29
	s_delay_alu instid0(VALU_DEP_3) | instskip(SKIP_1) | instid1(TRANS32_DEP_1)
	v_cndmask_b32_e32 v10, 0, v10, vcc_lo
	v_cmp_nlt_f32_e32 vcc_lo, 0x42b17218, v0
	v_ldexp_f32 v15, v15, v24
	v_cndmask_b32_e32 v0, 0x7f800000, v5, vcc_lo
	v_cmp_nlt_f32_e32 vcc_lo, 0x42b17218, v4
	v_cndmask_b32_e32 v4, 0x7f800000, v9, vcc_lo
	v_cmp_ngt_f32_e32 vcc_lo, 0xc2ce8ed0, v1
	v_add_f32_e32 v12, v12, v30
	s_delay_alu instid0(VALU_DEP_3) | instskip(SKIP_1) | instid1(VALU_DEP_3)
	v_dual_add_f32 v14, v14, v34 :: v_dual_add_f32 v9, v0, v4
	v_cndmask_b32_e32 v5, 0, v11, vcc_lo
	v_exp_f32_e32 v12, v12
	v_cmp_nlt_f32_e32 vcc_lo, 0x42b17218, v6
	s_delay_alu instid0(VALU_DEP_3)
	v_exp_f32_e32 v14, v14
	v_cndmask_b32_e32 v6, 0x7f800000, v10, vcc_lo
	v_cmp_ngt_f32_e32 vcc_lo, 0xc2ce8ed0, v7
	s_waitcnt_depctr 0xfff
	v_ldexp_f32 v12, v12, v31
	v_ldexp_f32 v14, v14, v22
	v_lshlrev_b32_e32 v22, 3, v17
	s_delay_alu instid0(VALU_DEP_3)
	v_cndmask_b32_e32 v10, 0, v12, vcc_lo
	v_cmp_nlt_f32_e32 vcc_lo, 0x42b17218, v1
	v_cndmask_b32_e32 v1, 0x7f800000, v5, vcc_lo
	v_cmp_ngt_f32_e32 vcc_lo, 0xc2ce8ed0, v2
	v_add_f32_e32 v5, v9, v6
	v_cndmask_b32_e32 v9, 0, v13, vcc_lo
	v_cmp_nlt_f32_e32 vcc_lo, 0x42b17218, v7
	s_delay_alu instid0(VALU_DEP_3) | instskip(SKIP_2) | instid1(VALU_DEP_2)
	v_add_f32_e32 v5, v5, v1
	v_cndmask_b32_e32 v7, 0x7f800000, v10, vcc_lo
	v_cmp_ngt_f32_e32 vcc_lo, 0xc2ce8ed0, v8
	v_dual_add_f32 v5, v5, v7 :: v_dual_cndmask_b32 v10, 0, v14
	v_cmp_nlt_f32_e32 vcc_lo, 0x42b17218, v2
	v_cndmask_b32_e32 v2, 0x7f800000, v9, vcc_lo
	v_cmp_ngt_f32_e32 vcc_lo, 0xc2ce8ed0, v3
	s_delay_alu instid0(VALU_DEP_2) | instskip(SKIP_4) | instid1(VALU_DEP_2)
	v_add_f32_e32 v5, v5, v2
	v_cndmask_b32_e32 v9, 0, v15, vcc_lo
	v_cmp_nlt_f32_e32 vcc_lo, 0x42b17218, v8
	v_cndmask_b32_e32 v8, 0x7f800000, v10, vcc_lo
	v_cmp_nlt_f32_e32 vcc_lo, 0x42b17218, v3
	v_add_f32_e32 v5, v5, v8
	v_cndmask_b32_e32 v3, 0x7f800000, v9, vcc_lo
	s_delay_alu instid0(VALU_DEP_1)
	v_add_f32_e32 v5, v5, v3
	ds_bpermute_b32 v9, v18, v5
	s_waitcnt lgkmcnt(0)
	v_add_f32_e32 v5, v5, v9
	ds_bpermute_b32 v9, v19, v5
	s_waitcnt lgkmcnt(0)
	;; [unrolled: 3-line block ×4, first 2 shown]
	v_add_f32_e32 v5, v5, v9
	s_delay_alu instid0(VALU_DEP_1) | instskip(SKIP_1) | instid1(VALU_DEP_2)
	v_div_scale_f32 v9, null, v5, v5, 1.0
	v_div_scale_f32 v12, vcc_lo, 1.0, v5, 1.0
	v_rcp_f32_e32 v10, v9
	s_waitcnt_depctr 0xfff
	v_fma_f32 v11, -v9, v10, 1.0
	s_delay_alu instid0(VALU_DEP_1) | instskip(NEXT) | instid1(VALU_DEP_1)
	v_fmac_f32_e32 v10, v11, v10
	v_mul_f32_e32 v11, v12, v10
	s_delay_alu instid0(VALU_DEP_1) | instskip(NEXT) | instid1(VALU_DEP_1)
	v_fma_f32 v13, -v9, v11, v12
	v_fmac_f32_e32 v11, v13, v10
	s_delay_alu instid0(VALU_DEP_1) | instskip(NEXT) | instid1(VALU_DEP_1)
	v_fma_f32 v9, -v9, v11, v12
	v_div_fmas_f32 v9, v9, v10, v11
	s_delay_alu instid0(VALU_DEP_1) | instskip(NEXT) | instid1(VALU_DEP_1)
	v_div_fixup_f32 v5, v9, v5, 1.0
	v_mul_f32_e32 v4, v5, v4
	v_mul_f32_e32 v0, v5, v0
	;; [unrolled: 1-line block ×6, first 2 shown]
	v_cmp_class_f32_e64 vcc_lo, v0, 0x1f8
	v_cndmask_b32_e32 v0, 0, v0, vcc_lo
	v_cmp_class_f32_e64 vcc_lo, v4, 0x1f8
	v_dual_mul_f32 v6, v5, v6 :: v_dual_cndmask_b32 v1, 0, v4
	s_delay_alu instid0(VALU_DEP_1)
	v_cmp_class_f32_e64 vcc_lo, v6, 0x1f8
	v_cndmask_b32_e32 v2, 0, v6, vcc_lo
	v_cmp_class_f32_e64 vcc_lo, v9, 0x1f8
	v_cndmask_b32_e32 v3, 0, v9, vcc_lo
	;; [unrolled: 2-line block ×3, first 2 shown]
	v_cmp_class_f32_e64 vcc_lo, v10, 0x1f8
	v_dual_mul_f32 v8, v5, v8 :: v_dual_cndmask_b32 v5, 0, v10
	s_delay_alu instid0(VALU_DEP_1)
	v_cmp_class_f32_e64 vcc_lo, v8, 0x1f8
	v_cndmask_b32_e32 v6, 0, v8, vcc_lo
	v_cmp_class_f32_e64 vcc_lo, v11, 0x1f8
	v_cndmask_b32_e32 v7, 0, v11, vcc_lo
	s_cbranch_scc1 .LBB162_31
; %bb.4:
	v_lshlrev_b32_e32 v12, 2, v22
	s_clause 0x1
	global_load_b128 v[8:11], v12, s[2:3]
	global_load_b128 v[12:15], v12, s[2:3] offset:16
	s_waitcnt vmcnt(1)
	v_dual_add_f32 v9, v9, v1 :: v_dual_add_f32 v8, v8, v0
	v_dual_add_f32 v11, v11, v3 :: v_dual_add_f32 v10, v10, v2
	s_waitcnt vmcnt(0)
	v_dual_add_f32 v13, v13, v5 :: v_dual_add_f32 v12, v12, v4
	v_dual_add_f32 v15, v15, v7 :: v_dual_add_f32 v14, v14, v6
	s_cbranch_execnz .LBB162_6
.LBB162_5:
	v_dual_mov_b32 v15, v7 :: v_dual_mov_b32 v14, v6
	v_dual_mov_b32 v13, v5 :: v_dual_mov_b32 v12, v4
	;; [unrolled: 1-line block ×4, first 2 shown]
.LBB162_6:
	s_load_b128 s[4:7], s[0:1], 0x30
	v_cmp_eq_u32_e64 s2, 0, v17
	s_waitcnt lgkmcnt(0)
	s_bitcmp1_b32 s7, 0
	s_mov_b32 s7, 0
	s_cselect_b32 vcc_lo, -1, 0
	s_cmp_gt_i32 s4, 0
	s_cselect_b32 s3, -1, 0
	s_cmp_lt_i32 s4, 1
	s_cbranch_scc1 .LBB162_32
; %bb.7:
	s_load_b128 s[8:11], s[0:1], 0x20
	v_mul_lo_u32 v24, v16, s4
	v_mov_b32_e32 v23, 0
	v_mov_b32_e32 v25, v16
	s_branch .LBB162_10
.LBB162_8:                              ;   in Loop: Header=BB162_10 Depth=1
	s_or_b32 exec_lo, exec_lo, s1
.LBB162_9:                              ;   in Loop: Header=BB162_10 Depth=1
	v_add_nc_u32_e32 v25, s14, v25
	s_cmp_eq_u32 s4, s7
	s_cbranch_scc1 .LBB162_33
.LBB162_10:                             ; =>This Inner Loop Header: Depth=1
	v_cmp_gt_f32_e64 s0, v9, v8
	s_mov_b32 s17, exec_lo
	s_delay_alu instid0(VALU_DEP_1) | instskip(SKIP_2) | instid1(VALU_DEP_3)
	v_cndmask_b32_e64 v26, v8, v9, s0
	v_cndmask_b32_e64 v27, 0, 1, s0
	v_cndmask_b32_e64 v28, v0, v1, s0
	v_cmp_gt_f32_e64 s1, v10, v26
	s_delay_alu instid0(VALU_DEP_1) | instskip(NEXT) | instid1(VALU_DEP_4)
	v_cndmask_b32_e64 v26, v26, v10, s1
	v_cndmask_b32_e64 v27, v27, 2, s1
	s_delay_alu instid0(VALU_DEP_4) | instskip(NEXT) | instid1(VALU_DEP_3)
	v_cndmask_b32_e64 v28, v28, v2, s1
	v_cmp_gt_f32_e64 s0, v11, v26
	s_delay_alu instid0(VALU_DEP_1) | instskip(NEXT) | instid1(VALU_DEP_4)
	v_cndmask_b32_e64 v26, v26, v11, s0
	v_cndmask_b32_e64 v27, v27, 3, s0
	s_delay_alu instid0(VALU_DEP_4) | instskip(NEXT) | instid1(VALU_DEP_3)
	v_cndmask_b32_e64 v28, v28, v3, s0
	;; [unrolled: 6-line block ×4, first 2 shown]
	v_cmp_gt_f32_e64 s1, v14, v26
	s_delay_alu instid0(VALU_DEP_1) | instskip(NEXT) | instid1(VALU_DEP_4)
	v_cndmask_b32_e64 v26, v26, v14, s1
	v_cndmask_b32_e64 v27, v27, 6, s1
	s_waitcnt lgkmcnt(0)
	v_cndmask_b32_e64 v29, v28, v6, s1
	s_delay_alu instid0(VALU_DEP_3) | instskip(NEXT) | instid1(VALU_DEP_1)
	v_cmp_gt_f32_e64 s0, v15, v26
	v_cndmask_b32_e64 v28, v26, v15, s0
	v_cndmask_b32_e64 v26, v27, 7, s0
	s_delay_alu instid0(VALU_DEP_4)
	v_cndmask_b32_e64 v27, v29, v7, s0
	ds_bpermute_b32 v29, v18, v28
	v_or_b32_e32 v26, v22, v26
	ds_bpermute_b32 v31, v18, v27
	ds_bpermute_b32 v30, v18, v26
	s_waitcnt lgkmcnt(0)
	v_cmp_lt_f32_e64 s16, v28, v29
	v_cmpx_nlt_f32_e32 v28, v29
; %bb.11:                               ;   in Loop: Header=BB162_10 Depth=1
	v_cmp_eq_f32_e64 s0, v28, v29
	v_cmp_lt_i32_e64 s1, v30, v26
	s_delay_alu instid0(VALU_DEP_1) | instskip(SKIP_2) | instid1(SALU_CYCLE_1)
	s_and_b32 s0, s0, s1
	s_and_not1_b32 s1, s16, exec_lo
	s_and_b32 s0, s0, exec_lo
	s_or_b32 s16, s1, s0
; %bb.12:                               ;   in Loop: Header=BB162_10 Depth=1
	s_or_b32 exec_lo, exec_lo, s17
	s_and_saveexec_b32 s0, s16
; %bb.13:                               ;   in Loop: Header=BB162_10 Depth=1
	v_dual_mov_b32 v27, v31 :: v_dual_mov_b32 v28, v29
	v_mov_b32_e32 v26, v30
; %bb.14:                               ;   in Loop: Header=BB162_10 Depth=1
	s_or_b32 exec_lo, exec_lo, s0
	ds_bpermute_b32 v30, v19, v28
	ds_bpermute_b32 v31, v19, v27
	;; [unrolled: 1-line block ×3, first 2 shown]
	s_mov_b32 s17, exec_lo
	s_waitcnt lgkmcnt(2)
	v_cmp_lt_f32_e64 s16, v28, v30
	v_cmpx_nlt_f32_e32 v28, v30
	s_cbranch_execz .LBB162_16
; %bb.15:                               ;   in Loop: Header=BB162_10 Depth=1
	v_cmp_eq_f32_e64 s0, v28, v30
	s_waitcnt lgkmcnt(0)
	v_cmp_lt_i32_e64 s1, v29, v26
	s_delay_alu instid0(VALU_DEP_1) | instskip(SKIP_2) | instid1(SALU_CYCLE_1)
	s_and_b32 s0, s0, s1
	s_and_not1_b32 s1, s16, exec_lo
	s_and_b32 s0, s0, exec_lo
	s_or_b32 s16, s1, s0
.LBB162_16:                             ;   in Loop: Header=BB162_10 Depth=1
	s_or_b32 exec_lo, exec_lo, s17
	s_delay_alu instid0(VALU_DEP_2)
	s_and_saveexec_b32 s0, s16
	s_cbranch_execz .LBB162_18
; %bb.17:                               ;   in Loop: Header=BB162_10 Depth=1
	s_waitcnt lgkmcnt(1)
	v_dual_mov_b32 v27, v31 :: v_dual_mov_b32 v28, v30
	s_waitcnt lgkmcnt(0)
	v_mov_b32_e32 v26, v29
.LBB162_18:                             ;   in Loop: Header=BB162_10 Depth=1
	s_or_b32 exec_lo, exec_lo, s0
	ds_bpermute_b32 v30, v20, v28
	s_waitcnt lgkmcnt(2)
	ds_bpermute_b32 v31, v20, v27
	s_waitcnt lgkmcnt(2)
	ds_bpermute_b32 v29, v20, v26
	s_mov_b32 s17, exec_lo
	s_waitcnt lgkmcnt(2)
	v_cmp_lt_f32_e64 s16, v28, v30
	v_cmpx_nlt_f32_e32 v28, v30
	s_cbranch_execz .LBB162_20
; %bb.19:                               ;   in Loop: Header=BB162_10 Depth=1
	v_cmp_eq_f32_e64 s0, v28, v30
	s_waitcnt lgkmcnt(0)
	v_cmp_lt_i32_e64 s1, v29, v26
	s_delay_alu instid0(VALU_DEP_1) | instskip(SKIP_2) | instid1(SALU_CYCLE_1)
	s_and_b32 s0, s0, s1
	s_and_not1_b32 s1, s16, exec_lo
	s_and_b32 s0, s0, exec_lo
	s_or_b32 s16, s1, s0
.LBB162_20:                             ;   in Loop: Header=BB162_10 Depth=1
	s_or_b32 exec_lo, exec_lo, s17
	s_delay_alu instid0(VALU_DEP_2)
	s_and_saveexec_b32 s0, s16
	s_cbranch_execz .LBB162_22
; %bb.21:                               ;   in Loop: Header=BB162_10 Depth=1
	s_waitcnt lgkmcnt(1)
	v_dual_mov_b32 v27, v31 :: v_dual_mov_b32 v28, v30
	s_waitcnt lgkmcnt(0)
	v_mov_b32_e32 v26, v29
.LBB162_22:                             ;   in Loop: Header=BB162_10 Depth=1
	s_or_b32 exec_lo, exec_lo, s0
	s_waitcnt lgkmcnt(1)
	ds_bpermute_b32 v31, v21, v28
	ds_bpermute_b32 v30, v21, v27
	s_waitcnt lgkmcnt(2)
	ds_bpermute_b32 v29, v21, v26
	s_mov_b32 s17, exec_lo
	s_waitcnt lgkmcnt(2)
	v_cmp_lt_f32_e64 s16, v28, v31
	v_cmpx_nlt_f32_e32 v28, v31
	s_cbranch_execnz .LBB162_26
; %bb.23:                               ;   in Loop: Header=BB162_10 Depth=1
	s_or_b32 exec_lo, exec_lo, s17
	s_delay_alu instid0(VALU_DEP_2)
	s_and_saveexec_b32 s0, s16
	s_cbranch_execnz .LBB162_27
.LBB162_24:                             ;   in Loop: Header=BB162_10 Depth=1
	s_or_b32 exec_lo, exec_lo, s0
	s_and_saveexec_b32 s16, s2
	s_cbranch_execnz .LBB162_28
.LBB162_25:                             ;   in Loop: Header=BB162_10 Depth=1
	s_or_b32 exec_lo, exec_lo, s16
	s_add_i32 s7, s7, 1
	s_delay_alu instid0(SALU_CYCLE_1)
	s_cmp_ge_i32 s7, s4
	s_cbranch_scc1 .LBB162_9
	s_branch .LBB162_29
.LBB162_26:                             ;   in Loop: Header=BB162_10 Depth=1
	v_cmp_eq_f32_e64 s0, v28, v31
	s_waitcnt lgkmcnt(0)
	v_cmp_lt_i32_e64 s1, v29, v26
	s_delay_alu instid0(VALU_DEP_1) | instskip(SKIP_2) | instid1(SALU_CYCLE_1)
	s_and_b32 s0, s0, s1
	s_and_not1_b32 s1, s16, exec_lo
	s_and_b32 s0, s0, exec_lo
	s_or_b32 s16, s1, s0
	s_or_b32 exec_lo, exec_lo, s17
	s_and_saveexec_b32 s0, s16
	s_cbranch_execz .LBB162_24
.LBB162_27:                             ;   in Loop: Header=BB162_10 Depth=1
	s_waitcnt lgkmcnt(0)
	v_dual_mov_b32 v27, v30 :: v_dual_mov_b32 v26, v29
	s_or_b32 exec_lo, exec_lo, s0
	s_and_saveexec_b32 s16, s2
	s_cbranch_execz .LBB162_25
.LBB162_28:                             ;   in Loop: Header=BB162_10 Depth=1
	s_delay_alu instid0(VALU_DEP_1)
	v_dual_add_f32 v35, v23, v27 :: v_dual_add_nc_u32 v28, s7, v24
	v_cmp_le_i32_e64 s0, s5, v26
	v_cmp_gt_i32_e64 s1, s6, v26
	s_waitcnt lgkmcnt(1)
	v_subrev_nc_u32_e32 v30, s5, v26
	s_waitcnt lgkmcnt(0)
	v_ashrrev_i32_e32 v29, 31, v28
	v_cndmask_b32_e32 v23, v23, v35, vcc_lo
	s_and_b32 s0, s0, s1
	s_delay_alu instid0(SALU_CYCLE_1) | instskip(NEXT) | instid1(VALU_DEP_2)
	s_and_b32 s0, s15, s0
	v_lshlrev_b64 v[28:29], 2, v[28:29]
	v_cndmask_b32_e64 v34, 0x80, v30, s0
	s_delay_alu instid0(VALU_DEP_2) | instskip(NEXT) | instid1(VALU_DEP_1)
	v_add_co_u32 v30, s0, s12, v28
	v_add_co_ci_u32_e64 v31, s0, s13, v29, s0
	v_add_co_u32 v32, s0, s8, v28
	s_delay_alu instid0(VALU_DEP_1) | instskip(SKIP_1) | instid1(VALU_DEP_1)
	v_add_co_ci_u32_e64 v33, s0, s9, v29, s0
	v_add_co_u32 v28, s0, s10, v28
	v_add_co_ci_u32_e64 v29, s0, s11, v29, s0
	global_store_b32 v[30:31], v27, off
	global_store_b32 v[32:33], v34, off
	;; [unrolled: 1-line block ×3, first 2 shown]
	s_or_b32 exec_lo, exec_lo, s16
	s_add_i32 s7, s7, 1
	s_delay_alu instid0(SALU_CYCLE_1)
	s_cmp_ge_i32 s7, s4
	s_cbranch_scc1 .LBB162_9
.LBB162_29:                             ;   in Loop: Header=BB162_10 Depth=1
	v_ashrrev_i32_e32 v28, 31, v26
	s_mov_b32 s1, exec_lo
	s_delay_alu instid0(VALU_DEP_1) | instskip(NEXT) | instid1(VALU_DEP_1)
	v_lshrrev_b32_e32 v27, 29, v28
	v_add_nc_u32_e32 v27, v26, v27
	s_delay_alu instid0(VALU_DEP_1) | instskip(SKIP_1) | instid1(VALU_DEP_1)
	v_ashrrev_i32_e32 v27, 3, v27
	s_waitcnt lgkmcnt(0)
	v_lshrrev_b32_e32 v29, 28, v27
	s_delay_alu instid0(VALU_DEP_1) | instskip(NEXT) | instid1(VALU_DEP_1)
	v_add_nc_u32_e32 v29, v27, v29
	v_and_b32_e32 v29, -16, v29
	s_delay_alu instid0(VALU_DEP_1) | instskip(NEXT) | instid1(VALU_DEP_1)
	v_sub_nc_u32_e32 v29, v27, v29
	v_cmpx_eq_u32_e64 v17, v29
	s_cbranch_execz .LBB162_8
; %bb.30:                               ;   in Loop: Header=BB162_10 Depth=1
	v_lshrrev_b32_e32 v28, 25, v28
	v_lshlrev_b32_e32 v27, 3, v27
	s_delay_alu instid0(VALU_DEP_2) | instskip(NEXT) | instid1(VALU_DEP_2)
	v_add_nc_u32_e32 v28, v26, v28
	v_sub_nc_u32_e32 v26, v26, v27
	s_delay_alu instid0(VALU_DEP_2) | instskip(NEXT) | instid1(VALU_DEP_1)
	v_ashrrev_i32_e32 v27, 7, v28
	v_lshl_add_u32 v26, v27, 3, v26
	s_delay_alu instid0(VALU_DEP_1) | instskip(NEXT) | instid1(VALU_DEP_1)
	v_cmp_ne_u32_e64 s0, 7, v26
	v_cndmask_b32_e64 v15, 0xc61c4000, v15, s0
	v_cmp_ne_u32_e64 s0, 6, v26
	s_delay_alu instid0(VALU_DEP_1) | instskip(SKIP_1) | instid1(VALU_DEP_1)
	v_cndmask_b32_e64 v14, 0xc61c4000, v14, s0
	v_cmp_ne_u32_e64 s0, 5, v26
	v_cndmask_b32_e64 v13, 0xc61c4000, v13, s0
	v_cmp_ne_u32_e64 s0, 4, v26
	s_delay_alu instid0(VALU_DEP_1) | instskip(SKIP_1) | instid1(VALU_DEP_1)
	v_cndmask_b32_e64 v12, 0xc61c4000, v12, s0
	;; [unrolled: 5-line block ×3, first 2 shown]
	v_cmp_ne_u32_e64 s0, 1, v26
	v_cndmask_b32_e64 v9, 0xc61c4000, v9, s0
	v_cmp_ne_u32_e64 s0, 0, v26
	s_delay_alu instid0(VALU_DEP_1)
	v_cndmask_b32_e64 v8, 0xc61c4000, v8, s0
	s_branch .LBB162_8
.LBB162_31:
                                        ; implicit-def: $vgpr8_vgpr9_vgpr10_vgpr11_vgpr12_vgpr13_vgpr14_vgpr15
	s_and_not1_b32 vcc_lo, exec_lo, s8
	s_cbranch_vccz .LBB162_5
	s_branch .LBB162_6
.LBB162_32:
	v_mov_b32_e32 v23, 0
.LBB162_33:
	v_cmp_eq_u32_e64 s0, 0, v17
	s_delay_alu instid0(VALU_DEP_1) | instskip(NEXT) | instid1(SALU_CYCLE_1)
	s_and_b32 s0, s0, vcc_lo
	s_and_b32 exec_lo, exec_lo, s0
	s_cbranch_execz .LBB162_37
; %bb.34:
	s_and_not1_b32 vcc_lo, exec_lo, s3
	s_cbranch_vccnz .LBB162_37
; %bb.35:
	v_mul_lo_u32 v0, v16, s4
	v_cmp_lt_f32_e32 vcc_lo, 0, v23
	v_cndmask_b32_e32 v2, 1.0, v23, vcc_lo
	s_delay_alu instid0(VALU_DEP_3) | instskip(NEXT) | instid1(VALU_DEP_1)
	v_ashrrev_i32_e32 v1, 31, v0
	v_lshlrev_b64 v[0:1], 2, v[0:1]
	s_delay_alu instid0(VALU_DEP_1) | instskip(NEXT) | instid1(VALU_DEP_2)
	v_add_co_u32 v0, vcc_lo, s12, v0
	v_add_co_ci_u32_e32 v1, vcc_lo, s13, v1, vcc_lo
	.p2align	6
.LBB162_36:                             ; =>This Inner Loop Header: Depth=1
	global_load_b32 v3, v[0:1], off
	s_add_i32 s4, s4, -1
	s_delay_alu instid0(SALU_CYCLE_1) | instskip(SKIP_3) | instid1(VALU_DEP_2)
	s_cmp_lg_u32 s4, 0
	s_waitcnt vmcnt(0)
	v_div_scale_f32 v4, null, v2, v2, v3
	v_div_scale_f32 v7, vcc_lo, v3, v2, v3
	v_rcp_f32_e32 v5, v4
	s_waitcnt_depctr 0xfff
	v_fma_f32 v6, -v4, v5, 1.0
	s_delay_alu instid0(VALU_DEP_1) | instskip(NEXT) | instid1(VALU_DEP_1)
	v_fmac_f32_e32 v5, v6, v5
	v_mul_f32_e32 v6, v7, v5
	s_delay_alu instid0(VALU_DEP_1) | instskip(NEXT) | instid1(VALU_DEP_1)
	v_fma_f32 v8, -v4, v6, v7
	v_fmac_f32_e32 v6, v8, v5
	s_delay_alu instid0(VALU_DEP_1) | instskip(NEXT) | instid1(VALU_DEP_1)
	v_fma_f32 v4, -v4, v6, v7
	v_div_fmas_f32 v4, v4, v5, v6
	s_delay_alu instid0(VALU_DEP_1)
	v_div_fixup_f32 v3, v4, v2, v3
	global_store_b32 v[0:1], v3, off
	v_add_co_u32 v0, vcc_lo, v0, 4
	v_add_co_ci_u32_e32 v1, vcc_lo, 0, v1, vcc_lo
	s_cbranch_scc1 .LBB162_36
.LBB162_37:
	s_nop 0
	s_sendmsg sendmsg(MSG_DEALLOC_VGPRS)
	s_endpgm
	.section	.rodata,"a",@progbits
	.p2align	6, 0x0
	.amdhsa_kernel _ZN4vllm3moe10topkGatingILi8ELi128ELi4ELi16ELi64Ej14__hip_bfloat16LNS0_11ScoringFuncE0EEEvPKT5_PKbPfiPT4_PiiiibPKf
		.amdhsa_group_segment_fixed_size 0
		.amdhsa_private_segment_fixed_size 0
		.amdhsa_kernarg_size 72
		.amdhsa_user_sgpr_count 15
		.amdhsa_user_sgpr_dispatch_ptr 0
		.amdhsa_user_sgpr_queue_ptr 0
		.amdhsa_user_sgpr_kernarg_segment_ptr 1
		.amdhsa_user_sgpr_dispatch_id 0
		.amdhsa_user_sgpr_private_segment_size 0
		.amdhsa_wavefront_size32 1
		.amdhsa_uses_dynamic_stack 0
		.amdhsa_enable_private_segment 0
		.amdhsa_system_sgpr_workgroup_id_x 1
		.amdhsa_system_sgpr_workgroup_id_y 0
		.amdhsa_system_sgpr_workgroup_id_z 0
		.amdhsa_system_sgpr_workgroup_info 0
		.amdhsa_system_vgpr_workitem_id 1
		.amdhsa_next_free_vgpr 38
		.amdhsa_next_free_sgpr 18
		.amdhsa_reserve_vcc 1
		.amdhsa_float_round_mode_32 0
		.amdhsa_float_round_mode_16_64 0
		.amdhsa_float_denorm_mode_32 3
		.amdhsa_float_denorm_mode_16_64 3
		.amdhsa_dx10_clamp 1
		.amdhsa_ieee_mode 1
		.amdhsa_fp16_overflow 0
		.amdhsa_workgroup_processor_mode 1
		.amdhsa_memory_ordered 1
		.amdhsa_forward_progress 0
		.amdhsa_shared_vgpr_count 0
		.amdhsa_exception_fp_ieee_invalid_op 0
		.amdhsa_exception_fp_denorm_src 0
		.amdhsa_exception_fp_ieee_div_zero 0
		.amdhsa_exception_fp_ieee_overflow 0
		.amdhsa_exception_fp_ieee_underflow 0
		.amdhsa_exception_fp_ieee_inexact 0
		.amdhsa_exception_int_div_zero 0
	.end_amdhsa_kernel
	.section	.text._ZN4vllm3moe10topkGatingILi8ELi128ELi4ELi16ELi64Ej14__hip_bfloat16LNS0_11ScoringFuncE0EEEvPKT5_PKbPfiPT4_PiiiibPKf,"axG",@progbits,_ZN4vllm3moe10topkGatingILi8ELi128ELi4ELi16ELi64Ej14__hip_bfloat16LNS0_11ScoringFuncE0EEEvPKT5_PKbPfiPT4_PiiiibPKf,comdat
.Lfunc_end162:
	.size	_ZN4vllm3moe10topkGatingILi8ELi128ELi4ELi16ELi64Ej14__hip_bfloat16LNS0_11ScoringFuncE0EEEvPKT5_PKbPfiPT4_PiiiibPKf, .Lfunc_end162-_ZN4vllm3moe10topkGatingILi8ELi128ELi4ELi16ELi64Ej14__hip_bfloat16LNS0_11ScoringFuncE0EEEvPKT5_PKbPfiPT4_PiiiibPKf
                                        ; -- End function
	.section	.AMDGPU.csdata,"",@progbits
; Kernel info:
; codeLenInByte = 3404
; NumSgprs: 20
; NumVgprs: 38
; ScratchSize: 0
; MemoryBound: 0
; FloatMode: 240
; IeeeMode: 1
; LDSByteSize: 0 bytes/workgroup (compile time only)
; SGPRBlocks: 2
; VGPRBlocks: 4
; NumSGPRsForWavesPerEU: 20
; NumVGPRsForWavesPerEU: 38
; Occupancy: 16
; WaveLimiterHint : 0
; COMPUTE_PGM_RSRC2:SCRATCH_EN: 0
; COMPUTE_PGM_RSRC2:USER_SGPR: 15
; COMPUTE_PGM_RSRC2:TRAP_HANDLER: 0
; COMPUTE_PGM_RSRC2:TGID_X_EN: 1
; COMPUTE_PGM_RSRC2:TGID_Y_EN: 0
; COMPUTE_PGM_RSRC2:TGID_Z_EN: 0
; COMPUTE_PGM_RSRC2:TIDIG_COMP_CNT: 1
	.section	.text._ZN4vllm3moe10topkGatingILi8ELi128ELi4ELi16ELi32Ej14__hip_bfloat16LNS0_11ScoringFuncE0EEEvPKT5_PKbPfiPT4_PiiiibPKf,"axG",@progbits,_ZN4vllm3moe10topkGatingILi8ELi128ELi4ELi16ELi32Ej14__hip_bfloat16LNS0_11ScoringFuncE0EEEvPKT5_PKbPfiPT4_PiiiibPKf,comdat
	.protected	_ZN4vllm3moe10topkGatingILi8ELi128ELi4ELi16ELi32Ej14__hip_bfloat16LNS0_11ScoringFuncE0EEEvPKT5_PKbPfiPT4_PiiiibPKf ; -- Begin function _ZN4vllm3moe10topkGatingILi8ELi128ELi4ELi16ELi32Ej14__hip_bfloat16LNS0_11ScoringFuncE0EEEvPKT5_PKbPfiPT4_PiiiibPKf
	.globl	_ZN4vllm3moe10topkGatingILi8ELi128ELi4ELi16ELi32Ej14__hip_bfloat16LNS0_11ScoringFuncE0EEEvPKT5_PKbPfiPT4_PiiiibPKf
	.p2align	8
	.type	_ZN4vllm3moe10topkGatingILi8ELi128ELi4ELi16ELi32Ej14__hip_bfloat16LNS0_11ScoringFuncE0EEEvPKT5_PKbPfiPT4_PiiiibPKf,@function
_ZN4vllm3moe10topkGatingILi8ELi128ELi4ELi16ELi32Ej14__hip_bfloat16LNS0_11ScoringFuncE0EEEvPKT5_PKbPfiPT4_PiiiibPKf: ; @_ZN4vllm3moe10topkGatingILi8ELi128ELi4ELi16ELi32Ej14__hip_bfloat16LNS0_11ScoringFuncE0EEEvPKT5_PKbPfiPT4_PiiiibPKf
; %bb.0:
	s_load_b32 s14, s[0:1], 0x18
	v_bfe_u32 v1, v0, 10, 10
	v_and_b32_e32 v0, 0x3ff, v0
	s_lshl_b32 s2, s15, 3
	s_delay_alu instid0(VALU_DEP_2) | instskip(NEXT) | instid1(VALU_DEP_2)
	v_lshlrev_b32_e32 v1, 1, v1
	v_lshrrev_b32_e32 v2, 4, v0
	s_delay_alu instid0(VALU_DEP_1) | instskip(SKIP_2) | instid1(VALU_DEP_1)
	v_add3_u32 v16, s2, v1, v2
	s_mov_b32 s2, exec_lo
	s_waitcnt lgkmcnt(0)
	v_cmpx_gt_i32_e64 s14, v16
	s_cbranch_execz .LBB163_37
; %bb.1:
	s_clause 0x1
	s_load_b128 s[4:7], s[0:1], 0x0
	s_load_b64 s[12:13], s[0:1], 0x10
	s_mov_b32 s8, -1
	s_mov_b32 s15, -1
	s_waitcnt lgkmcnt(0)
	s_cmp_eq_u64 s[6:7], 0
	s_cbranch_scc1 .LBB163_3
; %bb.2:
	v_ashrrev_i32_e32 v2, 31, v16
	v_add_co_u32 v1, vcc_lo, s6, v16
	s_delay_alu instid0(VALU_DEP_2) | instskip(SKIP_3) | instid1(VALU_DEP_1)
	v_add_co_ci_u32_e32 v2, vcc_lo, s7, v2, vcc_lo
	global_load_u8 v1, v[1:2], off
	s_waitcnt vmcnt(0)
	v_and_b32_e32 v1, 1, v1
	v_cmp_eq_u32_e32 vcc_lo, 1, v1
	s_xor_b32 s2, vcc_lo, -1
	s_delay_alu instid0(SALU_CYCLE_1)
	s_or_not1_b32 s15, s2, exec_lo
.LBB163_3:
	v_lshlrev_b32_e32 v1, 7, v16
	v_and_b32_e32 v17, 15, v0
	v_mbcnt_lo_u32_b32 v5, -1, 0
	s_load_b64 s[2:3], s[0:1], 0x40
	s_delay_alu instid0(VALU_DEP_3) | instskip(NEXT) | instid1(VALU_DEP_2)
	v_ashrrev_i32_e32 v2, 31, v1
	v_xor_b32_e32 v9, 8, v5
	v_and_b32_e32 v8, 16, v5
	v_xor_b32_e32 v12, 4, v5
	s_delay_alu instid0(VALU_DEP_4) | instskip(SKIP_1) | instid1(VALU_DEP_2)
	v_lshlrev_b64 v[0:1], 1, v[1:2]
	v_lshlrev_b32_e32 v2, 4, v17
	v_add_co_u32 v0, vcc_lo, s4, v0
	s_delay_alu instid0(VALU_DEP_3) | instskip(NEXT) | instid1(VALU_DEP_2)
	v_add_co_ci_u32_e32 v1, vcc_lo, s5, v1, vcc_lo
	v_add_co_u32 v0, vcc_lo, v0, v2
	s_delay_alu instid0(VALU_DEP_2)
	v_add_co_ci_u32_e32 v1, vcc_lo, 0, v1, vcc_lo
	s_waitcnt lgkmcnt(0)
	s_cmp_eq_u64 s[2:3], 0
	global_load_b128 v[0:3], v[0:1], off
	s_waitcnt vmcnt(0)
	v_and_b32_e32 v4, 0xffff0000, v0
	v_lshlrev_b32_e32 v0, 16, v0
	v_lshlrev_b32_e32 v10, 16, v1
	s_delay_alu instid0(VALU_DEP_3) | instskip(NEXT) | instid1(VALU_DEP_3)
	v_dual_max_f32 v6, v4, v4 :: v_dual_and_b32 v1, 0xffff0000, v1
	v_max_f32_e32 v7, v0, v0
	s_delay_alu instid0(VALU_DEP_1) | instskip(SKIP_2) | instid1(VALU_DEP_3)
	v_dual_max_f32 v6, v7, v6 :: v_dual_add_nc_u32 v7, 16, v8
	v_lshlrev_b32_e32 v8, 16, v2
	v_and_b32_e32 v2, 0xffff0000, v2
	v_max3_f32 v6, v6, v10, v1
	s_delay_alu instid0(VALU_DEP_4) | instskip(NEXT) | instid1(VALU_DEP_2)
	v_cmp_lt_i32_e32 vcc_lo, v9, v7
	v_max3_f32 v6, v6, v8, v2
	v_cndmask_b32_e32 v9, v5, v9, vcc_lo
	v_cmp_lt_i32_e32 vcc_lo, v12, v7
	v_lshlrev_b32_e32 v11, 16, v3
	s_delay_alu instid0(VALU_DEP_3) | instskip(SKIP_1) | instid1(VALU_DEP_1)
	v_lshlrev_b32_e32 v18, 2, v9
	v_cndmask_b32_e32 v12, v5, v12, vcc_lo
	v_lshlrev_b32_e32 v19, 2, v12
	v_xor_b32_e32 v12, 2, v5
	v_and_b32_e32 v3, 0xffff0000, v3
	s_delay_alu instid0(VALU_DEP_1) | instskip(SKIP_3) | instid1(VALU_DEP_1)
	v_max3_f32 v6, v6, v11, v3
	ds_bpermute_b32 v9, v18, v6
	s_waitcnt lgkmcnt(0)
	v_max_f32_e32 v9, v9, v9
	v_max_f32_e32 v6, v6, v9
	ds_bpermute_b32 v9, v19, v6
	s_waitcnt lgkmcnt(0)
	v_max_f32_e32 v9, v9, v9
	s_delay_alu instid0(VALU_DEP_1) | instskip(SKIP_2) | instid1(VALU_DEP_1)
	v_max_f32_e32 v6, v6, v9
	v_cmp_lt_i32_e32 vcc_lo, v12, v7
	v_cndmask_b32_e32 v12, v5, v12, vcc_lo
	v_lshlrev_b32_e32 v20, 2, v12
	v_xor_b32_e32 v12, 1, v5
	ds_bpermute_b32 v9, v20, v6
	v_cmp_lt_i32_e32 vcc_lo, v12, v7
	v_cndmask_b32_e32 v5, v5, v12, vcc_lo
	s_delay_alu instid0(VALU_DEP_1) | instskip(SKIP_2) | instid1(VALU_DEP_1)
	v_lshlrev_b32_e32 v21, 2, v5
	s_waitcnt lgkmcnt(0)
	v_max_f32_e32 v7, v9, v9
	v_max_f32_e32 v5, v6, v7
	ds_bpermute_b32 v6, v21, v5
	s_waitcnt lgkmcnt(0)
	v_max_f32_e32 v6, v6, v6
	s_delay_alu instid0(VALU_DEP_1) | instskip(NEXT) | instid1(VALU_DEP_1)
	v_max_f32_e32 v5, v5, v6
	v_sub_f32_e32 v7, v8, v5
	v_sub_f32_e32 v3, v3, v5
	;; [unrolled: 1-line block ×6, first 2 shown]
	v_dual_mul_f32 v15, 0x3fb8aa3b, v3 :: v_dual_sub_f32 v6, v10, v5
	v_dual_sub_f32 v8, v11, v5 :: v_dual_mul_f32 v9, 0x3fb8aa3b, v4
	v_mul_f32_e32 v5, 0x3fb8aa3b, v0
	v_mul_f32_e32 v13, 0x3fb8aa3b, v2
	s_delay_alu instid0(VALU_DEP_4)
	v_mul_f32_e32 v10, 0x3fb8aa3b, v6
	v_cmp_ngt_f32_e32 vcc_lo, 0xc2ce8ed0, v0
	v_fma_f32 v24, 0x3fb8aa3b, v4, -v9
	v_fma_f32 v22, 0x3fb8aa3b, v0, -v5
	v_rndne_f32_e32 v23, v5
	v_rndne_f32_e32 v27, v10
	v_mul_f32_e32 v11, 0x3fb8aa3b, v1
	v_rndne_f32_e32 v25, v9
	v_fma_f32 v26, 0x3fb8aa3b, v6, -v10
	v_dual_fmac_f32 v22, 0x32a5705f, v0 :: v_dual_sub_f32 v5, v5, v23
	s_delay_alu instid0(VALU_DEP_3)
	v_dual_mul_f32 v14, 0x3fb8aa3b, v8 :: v_dual_sub_f32 v9, v9, v25
	v_mul_f32_e32 v12, 0x3fb8aa3b, v7
	v_sub_f32_e32 v10, v10, v27
	v_fma_f32 v28, 0x3fb8aa3b, v1, -v11
	v_rndne_f32_e32 v29, v11
	v_fmac_f32_e32 v24, 0x32a5705f, v4
	v_rndne_f32_e32 v31, v12
	s_delay_alu instid0(VALU_DEP_4) | instskip(SKIP_1) | instid1(VALU_DEP_3)
	v_dual_add_f32 v5, v5, v22 :: v_dual_fmac_f32 v28, 0x32a5705f, v1
	v_fma_f32 v30, 0x3fb8aa3b, v7, -v12
	v_dual_sub_f32 v11, v11, v29 :: v_dual_sub_f32 v12, v12, v31
	v_add_f32_e32 v9, v9, v24
	s_delay_alu instid0(VALU_DEP_4)
	v_exp_f32_e32 v5, v5
	v_cvt_i32_f32_e32 v23, v23
	v_fma_f32 v34, 0x3fb8aa3b, v8, -v14
	v_cvt_i32_f32_e32 v25, v25
	v_exp_f32_e32 v9, v9
	v_fma_f32 v32, 0x3fb8aa3b, v2, -v13
	v_rndne_f32_e32 v33, v13
	v_fma_f32 v36, 0x3fb8aa3b, v3, -v15
	v_rndne_f32_e32 v37, v15
	v_fmac_f32_e32 v26, 0x32a5705f, v6
	v_ldexp_f32 v5, v5, v23
	v_dual_sub_f32 v13, v13, v33 :: v_dual_fmac_f32 v34, 0x32a5705f, v8
	v_rndne_f32_e32 v35, v14
	s_delay_alu instid0(TRANS32_DEP_1) | instskip(NEXT) | instid1(VALU_DEP_4)
	v_ldexp_f32 v9, v9, v25
	v_cndmask_b32_e32 v5, 0, v5, vcc_lo
	v_cmp_ngt_f32_e32 vcc_lo, 0xc2ce8ed0, v4
	v_dual_fmac_f32 v30, 0x32a5705f, v7 :: v_dual_sub_f32 v15, v15, v37
	v_dual_fmac_f32 v32, 0x32a5705f, v2 :: v_dual_add_f32 v11, v11, v28
	v_dual_fmac_f32 v36, 0x32a5705f, v3 :: v_dual_cndmask_b32 v9, 0, v9
	v_add_f32_e32 v10, v10, v26
	s_delay_alu instid0(VALU_DEP_3) | instskip(NEXT) | instid1(VALU_DEP_3)
	v_dual_sub_f32 v14, v14, v35 :: v_dual_add_f32 v13, v13, v32
	v_add_f32_e32 v15, v15, v36
	v_cvt_i32_f32_e32 v27, v27
	s_delay_alu instid0(VALU_DEP_4)
	v_exp_f32_e32 v10, v10
	v_cvt_i32_f32_e32 v33, v33
	v_exp_f32_e32 v13, v13
	v_cmp_ngt_f32_e32 vcc_lo, 0xc2ce8ed0, v6
	v_exp_f32_e32 v11, v11
	v_cvt_i32_f32_e32 v29, v29
	v_cvt_i32_f32_e32 v31, v31
	v_exp_f32_e32 v15, v15
	v_cvt_i32_f32_e32 v24, v37
	v_cvt_i32_f32_e32 v22, v35
	v_ldexp_f32 v10, v10, v27
	s_delay_alu instid0(TRANS32_DEP_3) | instskip(NEXT) | instid1(TRANS32_DEP_2)
	v_ldexp_f32 v13, v13, v33
	v_ldexp_f32 v11, v11, v29
	s_delay_alu instid0(VALU_DEP_3) | instskip(SKIP_1) | instid1(TRANS32_DEP_1)
	v_cndmask_b32_e32 v10, 0, v10, vcc_lo
	v_cmp_nlt_f32_e32 vcc_lo, 0x42b17218, v0
	v_ldexp_f32 v15, v15, v24
	v_cndmask_b32_e32 v0, 0x7f800000, v5, vcc_lo
	v_cmp_nlt_f32_e32 vcc_lo, 0x42b17218, v4
	v_cndmask_b32_e32 v4, 0x7f800000, v9, vcc_lo
	v_cmp_ngt_f32_e32 vcc_lo, 0xc2ce8ed0, v1
	v_add_f32_e32 v12, v12, v30
	s_delay_alu instid0(VALU_DEP_3) | instskip(SKIP_1) | instid1(VALU_DEP_3)
	v_dual_add_f32 v14, v14, v34 :: v_dual_add_f32 v9, v0, v4
	v_cndmask_b32_e32 v5, 0, v11, vcc_lo
	v_exp_f32_e32 v12, v12
	v_cmp_nlt_f32_e32 vcc_lo, 0x42b17218, v6
	s_delay_alu instid0(VALU_DEP_3)
	v_exp_f32_e32 v14, v14
	v_cndmask_b32_e32 v6, 0x7f800000, v10, vcc_lo
	v_cmp_ngt_f32_e32 vcc_lo, 0xc2ce8ed0, v7
	s_waitcnt_depctr 0xfff
	v_ldexp_f32 v12, v12, v31
	v_ldexp_f32 v14, v14, v22
	v_lshlrev_b32_e32 v22, 3, v17
	s_delay_alu instid0(VALU_DEP_3)
	v_cndmask_b32_e32 v10, 0, v12, vcc_lo
	v_cmp_nlt_f32_e32 vcc_lo, 0x42b17218, v1
	v_cndmask_b32_e32 v1, 0x7f800000, v5, vcc_lo
	v_cmp_ngt_f32_e32 vcc_lo, 0xc2ce8ed0, v2
	v_add_f32_e32 v5, v9, v6
	v_cndmask_b32_e32 v9, 0, v13, vcc_lo
	v_cmp_nlt_f32_e32 vcc_lo, 0x42b17218, v7
	s_delay_alu instid0(VALU_DEP_3) | instskip(SKIP_2) | instid1(VALU_DEP_2)
	v_add_f32_e32 v5, v5, v1
	v_cndmask_b32_e32 v7, 0x7f800000, v10, vcc_lo
	v_cmp_ngt_f32_e32 vcc_lo, 0xc2ce8ed0, v8
	v_dual_add_f32 v5, v5, v7 :: v_dual_cndmask_b32 v10, 0, v14
	v_cmp_nlt_f32_e32 vcc_lo, 0x42b17218, v2
	v_cndmask_b32_e32 v2, 0x7f800000, v9, vcc_lo
	v_cmp_ngt_f32_e32 vcc_lo, 0xc2ce8ed0, v3
	s_delay_alu instid0(VALU_DEP_2) | instskip(SKIP_4) | instid1(VALU_DEP_2)
	v_add_f32_e32 v5, v5, v2
	v_cndmask_b32_e32 v9, 0, v15, vcc_lo
	v_cmp_nlt_f32_e32 vcc_lo, 0x42b17218, v8
	v_cndmask_b32_e32 v8, 0x7f800000, v10, vcc_lo
	v_cmp_nlt_f32_e32 vcc_lo, 0x42b17218, v3
	v_add_f32_e32 v5, v5, v8
	v_cndmask_b32_e32 v3, 0x7f800000, v9, vcc_lo
	s_delay_alu instid0(VALU_DEP_1)
	v_add_f32_e32 v5, v5, v3
	ds_bpermute_b32 v9, v18, v5
	s_waitcnt lgkmcnt(0)
	v_add_f32_e32 v5, v5, v9
	ds_bpermute_b32 v9, v19, v5
	s_waitcnt lgkmcnt(0)
	;; [unrolled: 3-line block ×4, first 2 shown]
	v_add_f32_e32 v5, v5, v9
	s_delay_alu instid0(VALU_DEP_1) | instskip(SKIP_1) | instid1(VALU_DEP_2)
	v_div_scale_f32 v9, null, v5, v5, 1.0
	v_div_scale_f32 v12, vcc_lo, 1.0, v5, 1.0
	v_rcp_f32_e32 v10, v9
	s_waitcnt_depctr 0xfff
	v_fma_f32 v11, -v9, v10, 1.0
	s_delay_alu instid0(VALU_DEP_1) | instskip(NEXT) | instid1(VALU_DEP_1)
	v_fmac_f32_e32 v10, v11, v10
	v_mul_f32_e32 v11, v12, v10
	s_delay_alu instid0(VALU_DEP_1) | instskip(NEXT) | instid1(VALU_DEP_1)
	v_fma_f32 v13, -v9, v11, v12
	v_fmac_f32_e32 v11, v13, v10
	s_delay_alu instid0(VALU_DEP_1) | instskip(NEXT) | instid1(VALU_DEP_1)
	v_fma_f32 v9, -v9, v11, v12
	v_div_fmas_f32 v9, v9, v10, v11
	s_delay_alu instid0(VALU_DEP_1) | instskip(NEXT) | instid1(VALU_DEP_1)
	v_div_fixup_f32 v5, v9, v5, 1.0
	v_mul_f32_e32 v4, v5, v4
	v_mul_f32_e32 v0, v5, v0
	;; [unrolled: 1-line block ×6, first 2 shown]
	v_cmp_class_f32_e64 vcc_lo, v0, 0x1f8
	v_cndmask_b32_e32 v0, 0, v0, vcc_lo
	v_cmp_class_f32_e64 vcc_lo, v4, 0x1f8
	v_dual_mul_f32 v6, v5, v6 :: v_dual_cndmask_b32 v1, 0, v4
	s_delay_alu instid0(VALU_DEP_1)
	v_cmp_class_f32_e64 vcc_lo, v6, 0x1f8
	v_cndmask_b32_e32 v2, 0, v6, vcc_lo
	v_cmp_class_f32_e64 vcc_lo, v9, 0x1f8
	v_cndmask_b32_e32 v3, 0, v9, vcc_lo
	v_cmp_class_f32_e64 vcc_lo, v7, 0x1f8
	v_cndmask_b32_e32 v4, 0, v7, vcc_lo
	v_cmp_class_f32_e64 vcc_lo, v10, 0x1f8
	v_dual_mul_f32 v8, v5, v8 :: v_dual_cndmask_b32 v5, 0, v10
	s_delay_alu instid0(VALU_DEP_1)
	v_cmp_class_f32_e64 vcc_lo, v8, 0x1f8
	v_cndmask_b32_e32 v6, 0, v8, vcc_lo
	v_cmp_class_f32_e64 vcc_lo, v11, 0x1f8
	v_cndmask_b32_e32 v7, 0, v11, vcc_lo
	s_cbranch_scc1 .LBB163_31
; %bb.4:
	v_lshlrev_b32_e32 v12, 2, v22
	s_clause 0x1
	global_load_b128 v[8:11], v12, s[2:3]
	global_load_b128 v[12:15], v12, s[2:3] offset:16
	s_waitcnt vmcnt(1)
	v_dual_add_f32 v9, v9, v1 :: v_dual_add_f32 v8, v8, v0
	v_dual_add_f32 v11, v11, v3 :: v_dual_add_f32 v10, v10, v2
	s_waitcnt vmcnt(0)
	v_dual_add_f32 v13, v13, v5 :: v_dual_add_f32 v12, v12, v4
	v_dual_add_f32 v15, v15, v7 :: v_dual_add_f32 v14, v14, v6
	s_cbranch_execnz .LBB163_6
.LBB163_5:
	v_dual_mov_b32 v15, v7 :: v_dual_mov_b32 v14, v6
	v_dual_mov_b32 v13, v5 :: v_dual_mov_b32 v12, v4
	;; [unrolled: 1-line block ×4, first 2 shown]
.LBB163_6:
	s_load_b128 s[4:7], s[0:1], 0x30
	v_cmp_eq_u32_e64 s2, 0, v17
	s_waitcnt lgkmcnt(0)
	s_bitcmp1_b32 s7, 0
	s_mov_b32 s7, 0
	s_cselect_b32 vcc_lo, -1, 0
	s_cmp_gt_i32 s4, 0
	s_cselect_b32 s3, -1, 0
	s_cmp_lt_i32 s4, 1
	s_cbranch_scc1 .LBB163_32
; %bb.7:
	s_load_b128 s[8:11], s[0:1], 0x20
	v_mul_lo_u32 v24, v16, s4
	v_mov_b32_e32 v23, 0
	v_mov_b32_e32 v25, v16
	s_branch .LBB163_10
.LBB163_8:                              ;   in Loop: Header=BB163_10 Depth=1
	s_or_b32 exec_lo, exec_lo, s1
.LBB163_9:                              ;   in Loop: Header=BB163_10 Depth=1
	v_add_nc_u32_e32 v25, s14, v25
	s_cmp_eq_u32 s4, s7
	s_cbranch_scc1 .LBB163_33
.LBB163_10:                             ; =>This Inner Loop Header: Depth=1
	v_cmp_gt_f32_e64 s0, v9, v8
	s_mov_b32 s17, exec_lo
	s_delay_alu instid0(VALU_DEP_1) | instskip(SKIP_2) | instid1(VALU_DEP_3)
	v_cndmask_b32_e64 v26, v8, v9, s0
	v_cndmask_b32_e64 v27, 0, 1, s0
	;; [unrolled: 1-line block ×3, first 2 shown]
	v_cmp_gt_f32_e64 s1, v10, v26
	s_delay_alu instid0(VALU_DEP_1) | instskip(NEXT) | instid1(VALU_DEP_4)
	v_cndmask_b32_e64 v26, v26, v10, s1
	v_cndmask_b32_e64 v27, v27, 2, s1
	s_delay_alu instid0(VALU_DEP_4) | instskip(NEXT) | instid1(VALU_DEP_3)
	v_cndmask_b32_e64 v28, v28, v2, s1
	v_cmp_gt_f32_e64 s0, v11, v26
	s_delay_alu instid0(VALU_DEP_1) | instskip(NEXT) | instid1(VALU_DEP_4)
	v_cndmask_b32_e64 v26, v26, v11, s0
	v_cndmask_b32_e64 v27, v27, 3, s0
	s_delay_alu instid0(VALU_DEP_4) | instskip(NEXT) | instid1(VALU_DEP_3)
	v_cndmask_b32_e64 v28, v28, v3, s0
	;; [unrolled: 6-line block ×4, first 2 shown]
	v_cmp_gt_f32_e64 s1, v14, v26
	s_delay_alu instid0(VALU_DEP_1) | instskip(NEXT) | instid1(VALU_DEP_4)
	v_cndmask_b32_e64 v26, v26, v14, s1
	v_cndmask_b32_e64 v27, v27, 6, s1
	s_waitcnt lgkmcnt(0)
	v_cndmask_b32_e64 v29, v28, v6, s1
	s_delay_alu instid0(VALU_DEP_3) | instskip(NEXT) | instid1(VALU_DEP_1)
	v_cmp_gt_f32_e64 s0, v15, v26
	v_cndmask_b32_e64 v28, v26, v15, s0
	v_cndmask_b32_e64 v26, v27, 7, s0
	s_delay_alu instid0(VALU_DEP_4)
	v_cndmask_b32_e64 v27, v29, v7, s0
	ds_bpermute_b32 v29, v18, v28
	v_or_b32_e32 v26, v22, v26
	ds_bpermute_b32 v31, v18, v27
	ds_bpermute_b32 v30, v18, v26
	s_waitcnt lgkmcnt(0)
	v_cmp_lt_f32_e64 s16, v28, v29
	v_cmpx_nlt_f32_e32 v28, v29
; %bb.11:                               ;   in Loop: Header=BB163_10 Depth=1
	v_cmp_eq_f32_e64 s0, v28, v29
	v_cmp_lt_i32_e64 s1, v30, v26
	s_delay_alu instid0(VALU_DEP_1) | instskip(SKIP_2) | instid1(SALU_CYCLE_1)
	s_and_b32 s0, s0, s1
	s_and_not1_b32 s1, s16, exec_lo
	s_and_b32 s0, s0, exec_lo
	s_or_b32 s16, s1, s0
; %bb.12:                               ;   in Loop: Header=BB163_10 Depth=1
	s_or_b32 exec_lo, exec_lo, s17
	s_and_saveexec_b32 s0, s16
; %bb.13:                               ;   in Loop: Header=BB163_10 Depth=1
	v_dual_mov_b32 v27, v31 :: v_dual_mov_b32 v28, v29
	v_mov_b32_e32 v26, v30
; %bb.14:                               ;   in Loop: Header=BB163_10 Depth=1
	s_or_b32 exec_lo, exec_lo, s0
	ds_bpermute_b32 v30, v19, v28
	ds_bpermute_b32 v31, v19, v27
	;; [unrolled: 1-line block ×3, first 2 shown]
	s_mov_b32 s17, exec_lo
	s_waitcnt lgkmcnt(2)
	v_cmp_lt_f32_e64 s16, v28, v30
	v_cmpx_nlt_f32_e32 v28, v30
	s_cbranch_execz .LBB163_16
; %bb.15:                               ;   in Loop: Header=BB163_10 Depth=1
	v_cmp_eq_f32_e64 s0, v28, v30
	s_waitcnt lgkmcnt(0)
	v_cmp_lt_i32_e64 s1, v29, v26
	s_delay_alu instid0(VALU_DEP_1) | instskip(SKIP_2) | instid1(SALU_CYCLE_1)
	s_and_b32 s0, s0, s1
	s_and_not1_b32 s1, s16, exec_lo
	s_and_b32 s0, s0, exec_lo
	s_or_b32 s16, s1, s0
.LBB163_16:                             ;   in Loop: Header=BB163_10 Depth=1
	s_or_b32 exec_lo, exec_lo, s17
	s_delay_alu instid0(VALU_DEP_2)
	s_and_saveexec_b32 s0, s16
	s_cbranch_execz .LBB163_18
; %bb.17:                               ;   in Loop: Header=BB163_10 Depth=1
	s_waitcnt lgkmcnt(1)
	v_dual_mov_b32 v27, v31 :: v_dual_mov_b32 v28, v30
	s_waitcnt lgkmcnt(0)
	v_mov_b32_e32 v26, v29
.LBB163_18:                             ;   in Loop: Header=BB163_10 Depth=1
	s_or_b32 exec_lo, exec_lo, s0
	ds_bpermute_b32 v30, v20, v28
	s_waitcnt lgkmcnt(2)
	ds_bpermute_b32 v31, v20, v27
	s_waitcnt lgkmcnt(2)
	ds_bpermute_b32 v29, v20, v26
	s_mov_b32 s17, exec_lo
	s_waitcnt lgkmcnt(2)
	v_cmp_lt_f32_e64 s16, v28, v30
	v_cmpx_nlt_f32_e32 v28, v30
	s_cbranch_execz .LBB163_20
; %bb.19:                               ;   in Loop: Header=BB163_10 Depth=1
	v_cmp_eq_f32_e64 s0, v28, v30
	s_waitcnt lgkmcnt(0)
	v_cmp_lt_i32_e64 s1, v29, v26
	s_delay_alu instid0(VALU_DEP_1) | instskip(SKIP_2) | instid1(SALU_CYCLE_1)
	s_and_b32 s0, s0, s1
	s_and_not1_b32 s1, s16, exec_lo
	s_and_b32 s0, s0, exec_lo
	s_or_b32 s16, s1, s0
.LBB163_20:                             ;   in Loop: Header=BB163_10 Depth=1
	s_or_b32 exec_lo, exec_lo, s17
	s_delay_alu instid0(VALU_DEP_2)
	s_and_saveexec_b32 s0, s16
	s_cbranch_execz .LBB163_22
; %bb.21:                               ;   in Loop: Header=BB163_10 Depth=1
	s_waitcnt lgkmcnt(1)
	v_dual_mov_b32 v27, v31 :: v_dual_mov_b32 v28, v30
	s_waitcnt lgkmcnt(0)
	v_mov_b32_e32 v26, v29
.LBB163_22:                             ;   in Loop: Header=BB163_10 Depth=1
	s_or_b32 exec_lo, exec_lo, s0
	s_waitcnt lgkmcnt(1)
	ds_bpermute_b32 v31, v21, v28
	ds_bpermute_b32 v30, v21, v27
	s_waitcnt lgkmcnt(2)
	ds_bpermute_b32 v29, v21, v26
	s_mov_b32 s17, exec_lo
	s_waitcnt lgkmcnt(2)
	v_cmp_lt_f32_e64 s16, v28, v31
	v_cmpx_nlt_f32_e32 v28, v31
	s_cbranch_execnz .LBB163_26
; %bb.23:                               ;   in Loop: Header=BB163_10 Depth=1
	s_or_b32 exec_lo, exec_lo, s17
	s_delay_alu instid0(VALU_DEP_2)
	s_and_saveexec_b32 s0, s16
	s_cbranch_execnz .LBB163_27
.LBB163_24:                             ;   in Loop: Header=BB163_10 Depth=1
	s_or_b32 exec_lo, exec_lo, s0
	s_and_saveexec_b32 s16, s2
	s_cbranch_execnz .LBB163_28
.LBB163_25:                             ;   in Loop: Header=BB163_10 Depth=1
	s_or_b32 exec_lo, exec_lo, s16
	s_add_i32 s7, s7, 1
	s_delay_alu instid0(SALU_CYCLE_1)
	s_cmp_ge_i32 s7, s4
	s_cbranch_scc1 .LBB163_9
	s_branch .LBB163_29
.LBB163_26:                             ;   in Loop: Header=BB163_10 Depth=1
	v_cmp_eq_f32_e64 s0, v28, v31
	s_waitcnt lgkmcnt(0)
	v_cmp_lt_i32_e64 s1, v29, v26
	s_delay_alu instid0(VALU_DEP_1) | instskip(SKIP_2) | instid1(SALU_CYCLE_1)
	s_and_b32 s0, s0, s1
	s_and_not1_b32 s1, s16, exec_lo
	s_and_b32 s0, s0, exec_lo
	s_or_b32 s16, s1, s0
	s_or_b32 exec_lo, exec_lo, s17
	s_and_saveexec_b32 s0, s16
	s_cbranch_execz .LBB163_24
.LBB163_27:                             ;   in Loop: Header=BB163_10 Depth=1
	s_waitcnt lgkmcnt(0)
	v_dual_mov_b32 v27, v30 :: v_dual_mov_b32 v26, v29
	s_or_b32 exec_lo, exec_lo, s0
	s_and_saveexec_b32 s16, s2
	s_cbranch_execz .LBB163_25
.LBB163_28:                             ;   in Loop: Header=BB163_10 Depth=1
	s_delay_alu instid0(VALU_DEP_1)
	v_dual_add_f32 v35, v23, v27 :: v_dual_add_nc_u32 v28, s7, v24
	v_cmp_le_i32_e64 s0, s5, v26
	v_cmp_gt_i32_e64 s1, s6, v26
	s_waitcnt lgkmcnt(1)
	v_subrev_nc_u32_e32 v30, s5, v26
	s_waitcnt lgkmcnt(0)
	v_ashrrev_i32_e32 v29, 31, v28
	v_cndmask_b32_e32 v23, v23, v35, vcc_lo
	s_and_b32 s0, s0, s1
	s_delay_alu instid0(SALU_CYCLE_1) | instskip(NEXT) | instid1(VALU_DEP_2)
	s_and_b32 s0, s15, s0
	v_lshlrev_b64 v[28:29], 2, v[28:29]
	v_cndmask_b32_e64 v34, 0x80, v30, s0
	s_delay_alu instid0(VALU_DEP_2) | instskip(NEXT) | instid1(VALU_DEP_1)
	v_add_co_u32 v30, s0, s12, v28
	v_add_co_ci_u32_e64 v31, s0, s13, v29, s0
	v_add_co_u32 v32, s0, s8, v28
	s_delay_alu instid0(VALU_DEP_1) | instskip(SKIP_1) | instid1(VALU_DEP_1)
	v_add_co_ci_u32_e64 v33, s0, s9, v29, s0
	v_add_co_u32 v28, s0, s10, v28
	v_add_co_ci_u32_e64 v29, s0, s11, v29, s0
	global_store_b32 v[30:31], v27, off
	global_store_b32 v[32:33], v34, off
	;; [unrolled: 1-line block ×3, first 2 shown]
	s_or_b32 exec_lo, exec_lo, s16
	s_add_i32 s7, s7, 1
	s_delay_alu instid0(SALU_CYCLE_1)
	s_cmp_ge_i32 s7, s4
	s_cbranch_scc1 .LBB163_9
.LBB163_29:                             ;   in Loop: Header=BB163_10 Depth=1
	v_ashrrev_i32_e32 v28, 31, v26
	s_mov_b32 s1, exec_lo
	s_delay_alu instid0(VALU_DEP_1) | instskip(NEXT) | instid1(VALU_DEP_1)
	v_lshrrev_b32_e32 v27, 29, v28
	v_add_nc_u32_e32 v27, v26, v27
	s_delay_alu instid0(VALU_DEP_1) | instskip(SKIP_1) | instid1(VALU_DEP_1)
	v_ashrrev_i32_e32 v27, 3, v27
	s_waitcnt lgkmcnt(0)
	v_lshrrev_b32_e32 v29, 28, v27
	s_delay_alu instid0(VALU_DEP_1) | instskip(NEXT) | instid1(VALU_DEP_1)
	v_add_nc_u32_e32 v29, v27, v29
	v_and_b32_e32 v29, -16, v29
	s_delay_alu instid0(VALU_DEP_1) | instskip(NEXT) | instid1(VALU_DEP_1)
	v_sub_nc_u32_e32 v29, v27, v29
	v_cmpx_eq_u32_e64 v17, v29
	s_cbranch_execz .LBB163_8
; %bb.30:                               ;   in Loop: Header=BB163_10 Depth=1
	v_lshrrev_b32_e32 v28, 25, v28
	v_lshlrev_b32_e32 v27, 3, v27
	s_delay_alu instid0(VALU_DEP_2) | instskip(NEXT) | instid1(VALU_DEP_2)
	v_add_nc_u32_e32 v28, v26, v28
	v_sub_nc_u32_e32 v26, v26, v27
	s_delay_alu instid0(VALU_DEP_2) | instskip(NEXT) | instid1(VALU_DEP_1)
	v_ashrrev_i32_e32 v27, 7, v28
	v_lshl_add_u32 v26, v27, 3, v26
	s_delay_alu instid0(VALU_DEP_1) | instskip(NEXT) | instid1(VALU_DEP_1)
	v_cmp_ne_u32_e64 s0, 7, v26
	v_cndmask_b32_e64 v15, 0xc61c4000, v15, s0
	v_cmp_ne_u32_e64 s0, 6, v26
	s_delay_alu instid0(VALU_DEP_1) | instskip(SKIP_1) | instid1(VALU_DEP_1)
	v_cndmask_b32_e64 v14, 0xc61c4000, v14, s0
	v_cmp_ne_u32_e64 s0, 5, v26
	v_cndmask_b32_e64 v13, 0xc61c4000, v13, s0
	v_cmp_ne_u32_e64 s0, 4, v26
	s_delay_alu instid0(VALU_DEP_1) | instskip(SKIP_1) | instid1(VALU_DEP_1)
	v_cndmask_b32_e64 v12, 0xc61c4000, v12, s0
	;; [unrolled: 5-line block ×3, first 2 shown]
	v_cmp_ne_u32_e64 s0, 1, v26
	v_cndmask_b32_e64 v9, 0xc61c4000, v9, s0
	v_cmp_ne_u32_e64 s0, 0, v26
	s_delay_alu instid0(VALU_DEP_1)
	v_cndmask_b32_e64 v8, 0xc61c4000, v8, s0
	s_branch .LBB163_8
.LBB163_31:
                                        ; implicit-def: $vgpr8_vgpr9_vgpr10_vgpr11_vgpr12_vgpr13_vgpr14_vgpr15
	s_and_not1_b32 vcc_lo, exec_lo, s8
	s_cbranch_vccz .LBB163_5
	s_branch .LBB163_6
.LBB163_32:
	v_mov_b32_e32 v23, 0
.LBB163_33:
	v_cmp_eq_u32_e64 s0, 0, v17
	s_delay_alu instid0(VALU_DEP_1) | instskip(NEXT) | instid1(SALU_CYCLE_1)
	s_and_b32 s0, s0, vcc_lo
	s_and_b32 exec_lo, exec_lo, s0
	s_cbranch_execz .LBB163_37
; %bb.34:
	s_and_not1_b32 vcc_lo, exec_lo, s3
	s_cbranch_vccnz .LBB163_37
; %bb.35:
	v_mul_lo_u32 v0, v16, s4
	v_cmp_lt_f32_e32 vcc_lo, 0, v23
	v_cndmask_b32_e32 v2, 1.0, v23, vcc_lo
	s_delay_alu instid0(VALU_DEP_3) | instskip(NEXT) | instid1(VALU_DEP_1)
	v_ashrrev_i32_e32 v1, 31, v0
	v_lshlrev_b64 v[0:1], 2, v[0:1]
	s_delay_alu instid0(VALU_DEP_1) | instskip(NEXT) | instid1(VALU_DEP_2)
	v_add_co_u32 v0, vcc_lo, s12, v0
	v_add_co_ci_u32_e32 v1, vcc_lo, s13, v1, vcc_lo
	.p2align	6
.LBB163_36:                             ; =>This Inner Loop Header: Depth=1
	global_load_b32 v3, v[0:1], off
	s_add_i32 s4, s4, -1
	s_delay_alu instid0(SALU_CYCLE_1) | instskip(SKIP_3) | instid1(VALU_DEP_2)
	s_cmp_lg_u32 s4, 0
	s_waitcnt vmcnt(0)
	v_div_scale_f32 v4, null, v2, v2, v3
	v_div_scale_f32 v7, vcc_lo, v3, v2, v3
	v_rcp_f32_e32 v5, v4
	s_waitcnt_depctr 0xfff
	v_fma_f32 v6, -v4, v5, 1.0
	s_delay_alu instid0(VALU_DEP_1) | instskip(NEXT) | instid1(VALU_DEP_1)
	v_fmac_f32_e32 v5, v6, v5
	v_mul_f32_e32 v6, v7, v5
	s_delay_alu instid0(VALU_DEP_1) | instskip(NEXT) | instid1(VALU_DEP_1)
	v_fma_f32 v8, -v4, v6, v7
	v_fmac_f32_e32 v6, v8, v5
	s_delay_alu instid0(VALU_DEP_1) | instskip(NEXT) | instid1(VALU_DEP_1)
	v_fma_f32 v4, -v4, v6, v7
	v_div_fmas_f32 v4, v4, v5, v6
	s_delay_alu instid0(VALU_DEP_1)
	v_div_fixup_f32 v3, v4, v2, v3
	global_store_b32 v[0:1], v3, off
	v_add_co_u32 v0, vcc_lo, v0, 4
	v_add_co_ci_u32_e32 v1, vcc_lo, 0, v1, vcc_lo
	s_cbranch_scc1 .LBB163_36
.LBB163_37:
	s_nop 0
	s_sendmsg sendmsg(MSG_DEALLOC_VGPRS)
	s_endpgm
	.section	.rodata,"a",@progbits
	.p2align	6, 0x0
	.amdhsa_kernel _ZN4vllm3moe10topkGatingILi8ELi128ELi4ELi16ELi32Ej14__hip_bfloat16LNS0_11ScoringFuncE0EEEvPKT5_PKbPfiPT4_PiiiibPKf
		.amdhsa_group_segment_fixed_size 0
		.amdhsa_private_segment_fixed_size 0
		.amdhsa_kernarg_size 72
		.amdhsa_user_sgpr_count 15
		.amdhsa_user_sgpr_dispatch_ptr 0
		.amdhsa_user_sgpr_queue_ptr 0
		.amdhsa_user_sgpr_kernarg_segment_ptr 1
		.amdhsa_user_sgpr_dispatch_id 0
		.amdhsa_user_sgpr_private_segment_size 0
		.amdhsa_wavefront_size32 1
		.amdhsa_uses_dynamic_stack 0
		.amdhsa_enable_private_segment 0
		.amdhsa_system_sgpr_workgroup_id_x 1
		.amdhsa_system_sgpr_workgroup_id_y 0
		.amdhsa_system_sgpr_workgroup_id_z 0
		.amdhsa_system_sgpr_workgroup_info 0
		.amdhsa_system_vgpr_workitem_id 1
		.amdhsa_next_free_vgpr 38
		.amdhsa_next_free_sgpr 18
		.amdhsa_reserve_vcc 1
		.amdhsa_float_round_mode_32 0
		.amdhsa_float_round_mode_16_64 0
		.amdhsa_float_denorm_mode_32 3
		.amdhsa_float_denorm_mode_16_64 3
		.amdhsa_dx10_clamp 1
		.amdhsa_ieee_mode 1
		.amdhsa_fp16_overflow 0
		.amdhsa_workgroup_processor_mode 1
		.amdhsa_memory_ordered 1
		.amdhsa_forward_progress 0
		.amdhsa_shared_vgpr_count 0
		.amdhsa_exception_fp_ieee_invalid_op 0
		.amdhsa_exception_fp_denorm_src 0
		.amdhsa_exception_fp_ieee_div_zero 0
		.amdhsa_exception_fp_ieee_overflow 0
		.amdhsa_exception_fp_ieee_underflow 0
		.amdhsa_exception_fp_ieee_inexact 0
		.amdhsa_exception_int_div_zero 0
	.end_amdhsa_kernel
	.section	.text._ZN4vllm3moe10topkGatingILi8ELi128ELi4ELi16ELi32Ej14__hip_bfloat16LNS0_11ScoringFuncE0EEEvPKT5_PKbPfiPT4_PiiiibPKf,"axG",@progbits,_ZN4vllm3moe10topkGatingILi8ELi128ELi4ELi16ELi32Ej14__hip_bfloat16LNS0_11ScoringFuncE0EEEvPKT5_PKbPfiPT4_PiiiibPKf,comdat
.Lfunc_end163:
	.size	_ZN4vllm3moe10topkGatingILi8ELi128ELi4ELi16ELi32Ej14__hip_bfloat16LNS0_11ScoringFuncE0EEEvPKT5_PKbPfiPT4_PiiiibPKf, .Lfunc_end163-_ZN4vllm3moe10topkGatingILi8ELi128ELi4ELi16ELi32Ej14__hip_bfloat16LNS0_11ScoringFuncE0EEEvPKT5_PKbPfiPT4_PiiiibPKf
                                        ; -- End function
	.section	.AMDGPU.csdata,"",@progbits
; Kernel info:
; codeLenInByte = 3404
; NumSgprs: 20
; NumVgprs: 38
; ScratchSize: 0
; MemoryBound: 0
; FloatMode: 240
; IeeeMode: 1
; LDSByteSize: 0 bytes/workgroup (compile time only)
; SGPRBlocks: 2
; VGPRBlocks: 4
; NumSGPRsForWavesPerEU: 20
; NumVGPRsForWavesPerEU: 38
; Occupancy: 16
; WaveLimiterHint : 0
; COMPUTE_PGM_RSRC2:SCRATCH_EN: 0
; COMPUTE_PGM_RSRC2:USER_SGPR: 15
; COMPUTE_PGM_RSRC2:TRAP_HANDLER: 0
; COMPUTE_PGM_RSRC2:TGID_X_EN: 1
; COMPUTE_PGM_RSRC2:TGID_Y_EN: 0
; COMPUTE_PGM_RSRC2:TGID_Z_EN: 0
; COMPUTE_PGM_RSRC2:TIDIG_COMP_CNT: 1
	.section	.text._ZN4vllm3moe10topkGatingILi8ELi256ELi4ELi16ELi64Ej14__hip_bfloat16LNS0_11ScoringFuncE0EEEvPKT5_PKbPfiPT4_PiiiibPKf,"axG",@progbits,_ZN4vllm3moe10topkGatingILi8ELi256ELi4ELi16ELi64Ej14__hip_bfloat16LNS0_11ScoringFuncE0EEEvPKT5_PKbPfiPT4_PiiiibPKf,comdat
	.protected	_ZN4vllm3moe10topkGatingILi8ELi256ELi4ELi16ELi64Ej14__hip_bfloat16LNS0_11ScoringFuncE0EEEvPKT5_PKbPfiPT4_PiiiibPKf ; -- Begin function _ZN4vllm3moe10topkGatingILi8ELi256ELi4ELi16ELi64Ej14__hip_bfloat16LNS0_11ScoringFuncE0EEEvPKT5_PKbPfiPT4_PiiiibPKf
	.globl	_ZN4vllm3moe10topkGatingILi8ELi256ELi4ELi16ELi64Ej14__hip_bfloat16LNS0_11ScoringFuncE0EEEvPKT5_PKbPfiPT4_PiiiibPKf
	.p2align	8
	.type	_ZN4vllm3moe10topkGatingILi8ELi256ELi4ELi16ELi64Ej14__hip_bfloat16LNS0_11ScoringFuncE0EEEvPKT5_PKbPfiPT4_PiiiibPKf,@function
_ZN4vllm3moe10topkGatingILi8ELi256ELi4ELi16ELi64Ej14__hip_bfloat16LNS0_11ScoringFuncE0EEEvPKT5_PKbPfiPT4_PiiiibPKf: ; @_ZN4vllm3moe10topkGatingILi8ELi256ELi4ELi16ELi64Ej14__hip_bfloat16LNS0_11ScoringFuncE0EEEvPKT5_PKbPfiPT4_PiiiibPKf
; %bb.0:
	s_load_b32 s14, s[0:1], 0x18
	v_bfe_u32 v1, v0, 10, 10
	v_and_b32_e32 v0, 0x3ff, v0
	s_lshl_b32 s2, s15, 3
	s_delay_alu instid0(VALU_DEP_2) | instskip(NEXT) | instid1(VALU_DEP_2)
	v_lshlrev_b32_e32 v1, 1, v1
	v_lshrrev_b32_e32 v2, 5, v0
	s_delay_alu instid0(VALU_DEP_1) | instskip(SKIP_2) | instid1(VALU_DEP_1)
	v_add3_u32 v16, s2, v1, v2
	s_mov_b32 s2, exec_lo
	s_waitcnt lgkmcnt(0)
	v_cmpx_gt_i32_e64 s14, v16
	s_cbranch_execz .LBB164_41
; %bb.1:
	s_clause 0x1
	s_load_b128 s[4:7], s[0:1], 0x0
	s_load_b64 s[12:13], s[0:1], 0x10
	s_mov_b32 s8, -1
	s_mov_b32 s15, -1
	s_waitcnt lgkmcnt(0)
	s_cmp_eq_u64 s[6:7], 0
	s_cbranch_scc1 .LBB164_3
; %bb.2:
	v_ashrrev_i32_e32 v2, 31, v16
	v_add_co_u32 v1, vcc_lo, s6, v16
	s_delay_alu instid0(VALU_DEP_2) | instskip(SKIP_3) | instid1(VALU_DEP_1)
	v_add_co_ci_u32_e32 v2, vcc_lo, s7, v2, vcc_lo
	global_load_u8 v1, v[1:2], off
	s_waitcnt vmcnt(0)
	v_and_b32_e32 v1, 1, v1
	v_cmp_eq_u32_e32 vcc_lo, 1, v1
	s_xor_b32 s2, vcc_lo, -1
	s_delay_alu instid0(SALU_CYCLE_1)
	s_or_not1_b32 s15, s2, exec_lo
.LBB164_3:
	v_mbcnt_lo_u32_b32 v7, -1, 0
	v_lshlrev_b32_e32 v1, 8, v16
	v_and_b32_e32 v17, 31, v0
	s_load_b64 s[2:3], s[0:1], 0x40
	s_delay_alu instid0(VALU_DEP_3) | instskip(NEXT) | instid1(VALU_DEP_3)
	v_xor_b32_e32 v11, 8, v7
	v_ashrrev_i32_e32 v2, 31, v1
	s_delay_alu instid0(VALU_DEP_1) | instskip(SKIP_1) | instid1(VALU_DEP_2)
	v_lshlrev_b64 v[0:1], 1, v[1:2]
	v_lshlrev_b32_e32 v2, 4, v17
	v_add_co_u32 v0, vcc_lo, s4, v0
	s_delay_alu instid0(VALU_DEP_3) | instskip(NEXT) | instid1(VALU_DEP_2)
	v_add_co_ci_u32_e32 v1, vcc_lo, s5, v1, vcc_lo
	v_add_co_u32 v0, vcc_lo, v0, v2
	s_delay_alu instid0(VALU_DEP_2)
	v_add_co_ci_u32_e32 v1, vcc_lo, 0, v1, vcc_lo
	s_waitcnt lgkmcnt(0)
	s_cmp_eq_u64 s[2:3], 0
	global_load_b128 v[0:3], v[0:1], off
	s_waitcnt vmcnt(0)
	v_and_b32_e32 v4, 0xffff0000, v0
	v_lshlrev_b32_e32 v0, 16, v0
	v_lshlrev_b32_e32 v8, 16, v1
	v_lshlrev_b32_e32 v10, 16, v3
	v_and_b32_e32 v1, 0xffff0000, v1
	v_max_f32_e32 v5, v4, v4
	v_dual_max_f32 v6, v0, v0 :: v_dual_and_b32 v3, 0xffff0000, v3
	s_delay_alu instid0(VALU_DEP_1) | instskip(SKIP_1) | instid1(VALU_DEP_2)
	v_max_f32_e32 v5, v6, v5
	v_xor_b32_e32 v6, 16, v7
	v_max3_f32 v5, v5, v8, v1
	s_delay_alu instid0(VALU_DEP_2) | instskip(SKIP_4) | instid1(VALU_DEP_2)
	v_cmp_gt_i32_e32 vcc_lo, 32, v6
	v_cndmask_b32_e32 v6, v7, v6, vcc_lo
	v_cmp_gt_i32_e32 vcc_lo, 32, v11
	v_cndmask_b32_e32 v11, v7, v11, vcc_lo
	v_lshlrev_b32_e32 v9, 16, v2
	v_lshlrev_b32_e32 v19, 2, v11
	v_xor_b32_e32 v11, 4, v7
	s_delay_alu instid0(VALU_DEP_1) | instskip(SKIP_1) | instid1(VALU_DEP_1)
	v_cmp_gt_i32_e32 vcc_lo, 32, v11
	v_dual_cndmask_b32 v11, v7, v11 :: v_dual_and_b32 v2, 0xffff0000, v2
	v_max3_f32 v5, v5, v9, v2
	s_delay_alu instid0(VALU_DEP_2) | instskip(SKIP_1) | instid1(VALU_DEP_3)
	v_lshlrev_b32_e32 v20, 2, v11
	v_xor_b32_e32 v11, 2, v7
	v_max3_f32 v5, v5, v10, v3
	s_delay_alu instid0(VALU_DEP_2) | instskip(SKIP_4) | instid1(VALU_DEP_1)
	v_cmp_gt_i32_e32 vcc_lo, 32, v11
	v_dual_cndmask_b32 v11, v7, v11 :: v_dual_lshlrev_b32 v18, 2, v6
	ds_bpermute_b32 v6, v18, v5
	v_lshlrev_b32_e32 v21, 2, v11
	v_xor_b32_e32 v11, 1, v7
	v_cmp_gt_i32_e32 vcc_lo, 32, v11
	s_waitcnt lgkmcnt(0)
	v_dual_cndmask_b32 v7, v7, v11 :: v_dual_max_f32 v6, v6, v6
	s_delay_alu instid0(VALU_DEP_1) | instskip(SKIP_3) | instid1(VALU_DEP_1)
	v_max_f32_e32 v5, v5, v6
	ds_bpermute_b32 v6, v19, v5
	s_waitcnt lgkmcnt(0)
	v_max_f32_e32 v6, v6, v6
	v_max_f32_e32 v5, v5, v6
	ds_bpermute_b32 v6, v20, v5
	s_waitcnt lgkmcnt(0)
	v_max_f32_e32 v6, v6, v6
	s_delay_alu instid0(VALU_DEP_1) | instskip(SKIP_3) | instid1(VALU_DEP_1)
	v_max_f32_e32 v5, v5, v6
	ds_bpermute_b32 v6, v21, v5
	s_waitcnt lgkmcnt(0)
	v_max_f32_e32 v6, v6, v6
	v_dual_max_f32 v5, v5, v6 :: v_dual_lshlrev_b32 v22, 2, v7
	ds_bpermute_b32 v6, v22, v5
	s_waitcnt lgkmcnt(0)
	v_max_f32_e32 v6, v6, v6
	s_delay_alu instid0(VALU_DEP_1) | instskip(NEXT) | instid1(VALU_DEP_1)
	v_max_f32_e32 v5, v5, v6
	v_sub_f32_e32 v0, v0, v5
	v_sub_f32_e32 v7, v9, v5
	s_delay_alu instid0(VALU_DEP_2) | instskip(NEXT) | instid1(VALU_DEP_2)
	v_cmp_ngt_f32_e32 vcc_lo, 0xc2ce8ed0, v0
	v_dual_mul_f32 v12, 0x3fb8aa3b, v7 :: v_dual_sub_f32 v3, v3, v5
	v_sub_f32_e32 v4, v4, v5
	v_sub_f32_e32 v6, v8, v5
	v_sub_f32_e32 v2, v2, v5
	v_sub_f32_e32 v1, v1, v5
	v_dual_mul_f32 v15, 0x3fb8aa3b, v3 :: v_dual_sub_f32 v8, v10, v5
	v_mul_f32_e32 v5, 0x3fb8aa3b, v0
	s_delay_alu instid0(VALU_DEP_4)
	v_mul_f32_e32 v13, 0x3fb8aa3b, v2
	v_rndne_f32_e32 v32, v12
	v_mul_f32_e32 v9, 0x3fb8aa3b, v4
	v_mul_f32_e32 v14, 0x3fb8aa3b, v8
	v_fma_f32 v31, 0x3fb8aa3b, v7, -v12
	v_dual_mul_f32 v10, 0x3fb8aa3b, v6 :: v_dual_mul_f32 v11, 0x3fb8aa3b, v1
	v_sub_f32_e32 v12, v12, v32
	v_rndne_f32_e32 v24, v5
	s_delay_alu instid0(VALU_DEP_4) | instskip(SKIP_3) | instid1(VALU_DEP_4)
	v_fmac_f32_e32 v31, 0x32a5705f, v7
	v_fma_f32 v23, 0x3fb8aa3b, v0, -v5
	v_fma_f32 v27, 0x3fb8aa3b, v6, -v10
	v_rndne_f32_e32 v28, v10
	v_dual_sub_f32 v5, v5, v24 :: v_dual_add_f32 v12, v12, v31
	v_cvt_i32_f32_e32 v32, v32
	v_fma_f32 v25, 0x3fb8aa3b, v4, -v9
	v_rndne_f32_e32 v26, v9
	v_fma_f32 v35, 0x3fb8aa3b, v8, -v14
	v_exp_f32_e32 v12, v12
	v_rndne_f32_e32 v36, v14
	s_delay_alu instid0(VALU_DEP_3) | instskip(NEXT) | instid1(VALU_DEP_3)
	v_dual_sub_f32 v10, v10, v28 :: v_dual_sub_f32 v9, v9, v26
	v_fmac_f32_e32 v35, 0x32a5705f, v8
	v_cvt_i32_f32_e32 v24, v24
	s_delay_alu instid0(VALU_DEP_4) | instskip(SKIP_3) | instid1(TRANS32_DEP_1)
	v_sub_f32_e32 v14, v14, v36
	v_fmac_f32_e32 v25, 0x32a5705f, v4
	v_cvt_i32_f32_e32 v26, v26
	v_cvt_i32_f32_e32 v28, v28
	v_ldexp_f32 v12, v12, v32
	v_dual_add_f32 v14, v14, v35 :: v_dual_fmac_f32 v27, 0x32a5705f, v6
	v_fmac_f32_e32 v23, 0x32a5705f, v0
	v_add_f32_e32 v9, v9, v25
	v_fma_f32 v29, 0x3fb8aa3b, v1, -v11
	v_rndne_f32_e32 v30, v11
	v_add_f32_e32 v10, v10, v27
	v_add_f32_e32 v5, v5, v23
	v_exp_f32_e32 v9, v9
	v_fma_f32 v33, 0x3fb8aa3b, v2, -v13
	v_rndne_f32_e32 v34, v13
	v_exp_f32_e32 v10, v10
	v_exp_f32_e32 v5, v5
	;; [unrolled: 1-line block ×3, first 2 shown]
	v_cvt_i32_f32_e32 v23, v36
	v_fma_f32 v37, 0x3fb8aa3b, v3, -v15
	v_rndne_f32_e32 v38, v15
	v_ldexp_f32 v9, v9, v26
	s_delay_alu instid0(TRANS32_DEP_3) | instskip(NEXT) | instid1(TRANS32_DEP_2)
	v_ldexp_f32 v10, v10, v28
	v_ldexp_f32 v5, v5, v24
	s_delay_alu instid0(TRANS32_DEP_1) | instskip(SKIP_2) | instid1(VALU_DEP_4)
	v_ldexp_f32 v14, v14, v23
	v_cvt_i32_f32_e32 v25, v38
	v_lshlrev_b32_e32 v23, 3, v17
	v_cndmask_b32_e32 v5, 0, v5, vcc_lo
	v_cmp_ngt_f32_e32 vcc_lo, 0xc2ce8ed0, v4
	v_cndmask_b32_e32 v9, 0, v9, vcc_lo
	v_cmp_ngt_f32_e32 vcc_lo, 0xc2ce8ed0, v6
	v_dual_fmac_f32 v29, 0x32a5705f, v1 :: v_dual_cndmask_b32 v10, 0, v10
	v_cmp_nlt_f32_e32 vcc_lo, 0x42b17218, v0
	v_sub_f32_e32 v11, v11, v30
	v_cvt_i32_f32_e32 v30, v30
	v_cndmask_b32_e32 v0, 0x7f800000, v5, vcc_lo
	s_delay_alu instid0(VALU_DEP_3)
	v_add_f32_e32 v11, v11, v29
	v_cmp_nlt_f32_e32 vcc_lo, 0x42b17218, v4
	v_fmac_f32_e32 v33, 0x32a5705f, v2
	v_sub_f32_e32 v13, v13, v34
	v_cvt_i32_f32_e32 v34, v34
	v_exp_f32_e32 v11, v11
	v_cndmask_b32_e32 v4, 0x7f800000, v9, vcc_lo
	v_cmp_ngt_f32_e32 vcc_lo, 0xc2ce8ed0, v1
	v_add_f32_e32 v13, v13, v33
	v_fmac_f32_e32 v37, 0x32a5705f, v3
	s_delay_alu instid0(VALU_DEP_4) | instskip(NEXT) | instid1(VALU_DEP_3)
	v_add_f32_e32 v9, v0, v4
	v_exp_f32_e32 v13, v13
	s_delay_alu instid0(TRANS32_DEP_2) | instskip(NEXT) | instid1(VALU_DEP_1)
	v_ldexp_f32 v11, v11, v30
	v_cndmask_b32_e32 v5, 0, v11, vcc_lo
	v_cmp_nlt_f32_e32 vcc_lo, 0x42b17218, v6
	s_waitcnt_depctr 0xfff
	v_ldexp_f32 v13, v13, v34
	v_cndmask_b32_e32 v6, 0x7f800000, v10, vcc_lo
	v_cmp_ngt_f32_e32 vcc_lo, 0xc2ce8ed0, v7
	v_cndmask_b32_e32 v10, 0, v12, vcc_lo
	v_cmp_nlt_f32_e32 vcc_lo, 0x42b17218, v1
	v_cndmask_b32_e32 v1, 0x7f800000, v5, vcc_lo
	v_cmp_ngt_f32_e32 vcc_lo, 0xc2ce8ed0, v2
	v_add_f32_e32 v5, v9, v6
	v_cndmask_b32_e32 v9, 0, v13, vcc_lo
	v_cmp_nlt_f32_e32 vcc_lo, 0x42b17218, v7
	s_delay_alu instid0(VALU_DEP_3) | instskip(SKIP_2) | instid1(VALU_DEP_2)
	v_add_f32_e32 v5, v5, v1
	v_cndmask_b32_e32 v7, 0x7f800000, v10, vcc_lo
	v_cmp_ngt_f32_e32 vcc_lo, 0xc2ce8ed0, v8
	v_dual_add_f32 v5, v5, v7 :: v_dual_cndmask_b32 v10, 0, v14
	v_cmp_nlt_f32_e32 vcc_lo, 0x42b17218, v2
	v_dual_sub_f32 v15, v15, v38 :: v_dual_cndmask_b32 v2, 0x7f800000, v9
	s_delay_alu instid0(VALU_DEP_1) | instskip(SKIP_1) | instid1(VALU_DEP_3)
	v_add_f32_e32 v15, v15, v37
	v_cmp_ngt_f32_e32 vcc_lo, 0xc2ce8ed0, v3
	v_add_f32_e32 v5, v5, v2
	s_delay_alu instid0(VALU_DEP_3) | instskip(SKIP_2) | instid1(VALU_DEP_1)
	v_exp_f32_e32 v15, v15
	s_waitcnt_depctr 0xfff
	v_ldexp_f32 v15, v15, v25
	v_cndmask_b32_e32 v9, 0, v15, vcc_lo
	v_cmp_nlt_f32_e32 vcc_lo, 0x42b17218, v8
	v_cndmask_b32_e32 v8, 0x7f800000, v10, vcc_lo
	v_cmp_nlt_f32_e32 vcc_lo, 0x42b17218, v3
	s_delay_alu instid0(VALU_DEP_2) | instskip(SKIP_1) | instid1(VALU_DEP_1)
	v_add_f32_e32 v5, v5, v8
	v_cndmask_b32_e32 v3, 0x7f800000, v9, vcc_lo
	v_add_f32_e32 v5, v5, v3
	ds_bpermute_b32 v9, v18, v5
	s_waitcnt lgkmcnt(0)
	v_add_f32_e32 v5, v5, v9
	ds_bpermute_b32 v9, v19, v5
	s_waitcnt lgkmcnt(0)
	;; [unrolled: 3-line block ×5, first 2 shown]
	v_add_f32_e32 v5, v5, v9
	s_delay_alu instid0(VALU_DEP_1) | instskip(SKIP_1) | instid1(VALU_DEP_2)
	v_div_scale_f32 v9, null, v5, v5, 1.0
	v_div_scale_f32 v12, vcc_lo, 1.0, v5, 1.0
	v_rcp_f32_e32 v10, v9
	s_waitcnt_depctr 0xfff
	v_fma_f32 v11, -v9, v10, 1.0
	s_delay_alu instid0(VALU_DEP_1) | instskip(NEXT) | instid1(VALU_DEP_1)
	v_fmac_f32_e32 v10, v11, v10
	v_mul_f32_e32 v11, v12, v10
	s_delay_alu instid0(VALU_DEP_1) | instskip(NEXT) | instid1(VALU_DEP_1)
	v_fma_f32 v13, -v9, v11, v12
	v_fmac_f32_e32 v11, v13, v10
	s_delay_alu instid0(VALU_DEP_1) | instskip(NEXT) | instid1(VALU_DEP_1)
	v_fma_f32 v9, -v9, v11, v12
	v_div_fmas_f32 v9, v9, v10, v11
	s_delay_alu instid0(VALU_DEP_1) | instskip(NEXT) | instid1(VALU_DEP_1)
	v_div_fixup_f32 v5, v9, v5, 1.0
	v_mul_f32_e32 v10, v5, v2
	v_mul_f32_e32 v0, v5, v0
	;; [unrolled: 1-line block ×6, first 2 shown]
	v_cmp_class_f32_e64 vcc_lo, v0, 0x1f8
	v_mul_f32_e32 v11, v5, v3
	v_mul_f32_e32 v8, v5, v8
	v_cndmask_b32_e32 v0, 0, v0, vcc_lo
	v_cmp_class_f32_e64 vcc_lo, v4, 0x1f8
	v_cndmask_b32_e32 v1, 0, v4, vcc_lo
	v_cmp_class_f32_e64 vcc_lo, v6, 0x1f8
	;; [unrolled: 2-line block ×7, first 2 shown]
	v_cndmask_b32_e32 v7, 0, v11, vcc_lo
	s_cbranch_scc1 .LBB164_35
; %bb.4:
	v_lshlrev_b32_e32 v12, 2, v23
	s_clause 0x1
	global_load_b128 v[8:11], v12, s[2:3]
	global_load_b128 v[12:15], v12, s[2:3] offset:16
	s_waitcnt vmcnt(1)
	v_dual_add_f32 v9, v9, v1 :: v_dual_add_f32 v8, v8, v0
	v_dual_add_f32 v11, v11, v3 :: v_dual_add_f32 v10, v10, v2
	s_waitcnt vmcnt(0)
	v_dual_add_f32 v13, v13, v5 :: v_dual_add_f32 v12, v12, v4
	v_dual_add_f32 v15, v15, v7 :: v_dual_add_f32 v14, v14, v6
	s_cbranch_execnz .LBB164_6
.LBB164_5:
	v_dual_mov_b32 v15, v7 :: v_dual_mov_b32 v14, v6
	v_dual_mov_b32 v13, v5 :: v_dual_mov_b32 v12, v4
	v_dual_mov_b32 v11, v3 :: v_dual_mov_b32 v10, v2
	v_dual_mov_b32 v9, v1 :: v_dual_mov_b32 v8, v0
.LBB164_6:
	s_load_b128 s[4:7], s[0:1], 0x30
	v_cmp_eq_u32_e64 s2, 0, v17
	s_waitcnt lgkmcnt(0)
	s_bitcmp1_b32 s7, 0
	s_mov_b32 s7, 0
	s_cselect_b32 vcc_lo, -1, 0
	s_cmp_gt_i32 s4, 0
	s_cselect_b32 s3, -1, 0
	s_cmp_lt_i32 s4, 1
	s_cbranch_scc1 .LBB164_36
; %bb.7:
	s_load_b128 s[8:11], s[0:1], 0x20
	v_mul_lo_u32 v25, v16, s4
	v_mov_b32_e32 v24, 0
	v_mov_b32_e32 v26, v16
	s_branch .LBB164_10
.LBB164_8:                              ;   in Loop: Header=BB164_10 Depth=1
	s_or_b32 exec_lo, exec_lo, s1
.LBB164_9:                              ;   in Loop: Header=BB164_10 Depth=1
	v_add_nc_u32_e32 v26, s14, v26
	s_cmp_eq_u32 s4, s7
	s_cbranch_scc1 .LBB164_37
.LBB164_10:                             ; =>This Inner Loop Header: Depth=1
	v_cmp_gt_f32_e64 s0, v9, v8
	s_mov_b32 s17, exec_lo
	s_delay_alu instid0(VALU_DEP_1) | instskip(SKIP_2) | instid1(VALU_DEP_3)
	v_cndmask_b32_e64 v27, v8, v9, s0
	v_cndmask_b32_e64 v28, 0, 1, s0
	;; [unrolled: 1-line block ×3, first 2 shown]
	v_cmp_gt_f32_e64 s1, v10, v27
	s_delay_alu instid0(VALU_DEP_1) | instskip(NEXT) | instid1(VALU_DEP_4)
	v_cndmask_b32_e64 v27, v27, v10, s1
	v_cndmask_b32_e64 v28, v28, 2, s1
	s_delay_alu instid0(VALU_DEP_4) | instskip(NEXT) | instid1(VALU_DEP_3)
	v_cndmask_b32_e64 v29, v29, v2, s1
	v_cmp_gt_f32_e64 s0, v11, v27
	s_delay_alu instid0(VALU_DEP_1) | instskip(NEXT) | instid1(VALU_DEP_4)
	v_cndmask_b32_e64 v27, v27, v11, s0
	v_cndmask_b32_e64 v28, v28, 3, s0
	s_delay_alu instid0(VALU_DEP_4) | instskip(NEXT) | instid1(VALU_DEP_3)
	v_cndmask_b32_e64 v29, v29, v3, s0
	;; [unrolled: 6-line block ×4, first 2 shown]
	v_cmp_gt_f32_e64 s1, v14, v27
	s_delay_alu instid0(VALU_DEP_1) | instskip(NEXT) | instid1(VALU_DEP_4)
	v_cndmask_b32_e64 v27, v27, v14, s1
	v_cndmask_b32_e64 v28, v28, 6, s1
	s_waitcnt lgkmcnt(0)
	v_cndmask_b32_e64 v30, v29, v6, s1
	s_delay_alu instid0(VALU_DEP_3) | instskip(NEXT) | instid1(VALU_DEP_1)
	v_cmp_gt_f32_e64 s0, v15, v27
	v_cndmask_b32_e64 v29, v27, v15, s0
	v_cndmask_b32_e64 v27, v28, 7, s0
	s_delay_alu instid0(VALU_DEP_4)
	v_cndmask_b32_e64 v28, v30, v7, s0
	ds_bpermute_b32 v30, v18, v29
	v_or_b32_e32 v27, v23, v27
	ds_bpermute_b32 v32, v18, v28
	ds_bpermute_b32 v31, v18, v27
	s_waitcnt lgkmcnt(0)
	v_cmp_lt_f32_e64 s16, v29, v30
	v_cmpx_nlt_f32_e32 v29, v30
; %bb.11:                               ;   in Loop: Header=BB164_10 Depth=1
	v_cmp_eq_f32_e64 s0, v29, v30
	v_cmp_lt_i32_e64 s1, v31, v27
	s_delay_alu instid0(VALU_DEP_1) | instskip(SKIP_2) | instid1(SALU_CYCLE_1)
	s_and_b32 s0, s0, s1
	s_and_not1_b32 s1, s16, exec_lo
	s_and_b32 s0, s0, exec_lo
	s_or_b32 s16, s1, s0
; %bb.12:                               ;   in Loop: Header=BB164_10 Depth=1
	s_or_b32 exec_lo, exec_lo, s17
	s_and_saveexec_b32 s0, s16
; %bb.13:                               ;   in Loop: Header=BB164_10 Depth=1
	v_dual_mov_b32 v28, v32 :: v_dual_mov_b32 v29, v30
	v_mov_b32_e32 v27, v31
; %bb.14:                               ;   in Loop: Header=BB164_10 Depth=1
	s_or_b32 exec_lo, exec_lo, s0
	ds_bpermute_b32 v31, v19, v29
	ds_bpermute_b32 v32, v19, v28
	;; [unrolled: 1-line block ×3, first 2 shown]
	s_mov_b32 s17, exec_lo
	s_waitcnt lgkmcnt(2)
	v_cmp_lt_f32_e64 s16, v29, v31
	v_cmpx_nlt_f32_e32 v29, v31
	s_cbranch_execz .LBB164_16
; %bb.15:                               ;   in Loop: Header=BB164_10 Depth=1
	v_cmp_eq_f32_e64 s0, v29, v31
	s_waitcnt lgkmcnt(0)
	v_cmp_lt_i32_e64 s1, v30, v27
	s_delay_alu instid0(VALU_DEP_1) | instskip(SKIP_2) | instid1(SALU_CYCLE_1)
	s_and_b32 s0, s0, s1
	s_and_not1_b32 s1, s16, exec_lo
	s_and_b32 s0, s0, exec_lo
	s_or_b32 s16, s1, s0
.LBB164_16:                             ;   in Loop: Header=BB164_10 Depth=1
	s_or_b32 exec_lo, exec_lo, s17
	s_delay_alu instid0(VALU_DEP_2)
	s_and_saveexec_b32 s0, s16
	s_cbranch_execz .LBB164_18
; %bb.17:                               ;   in Loop: Header=BB164_10 Depth=1
	s_waitcnt lgkmcnt(1)
	v_dual_mov_b32 v28, v32 :: v_dual_mov_b32 v29, v31
	s_waitcnt lgkmcnt(0)
	v_mov_b32_e32 v27, v30
.LBB164_18:                             ;   in Loop: Header=BB164_10 Depth=1
	s_or_b32 exec_lo, exec_lo, s0
	ds_bpermute_b32 v31, v20, v29
	s_waitcnt lgkmcnt(2)
	ds_bpermute_b32 v32, v20, v28
	s_waitcnt lgkmcnt(2)
	ds_bpermute_b32 v30, v20, v27
	s_mov_b32 s17, exec_lo
	s_waitcnt lgkmcnt(2)
	v_cmp_lt_f32_e64 s16, v29, v31
	v_cmpx_nlt_f32_e32 v29, v31
	s_cbranch_execz .LBB164_20
; %bb.19:                               ;   in Loop: Header=BB164_10 Depth=1
	v_cmp_eq_f32_e64 s0, v29, v31
	s_waitcnt lgkmcnt(0)
	v_cmp_lt_i32_e64 s1, v30, v27
	s_delay_alu instid0(VALU_DEP_1) | instskip(SKIP_2) | instid1(SALU_CYCLE_1)
	s_and_b32 s0, s0, s1
	s_and_not1_b32 s1, s16, exec_lo
	s_and_b32 s0, s0, exec_lo
	s_or_b32 s16, s1, s0
.LBB164_20:                             ;   in Loop: Header=BB164_10 Depth=1
	s_or_b32 exec_lo, exec_lo, s17
	s_delay_alu instid0(VALU_DEP_2)
	s_and_saveexec_b32 s0, s16
	s_cbranch_execz .LBB164_22
; %bb.21:                               ;   in Loop: Header=BB164_10 Depth=1
	s_waitcnt lgkmcnt(1)
	v_dual_mov_b32 v28, v32 :: v_dual_mov_b32 v29, v31
	s_waitcnt lgkmcnt(0)
	v_mov_b32_e32 v27, v30
.LBB164_22:                             ;   in Loop: Header=BB164_10 Depth=1
	s_or_b32 exec_lo, exec_lo, s0
	ds_bpermute_b32 v31, v21, v29
	s_waitcnt lgkmcnt(2)
	ds_bpermute_b32 v32, v21, v28
	s_waitcnt lgkmcnt(2)
	ds_bpermute_b32 v30, v21, v27
	s_mov_b32 s17, exec_lo
	s_waitcnt lgkmcnt(2)
	v_cmp_lt_f32_e64 s16, v29, v31
	v_cmpx_nlt_f32_e32 v29, v31
	s_cbranch_execz .LBB164_24
; %bb.23:                               ;   in Loop: Header=BB164_10 Depth=1
	v_cmp_eq_f32_e64 s0, v29, v31
	s_waitcnt lgkmcnt(0)
	v_cmp_lt_i32_e64 s1, v30, v27
	s_delay_alu instid0(VALU_DEP_1) | instskip(SKIP_2) | instid1(SALU_CYCLE_1)
	s_and_b32 s0, s0, s1
	s_and_not1_b32 s1, s16, exec_lo
	s_and_b32 s0, s0, exec_lo
	s_or_b32 s16, s1, s0
.LBB164_24:                             ;   in Loop: Header=BB164_10 Depth=1
	s_or_b32 exec_lo, exec_lo, s17
	s_delay_alu instid0(VALU_DEP_2)
	s_and_saveexec_b32 s0, s16
	s_cbranch_execz .LBB164_26
; %bb.25:                               ;   in Loop: Header=BB164_10 Depth=1
	s_waitcnt lgkmcnt(1)
	v_dual_mov_b32 v28, v32 :: v_dual_mov_b32 v29, v31
	s_waitcnt lgkmcnt(0)
	v_mov_b32_e32 v27, v30
.LBB164_26:                             ;   in Loop: Header=BB164_10 Depth=1
	s_or_b32 exec_lo, exec_lo, s0
	s_waitcnt lgkmcnt(1)
	ds_bpermute_b32 v32, v22, v29
	ds_bpermute_b32 v31, v22, v28
	s_waitcnt lgkmcnt(2)
	ds_bpermute_b32 v30, v22, v27
	s_mov_b32 s17, exec_lo
	s_waitcnt lgkmcnt(2)
	v_cmp_lt_f32_e64 s16, v29, v32
	v_cmpx_nlt_f32_e32 v29, v32
	s_cbranch_execnz .LBB164_30
; %bb.27:                               ;   in Loop: Header=BB164_10 Depth=1
	s_or_b32 exec_lo, exec_lo, s17
	s_delay_alu instid0(VALU_DEP_2)
	s_and_saveexec_b32 s0, s16
	s_cbranch_execnz .LBB164_31
.LBB164_28:                             ;   in Loop: Header=BB164_10 Depth=1
	s_or_b32 exec_lo, exec_lo, s0
	s_and_saveexec_b32 s16, s2
	s_cbranch_execnz .LBB164_32
.LBB164_29:                             ;   in Loop: Header=BB164_10 Depth=1
	s_or_b32 exec_lo, exec_lo, s16
	s_add_i32 s7, s7, 1
	s_delay_alu instid0(SALU_CYCLE_1)
	s_cmp_ge_i32 s7, s4
	s_cbranch_scc1 .LBB164_9
	s_branch .LBB164_33
.LBB164_30:                             ;   in Loop: Header=BB164_10 Depth=1
	v_cmp_eq_f32_e64 s0, v29, v32
	s_waitcnt lgkmcnt(0)
	v_cmp_lt_i32_e64 s1, v30, v27
	s_delay_alu instid0(VALU_DEP_1) | instskip(SKIP_2) | instid1(SALU_CYCLE_1)
	s_and_b32 s0, s0, s1
	s_and_not1_b32 s1, s16, exec_lo
	s_and_b32 s0, s0, exec_lo
	s_or_b32 s16, s1, s0
	s_or_b32 exec_lo, exec_lo, s17
	s_and_saveexec_b32 s0, s16
	s_cbranch_execz .LBB164_28
.LBB164_31:                             ;   in Loop: Header=BB164_10 Depth=1
	s_waitcnt lgkmcnt(0)
	v_dual_mov_b32 v28, v31 :: v_dual_mov_b32 v27, v30
	s_or_b32 exec_lo, exec_lo, s0
	s_and_saveexec_b32 s16, s2
	s_cbranch_execz .LBB164_29
.LBB164_32:                             ;   in Loop: Header=BB164_10 Depth=1
	s_delay_alu instid0(VALU_DEP_1)
	v_dual_add_f32 v36, v24, v28 :: v_dual_add_nc_u32 v29, s7, v25
	v_cmp_le_i32_e64 s0, s5, v27
	v_cmp_gt_i32_e64 s1, s6, v27
	s_waitcnt lgkmcnt(1)
	v_subrev_nc_u32_e32 v31, s5, v27
	s_waitcnt lgkmcnt(0)
	v_ashrrev_i32_e32 v30, 31, v29
	v_cndmask_b32_e32 v24, v24, v36, vcc_lo
	s_and_b32 s0, s0, s1
	s_delay_alu instid0(SALU_CYCLE_1) | instskip(NEXT) | instid1(VALU_DEP_2)
	s_and_b32 s0, s15, s0
	v_lshlrev_b64 v[29:30], 2, v[29:30]
	v_cndmask_b32_e64 v35, 0x100, v31, s0
	s_delay_alu instid0(VALU_DEP_2) | instskip(NEXT) | instid1(VALU_DEP_1)
	v_add_co_u32 v31, s0, s12, v29
	v_add_co_ci_u32_e64 v32, s0, s13, v30, s0
	v_add_co_u32 v33, s0, s8, v29
	s_delay_alu instid0(VALU_DEP_1) | instskip(SKIP_1) | instid1(VALU_DEP_1)
	v_add_co_ci_u32_e64 v34, s0, s9, v30, s0
	v_add_co_u32 v29, s0, s10, v29
	v_add_co_ci_u32_e64 v30, s0, s11, v30, s0
	global_store_b32 v[31:32], v28, off
	global_store_b32 v[33:34], v35, off
	global_store_b32 v[29:30], v26, off
	s_or_b32 exec_lo, exec_lo, s16
	s_add_i32 s7, s7, 1
	s_delay_alu instid0(SALU_CYCLE_1)
	s_cmp_ge_i32 s7, s4
	s_cbranch_scc1 .LBB164_9
.LBB164_33:                             ;   in Loop: Header=BB164_10 Depth=1
	v_ashrrev_i32_e32 v28, 31, v27
	s_mov_b32 s1, exec_lo
	s_delay_alu instid0(VALU_DEP_1) | instskip(NEXT) | instid1(VALU_DEP_1)
	v_lshrrev_b32_e32 v29, 29, v28
	v_add_nc_u32_e32 v29, v27, v29
	s_waitcnt lgkmcnt(0)
	s_delay_alu instid0(VALU_DEP_1) | instskip(SKIP_1) | instid1(VALU_DEP_2)
	v_ashrrev_i32_e32 v30, 31, v29
	v_ashrrev_i32_e32 v29, 3, v29
	v_lshrrev_b32_e32 v30, 27, v30
	s_delay_alu instid0(VALU_DEP_1) | instskip(NEXT) | instid1(VALU_DEP_1)
	v_add_nc_u32_e32 v30, v29, v30
	v_and_b32_e32 v30, 0xffffffe0, v30
	s_delay_alu instid0(VALU_DEP_1) | instskip(NEXT) | instid1(VALU_DEP_1)
	v_sub_nc_u32_e32 v30, v29, v30
	v_cmpx_eq_u32_e64 v17, v30
	s_cbranch_execz .LBB164_8
; %bb.34:                               ;   in Loop: Header=BB164_10 Depth=1
	v_lshrrev_b32_e32 v28, 24, v28
	v_lshlrev_b32_e32 v29, 3, v29
	s_delay_alu instid0(VALU_DEP_2) | instskip(NEXT) | instid1(VALU_DEP_2)
	v_add_nc_u32_e32 v28, v27, v28
	v_sub_nc_u32_e32 v27, v27, v29
	s_delay_alu instid0(VALU_DEP_2) | instskip(NEXT) | instid1(VALU_DEP_1)
	v_ashrrev_i32_e32 v28, 8, v28
	v_lshl_add_u32 v27, v28, 3, v27
	s_delay_alu instid0(VALU_DEP_1) | instskip(NEXT) | instid1(VALU_DEP_1)
	v_cmp_ne_u32_e64 s0, 7, v27
	v_cndmask_b32_e64 v15, 0xc61c4000, v15, s0
	v_cmp_ne_u32_e64 s0, 6, v27
	s_delay_alu instid0(VALU_DEP_1) | instskip(SKIP_1) | instid1(VALU_DEP_1)
	v_cndmask_b32_e64 v14, 0xc61c4000, v14, s0
	v_cmp_ne_u32_e64 s0, 5, v27
	v_cndmask_b32_e64 v13, 0xc61c4000, v13, s0
	v_cmp_ne_u32_e64 s0, 4, v27
	s_delay_alu instid0(VALU_DEP_1) | instskip(SKIP_1) | instid1(VALU_DEP_1)
	v_cndmask_b32_e64 v12, 0xc61c4000, v12, s0
	;; [unrolled: 5-line block ×3, first 2 shown]
	v_cmp_ne_u32_e64 s0, 1, v27
	v_cndmask_b32_e64 v9, 0xc61c4000, v9, s0
	v_cmp_ne_u32_e64 s0, 0, v27
	s_delay_alu instid0(VALU_DEP_1)
	v_cndmask_b32_e64 v8, 0xc61c4000, v8, s0
	s_branch .LBB164_8
.LBB164_35:
                                        ; implicit-def: $vgpr8_vgpr9_vgpr10_vgpr11_vgpr12_vgpr13_vgpr14_vgpr15
	s_and_not1_b32 vcc_lo, exec_lo, s8
	s_cbranch_vccz .LBB164_5
	s_branch .LBB164_6
.LBB164_36:
	v_mov_b32_e32 v24, 0
.LBB164_37:
	v_cmp_eq_u32_e64 s0, 0, v17
	s_delay_alu instid0(VALU_DEP_1) | instskip(NEXT) | instid1(SALU_CYCLE_1)
	s_and_b32 s0, s0, vcc_lo
	s_and_b32 exec_lo, exec_lo, s0
	s_cbranch_execz .LBB164_41
; %bb.38:
	s_and_not1_b32 vcc_lo, exec_lo, s3
	s_cbranch_vccnz .LBB164_41
; %bb.39:
	v_mul_lo_u32 v0, v16, s4
	v_cmp_lt_f32_e32 vcc_lo, 0, v24
	v_cndmask_b32_e32 v2, 1.0, v24, vcc_lo
	s_delay_alu instid0(VALU_DEP_3) | instskip(NEXT) | instid1(VALU_DEP_1)
	v_ashrrev_i32_e32 v1, 31, v0
	v_lshlrev_b64 v[0:1], 2, v[0:1]
	s_delay_alu instid0(VALU_DEP_1) | instskip(NEXT) | instid1(VALU_DEP_2)
	v_add_co_u32 v0, vcc_lo, s12, v0
	v_add_co_ci_u32_e32 v1, vcc_lo, s13, v1, vcc_lo
	.p2align	6
.LBB164_40:                             ; =>This Inner Loop Header: Depth=1
	global_load_b32 v3, v[0:1], off
	s_add_i32 s4, s4, -1
	s_delay_alu instid0(SALU_CYCLE_1) | instskip(SKIP_3) | instid1(VALU_DEP_2)
	s_cmp_lg_u32 s4, 0
	s_waitcnt vmcnt(0)
	v_div_scale_f32 v4, null, v2, v2, v3
	v_div_scale_f32 v7, vcc_lo, v3, v2, v3
	v_rcp_f32_e32 v5, v4
	s_waitcnt_depctr 0xfff
	v_fma_f32 v6, -v4, v5, 1.0
	s_delay_alu instid0(VALU_DEP_1) | instskip(NEXT) | instid1(VALU_DEP_1)
	v_fmac_f32_e32 v5, v6, v5
	v_mul_f32_e32 v6, v7, v5
	s_delay_alu instid0(VALU_DEP_1) | instskip(NEXT) | instid1(VALU_DEP_1)
	v_fma_f32 v8, -v4, v6, v7
	v_fmac_f32_e32 v6, v8, v5
	s_delay_alu instid0(VALU_DEP_1) | instskip(NEXT) | instid1(VALU_DEP_1)
	v_fma_f32 v4, -v4, v6, v7
	v_div_fmas_f32 v4, v4, v5, v6
	s_delay_alu instid0(VALU_DEP_1)
	v_div_fixup_f32 v3, v4, v2, v3
	global_store_b32 v[0:1], v3, off
	v_add_co_u32 v0, vcc_lo, v0, 4
	v_add_co_ci_u32_e32 v1, vcc_lo, 0, v1, vcc_lo
	s_cbranch_scc1 .LBB164_40
.LBB164_41:
	s_nop 0
	s_sendmsg sendmsg(MSG_DEALLOC_VGPRS)
	s_endpgm
	.section	.rodata,"a",@progbits
	.p2align	6, 0x0
	.amdhsa_kernel _ZN4vllm3moe10topkGatingILi8ELi256ELi4ELi16ELi64Ej14__hip_bfloat16LNS0_11ScoringFuncE0EEEvPKT5_PKbPfiPT4_PiiiibPKf
		.amdhsa_group_segment_fixed_size 0
		.amdhsa_private_segment_fixed_size 0
		.amdhsa_kernarg_size 72
		.amdhsa_user_sgpr_count 15
		.amdhsa_user_sgpr_dispatch_ptr 0
		.amdhsa_user_sgpr_queue_ptr 0
		.amdhsa_user_sgpr_kernarg_segment_ptr 1
		.amdhsa_user_sgpr_dispatch_id 0
		.amdhsa_user_sgpr_private_segment_size 0
		.amdhsa_wavefront_size32 1
		.amdhsa_uses_dynamic_stack 0
		.amdhsa_enable_private_segment 0
		.amdhsa_system_sgpr_workgroup_id_x 1
		.amdhsa_system_sgpr_workgroup_id_y 0
		.amdhsa_system_sgpr_workgroup_id_z 0
		.amdhsa_system_sgpr_workgroup_info 0
		.amdhsa_system_vgpr_workitem_id 1
		.amdhsa_next_free_vgpr 39
		.amdhsa_next_free_sgpr 18
		.amdhsa_reserve_vcc 1
		.amdhsa_float_round_mode_32 0
		.amdhsa_float_round_mode_16_64 0
		.amdhsa_float_denorm_mode_32 3
		.amdhsa_float_denorm_mode_16_64 3
		.amdhsa_dx10_clamp 1
		.amdhsa_ieee_mode 1
		.amdhsa_fp16_overflow 0
		.amdhsa_workgroup_processor_mode 1
		.amdhsa_memory_ordered 1
		.amdhsa_forward_progress 0
		.amdhsa_shared_vgpr_count 0
		.amdhsa_exception_fp_ieee_invalid_op 0
		.amdhsa_exception_fp_denorm_src 0
		.amdhsa_exception_fp_ieee_div_zero 0
		.amdhsa_exception_fp_ieee_overflow 0
		.amdhsa_exception_fp_ieee_underflow 0
		.amdhsa_exception_fp_ieee_inexact 0
		.amdhsa_exception_int_div_zero 0
	.end_amdhsa_kernel
	.section	.text._ZN4vllm3moe10topkGatingILi8ELi256ELi4ELi16ELi64Ej14__hip_bfloat16LNS0_11ScoringFuncE0EEEvPKT5_PKbPfiPT4_PiiiibPKf,"axG",@progbits,_ZN4vllm3moe10topkGatingILi8ELi256ELi4ELi16ELi64Ej14__hip_bfloat16LNS0_11ScoringFuncE0EEEvPKT5_PKbPfiPT4_PiiiibPKf,comdat
.Lfunc_end164:
	.size	_ZN4vllm3moe10topkGatingILi8ELi256ELi4ELi16ELi64Ej14__hip_bfloat16LNS0_11ScoringFuncE0EEEvPKT5_PKbPfiPT4_PiiiibPKf, .Lfunc_end164-_ZN4vllm3moe10topkGatingILi8ELi256ELi4ELi16ELi64Ej14__hip_bfloat16LNS0_11ScoringFuncE0EEEvPKT5_PKbPfiPT4_PiiiibPKf
                                        ; -- End function
	.section	.AMDGPU.csdata,"",@progbits
; Kernel info:
; codeLenInByte = 3580
; NumSgprs: 20
; NumVgprs: 39
; ScratchSize: 0
; MemoryBound: 0
; FloatMode: 240
; IeeeMode: 1
; LDSByteSize: 0 bytes/workgroup (compile time only)
; SGPRBlocks: 2
; VGPRBlocks: 4
; NumSGPRsForWavesPerEU: 20
; NumVGPRsForWavesPerEU: 39
; Occupancy: 16
; WaveLimiterHint : 0
; COMPUTE_PGM_RSRC2:SCRATCH_EN: 0
; COMPUTE_PGM_RSRC2:USER_SGPR: 15
; COMPUTE_PGM_RSRC2:TRAP_HANDLER: 0
; COMPUTE_PGM_RSRC2:TGID_X_EN: 1
; COMPUTE_PGM_RSRC2:TGID_Y_EN: 0
; COMPUTE_PGM_RSRC2:TGID_Z_EN: 0
; COMPUTE_PGM_RSRC2:TIDIG_COMP_CNT: 1
	.section	.text._ZN4vllm3moe10topkGatingILi8ELi256ELi4ELi16ELi32Ej14__hip_bfloat16LNS0_11ScoringFuncE0EEEvPKT5_PKbPfiPT4_PiiiibPKf,"axG",@progbits,_ZN4vllm3moe10topkGatingILi8ELi256ELi4ELi16ELi32Ej14__hip_bfloat16LNS0_11ScoringFuncE0EEEvPKT5_PKbPfiPT4_PiiiibPKf,comdat
	.protected	_ZN4vllm3moe10topkGatingILi8ELi256ELi4ELi16ELi32Ej14__hip_bfloat16LNS0_11ScoringFuncE0EEEvPKT5_PKbPfiPT4_PiiiibPKf ; -- Begin function _ZN4vllm3moe10topkGatingILi8ELi256ELi4ELi16ELi32Ej14__hip_bfloat16LNS0_11ScoringFuncE0EEEvPKT5_PKbPfiPT4_PiiiibPKf
	.globl	_ZN4vllm3moe10topkGatingILi8ELi256ELi4ELi16ELi32Ej14__hip_bfloat16LNS0_11ScoringFuncE0EEEvPKT5_PKbPfiPT4_PiiiibPKf
	.p2align	8
	.type	_ZN4vllm3moe10topkGatingILi8ELi256ELi4ELi16ELi32Ej14__hip_bfloat16LNS0_11ScoringFuncE0EEEvPKT5_PKbPfiPT4_PiiiibPKf,@function
_ZN4vllm3moe10topkGatingILi8ELi256ELi4ELi16ELi32Ej14__hip_bfloat16LNS0_11ScoringFuncE0EEEvPKT5_PKbPfiPT4_PiiiibPKf: ; @_ZN4vllm3moe10topkGatingILi8ELi256ELi4ELi16ELi32Ej14__hip_bfloat16LNS0_11ScoringFuncE0EEEvPKT5_PKbPfiPT4_PiiiibPKf
; %bb.0:
	s_load_b32 s14, s[0:1], 0x18
	v_and_b32_e32 v1, 0x3ff, v0
	v_bfe_u32 v0, v0, 10, 10
	s_lshl_b32 s2, s15, 2
	s_delay_alu instid0(VALU_DEP_2) | instskip(NEXT) | instid1(VALU_DEP_1)
	v_lshrrev_b32_e32 v2, 5, v1
	v_add3_u32 v16, s2, v0, v2
	s_mov_b32 s2, exec_lo
	s_waitcnt lgkmcnt(0)
	s_delay_alu instid0(VALU_DEP_1)
	v_cmpx_gt_i32_e64 s14, v16
	s_cbranch_execz .LBB165_41
; %bb.1:
	s_clause 0x1
	s_load_b128 s[4:7], s[0:1], 0x0
	s_load_b64 s[12:13], s[0:1], 0x10
	s_mov_b32 s8, -1
	s_mov_b32 s15, -1
	s_waitcnt lgkmcnt(0)
	s_cmp_eq_u64 s[6:7], 0
	s_cbranch_scc1 .LBB165_3
; %bb.2:
	v_ashrrev_i32_e32 v0, 31, v16
	v_add_co_u32 v2, vcc_lo, s6, v16
	s_delay_alu instid0(VALU_DEP_2) | instskip(SKIP_3) | instid1(VALU_DEP_1)
	v_add_co_ci_u32_e32 v3, vcc_lo, s7, v0, vcc_lo
	global_load_u8 v0, v[2:3], off
	s_waitcnt vmcnt(0)
	v_and_b32_e32 v0, 1, v0
	v_cmp_eq_u32_e32 vcc_lo, 1, v0
	s_xor_b32 s2, vcc_lo, -1
	s_delay_alu instid0(SALU_CYCLE_1)
	s_or_not1_b32 s15, s2, exec_lo
.LBB165_3:
	v_lshlrev_b32_e32 v2, 8, v16
	v_and_b32_e32 v17, 31, v1
	v_mbcnt_lo_u32_b32 v7, -1, 0
	s_load_b64 s[2:3], s[0:1], 0x40
	s_delay_alu instid0(VALU_DEP_3) | instskip(NEXT) | instid1(VALU_DEP_2)
	v_ashrrev_i32_e32 v3, 31, v2
	v_xor_b32_e32 v11, 8, v7
	s_delay_alu instid0(VALU_DEP_2) | instskip(SKIP_1) | instid1(VALU_DEP_2)
	v_lshlrev_b64 v[0:1], 1, v[2:3]
	v_lshlrev_b32_e32 v2, 4, v17
	v_add_co_u32 v0, vcc_lo, s4, v0
	s_delay_alu instid0(VALU_DEP_3) | instskip(NEXT) | instid1(VALU_DEP_2)
	v_add_co_ci_u32_e32 v1, vcc_lo, s5, v1, vcc_lo
	v_add_co_u32 v0, vcc_lo, v0, v2
	s_delay_alu instid0(VALU_DEP_2)
	v_add_co_ci_u32_e32 v1, vcc_lo, 0, v1, vcc_lo
	s_waitcnt lgkmcnt(0)
	s_cmp_eq_u64 s[2:3], 0
	global_load_b128 v[0:3], v[0:1], off
	s_waitcnt vmcnt(0)
	v_and_b32_e32 v4, 0xffff0000, v0
	v_lshlrev_b32_e32 v0, 16, v0
	v_lshlrev_b32_e32 v9, 16, v2
	;; [unrolled: 1-line block ×3, first 2 shown]
	v_and_b32_e32 v3, 0xffff0000, v3
	v_max_f32_e32 v5, v4, v4
	v_max_f32_e32 v6, v0, v0
	s_delay_alu instid0(VALU_DEP_1) | instskip(SKIP_1) | instid1(VALU_DEP_1)
	v_max_f32_e32 v5, v6, v5
	v_xor_b32_e32 v6, 16, v7
	v_cmp_gt_i32_e32 vcc_lo, 32, v6
	v_cndmask_b32_e32 v6, v7, v6, vcc_lo
	v_cmp_gt_i32_e32 vcc_lo, 32, v11
	v_cndmask_b32_e32 v11, v7, v11, vcc_lo
	s_delay_alu instid0(VALU_DEP_1) | instskip(SKIP_1) | instid1(VALU_DEP_1)
	v_lshlrev_b32_e32 v19, 2, v11
	v_xor_b32_e32 v11, 4, v7
	v_cmp_gt_i32_e32 vcc_lo, 32, v11
	v_lshlrev_b32_e32 v8, 16, v1
	v_and_b32_e32 v1, 0xffff0000, v1
	v_cndmask_b32_e32 v11, v7, v11, vcc_lo
	s_delay_alu instid0(VALU_DEP_2) | instskip(NEXT) | instid1(VALU_DEP_2)
	v_max3_f32 v5, v5, v8, v1
	v_lshlrev_b32_e32 v20, 2, v11
	v_xor_b32_e32 v11, 2, v7
	s_delay_alu instid0(VALU_DEP_1) | instskip(SKIP_1) | instid1(VALU_DEP_1)
	v_cmp_gt_i32_e32 vcc_lo, 32, v11
	v_dual_cndmask_b32 v11, v7, v11 :: v_dual_and_b32 v2, 0xffff0000, v2
	v_max3_f32 v5, v5, v9, v2
	s_delay_alu instid0(VALU_DEP_2) | instskip(SKIP_1) | instid1(VALU_DEP_3)
	v_lshlrev_b32_e32 v21, 2, v11
	v_xor_b32_e32 v11, 1, v7
	v_max3_f32 v5, v5, v10, v3
	s_delay_alu instid0(VALU_DEP_2) | instskip(SKIP_4) | instid1(VALU_DEP_1)
	v_cmp_gt_i32_e32 vcc_lo, 32, v11
	v_dual_cndmask_b32 v7, v7, v11 :: v_dual_lshlrev_b32 v18, 2, v6
	ds_bpermute_b32 v6, v18, v5
	s_waitcnt lgkmcnt(0)
	v_max_f32_e32 v6, v6, v6
	v_max_f32_e32 v5, v5, v6
	ds_bpermute_b32 v6, v19, v5
	s_waitcnt lgkmcnt(0)
	v_max_f32_e32 v6, v6, v6
	s_delay_alu instid0(VALU_DEP_1) | instskip(SKIP_3) | instid1(VALU_DEP_1)
	v_max_f32_e32 v5, v5, v6
	ds_bpermute_b32 v6, v20, v5
	s_waitcnt lgkmcnt(0)
	v_max_f32_e32 v6, v6, v6
	v_max_f32_e32 v5, v5, v6
	ds_bpermute_b32 v6, v21, v5
	s_waitcnt lgkmcnt(0)
	v_max_f32_e32 v6, v6, v6
	s_delay_alu instid0(VALU_DEP_1) | instskip(SKIP_3) | instid1(VALU_DEP_1)
	v_dual_max_f32 v5, v5, v6 :: v_dual_lshlrev_b32 v22, 2, v7
	ds_bpermute_b32 v6, v22, v5
	s_waitcnt lgkmcnt(0)
	v_max_f32_e32 v6, v6, v6
	v_max_f32_e32 v5, v5, v6
	s_delay_alu instid0(VALU_DEP_1) | instskip(SKIP_1) | instid1(VALU_DEP_2)
	v_sub_f32_e32 v0, v0, v5
	v_sub_f32_e32 v7, v9, v5
	v_cmp_ngt_f32_e32 vcc_lo, 0xc2ce8ed0, v0
	s_delay_alu instid0(VALU_DEP_2)
	v_mul_f32_e32 v12, 0x3fb8aa3b, v7
	v_sub_f32_e32 v4, v4, v5
	v_sub_f32_e32 v6, v8, v5
	;; [unrolled: 1-line block ×5, first 2 shown]
	v_rndne_f32_e32 v32, v12
	v_fma_f32 v31, 0x3fb8aa3b, v7, -v12
	v_dual_mul_f32 v15, 0x3fb8aa3b, v3 :: v_dual_sub_f32 v8, v10, v5
	s_delay_alu instid0(VALU_DEP_4) | instskip(SKIP_4) | instid1(VALU_DEP_3)
	v_mul_f32_e32 v13, 0x3fb8aa3b, v2
	v_mul_f32_e32 v5, 0x3fb8aa3b, v0
	v_dual_mul_f32 v9, 0x3fb8aa3b, v4 :: v_dual_mul_f32 v10, 0x3fb8aa3b, v6
	v_dual_sub_f32 v12, v12, v32 :: v_dual_mul_f32 v11, 0x3fb8aa3b, v1
	v_mul_f32_e32 v14, 0x3fb8aa3b, v8
	v_rndne_f32_e32 v26, v9
	s_delay_alu instid0(VALU_DEP_4) | instskip(SKIP_4) | instid1(VALU_DEP_4)
	v_fma_f32 v27, 0x3fb8aa3b, v6, -v10
	v_rndne_f32_e32 v28, v10
	v_fma_f32 v23, 0x3fb8aa3b, v0, -v5
	v_fma_f32 v25, 0x3fb8aa3b, v4, -v9
	v_sub_f32_e32 v9, v9, v26
	v_dual_fmac_f32 v27, 0x32a5705f, v6 :: v_dual_sub_f32 v10, v10, v28
	s_delay_alu instid0(VALU_DEP_4)
	v_fmac_f32_e32 v23, 0x32a5705f, v0
	v_rndne_f32_e32 v24, v5
	v_cvt_i32_f32_e32 v28, v28
	v_fma_f32 v29, 0x3fb8aa3b, v1, -v11
	v_add_f32_e32 v10, v10, v27
	v_fma_f32 v35, 0x3fb8aa3b, v8, -v14
	v_rndne_f32_e32 v36, v14
	v_cvt_i32_f32_e32 v26, v26
	v_fmac_f32_e32 v29, 0x32a5705f, v1
	v_exp_f32_e32 v10, v10
	v_fmac_f32_e32 v35, 0x32a5705f, v8
	v_sub_f32_e32 v14, v14, v36
	v_fmac_f32_e32 v25, 0x32a5705f, v4
	v_rndne_f32_e32 v30, v11
	v_rndne_f32_e32 v34, v13
	v_fma_f32 v33, 0x3fb8aa3b, v2, -v13
	s_delay_alu instid0(VALU_DEP_4) | instskip(SKIP_1) | instid1(TRANS32_DEP_1)
	v_dual_add_f32 v14, v14, v35 :: v_dual_add_f32 v9, v9, v25
	v_cvt_i32_f32_e32 v32, v32
	v_ldexp_f32 v10, v10, v28
	v_fmac_f32_e32 v31, 0x32a5705f, v7
	v_sub_f32_e32 v5, v5, v24
	v_cvt_i32_f32_e32 v24, v24
	v_exp_f32_e32 v9, v9
	v_exp_f32_e32 v14, v14
	v_add_f32_e32 v12, v12, v31
	v_add_f32_e32 v5, v5, v23
	v_cvt_i32_f32_e32 v23, v36
	v_fma_f32 v37, 0x3fb8aa3b, v3, -v15
	v_rndne_f32_e32 v38, v15
	v_exp_f32_e32 v12, v12
	v_exp_f32_e32 v5, v5
	v_ldexp_f32 v9, v9, v26
	s_delay_alu instid0(TRANS32_DEP_3) | instskip(SKIP_3) | instid1(TRANS32_DEP_2)
	v_ldexp_f32 v14, v14, v23
	v_fmac_f32_e32 v37, 0x32a5705f, v3
	v_cvt_i32_f32_e32 v25, v38
	v_lshlrev_b32_e32 v23, 3, v17
	v_ldexp_f32 v12, v12, v32
	s_delay_alu instid0(TRANS32_DEP_1) | instskip(NEXT) | instid1(VALU_DEP_1)
	v_ldexp_f32 v5, v5, v24
	v_cndmask_b32_e32 v5, 0, v5, vcc_lo
	v_cmp_ngt_f32_e32 vcc_lo, 0xc2ce8ed0, v4
	v_cndmask_b32_e32 v9, 0, v9, vcc_lo
	v_cmp_ngt_f32_e32 vcc_lo, 0xc2ce8ed0, v6
	v_cndmask_b32_e32 v10, 0, v10, vcc_lo
	v_cmp_nlt_f32_e32 vcc_lo, 0x42b17218, v0
	v_sub_f32_e32 v11, v11, v30
	v_cvt_i32_f32_e32 v30, v30
	v_cndmask_b32_e32 v0, 0x7f800000, v5, vcc_lo
	s_delay_alu instid0(VALU_DEP_3) | instskip(SKIP_3) | instid1(VALU_DEP_4)
	v_add_f32_e32 v11, v11, v29
	v_cmp_nlt_f32_e32 vcc_lo, 0x42b17218, v4
	v_sub_f32_e32 v13, v13, v34
	v_cvt_i32_f32_e32 v34, v34
	v_exp_f32_e32 v11, v11
	v_cndmask_b32_e32 v4, 0x7f800000, v9, vcc_lo
	v_cmp_ngt_f32_e32 vcc_lo, 0xc2ce8ed0, v1
	s_delay_alu instid0(VALU_DEP_2) | instskip(SKIP_2) | instid1(VALU_DEP_1)
	v_add_f32_e32 v9, v0, v4
	s_waitcnt_depctr 0xfff
	v_ldexp_f32 v11, v11, v30
	v_cndmask_b32_e32 v5, 0, v11, vcc_lo
	v_cmp_nlt_f32_e32 vcc_lo, 0x42b17218, v6
	v_cndmask_b32_e32 v6, 0x7f800000, v10, vcc_lo
	v_cmp_ngt_f32_e32 vcc_lo, 0xc2ce8ed0, v7
	v_dual_fmac_f32 v33, 0x32a5705f, v2 :: v_dual_cndmask_b32 v10, 0, v12
	s_delay_alu instid0(VALU_DEP_1) | instskip(SKIP_1) | instid1(VALU_DEP_2)
	v_add_f32_e32 v13, v13, v33
	v_cmp_nlt_f32_e32 vcc_lo, 0x42b17218, v1
	v_exp_f32_e32 v13, v13
	v_cndmask_b32_e32 v1, 0x7f800000, v5, vcc_lo
	v_cmp_ngt_f32_e32 vcc_lo, 0xc2ce8ed0, v2
	v_add_f32_e32 v5, v9, v6
	s_delay_alu instid0(VALU_DEP_1) | instskip(SKIP_2) | instid1(VALU_DEP_1)
	v_add_f32_e32 v5, v5, v1
	s_waitcnt_depctr 0xfff
	v_ldexp_f32 v13, v13, v34
	v_cndmask_b32_e32 v9, 0, v13, vcc_lo
	v_cmp_nlt_f32_e32 vcc_lo, 0x42b17218, v7
	v_cndmask_b32_e32 v7, 0x7f800000, v10, vcc_lo
	v_cmp_ngt_f32_e32 vcc_lo, 0xc2ce8ed0, v8
	s_delay_alu instid0(VALU_DEP_2) | instskip(SKIP_2) | instid1(VALU_DEP_1)
	v_dual_add_f32 v5, v5, v7 :: v_dual_cndmask_b32 v10, 0, v14
	v_cmp_nlt_f32_e32 vcc_lo, 0x42b17218, v2
	v_dual_sub_f32 v15, v15, v38 :: v_dual_cndmask_b32 v2, 0x7f800000, v9
	v_add_f32_e32 v15, v15, v37
	v_cmp_ngt_f32_e32 vcc_lo, 0xc2ce8ed0, v3
	s_delay_alu instid0(VALU_DEP_3) | instskip(NEXT) | instid1(VALU_DEP_3)
	v_add_f32_e32 v5, v5, v2
	v_exp_f32_e32 v15, v15
	s_waitcnt_depctr 0xfff
	v_ldexp_f32 v15, v15, v25
	s_delay_alu instid0(VALU_DEP_1) | instskip(SKIP_3) | instid1(VALU_DEP_2)
	v_cndmask_b32_e32 v9, 0, v15, vcc_lo
	v_cmp_nlt_f32_e32 vcc_lo, 0x42b17218, v8
	v_cndmask_b32_e32 v8, 0x7f800000, v10, vcc_lo
	v_cmp_nlt_f32_e32 vcc_lo, 0x42b17218, v3
	v_add_f32_e32 v5, v5, v8
	v_cndmask_b32_e32 v3, 0x7f800000, v9, vcc_lo
	s_delay_alu instid0(VALU_DEP_1)
	v_add_f32_e32 v5, v5, v3
	ds_bpermute_b32 v9, v18, v5
	s_waitcnt lgkmcnt(0)
	v_add_f32_e32 v5, v5, v9
	ds_bpermute_b32 v9, v19, v5
	s_waitcnt lgkmcnt(0)
	v_add_f32_e32 v5, v5, v9
	ds_bpermute_b32 v9, v20, v5
	s_waitcnt lgkmcnt(0)
	v_add_f32_e32 v5, v5, v9
	ds_bpermute_b32 v9, v21, v5
	s_waitcnt lgkmcnt(0)
	v_add_f32_e32 v5, v5, v9
	ds_bpermute_b32 v9, v22, v5
	s_waitcnt lgkmcnt(0)
	v_add_f32_e32 v5, v5, v9
	s_delay_alu instid0(VALU_DEP_1) | instskip(SKIP_1) | instid1(VALU_DEP_2)
	v_div_scale_f32 v9, null, v5, v5, 1.0
	v_div_scale_f32 v12, vcc_lo, 1.0, v5, 1.0
	v_rcp_f32_e32 v10, v9
	s_waitcnt_depctr 0xfff
	v_fma_f32 v11, -v9, v10, 1.0
	s_delay_alu instid0(VALU_DEP_1) | instskip(NEXT) | instid1(VALU_DEP_1)
	v_fmac_f32_e32 v10, v11, v10
	v_mul_f32_e32 v11, v12, v10
	s_delay_alu instid0(VALU_DEP_1) | instskip(NEXT) | instid1(VALU_DEP_1)
	v_fma_f32 v13, -v9, v11, v12
	v_fmac_f32_e32 v11, v13, v10
	s_delay_alu instid0(VALU_DEP_1) | instskip(NEXT) | instid1(VALU_DEP_1)
	v_fma_f32 v9, -v9, v11, v12
	v_div_fmas_f32 v9, v9, v10, v11
	s_delay_alu instid0(VALU_DEP_1) | instskip(NEXT) | instid1(VALU_DEP_1)
	v_div_fixup_f32 v5, v9, v5, 1.0
	v_mul_f32_e32 v4, v5, v4
	v_mul_f32_e32 v0, v5, v0
	;; [unrolled: 1-line block ×6, first 2 shown]
	v_cmp_class_f32_e64 vcc_lo, v0, 0x1f8
	v_mul_f32_e32 v10, v5, v2
	v_dual_mul_f32 v11, v5, v3 :: v_dual_cndmask_b32 v0, 0, v0
	v_cmp_class_f32_e64 vcc_lo, v4, 0x1f8
	v_cndmask_b32_e32 v1, 0, v4, vcc_lo
	v_cmp_class_f32_e64 vcc_lo, v6, 0x1f8
	v_cndmask_b32_e32 v2, 0, v6, vcc_lo
	v_cmp_class_f32_e64 vcc_lo, v9, 0x1f8
	v_cndmask_b32_e32 v3, 0, v9, vcc_lo
	v_cmp_class_f32_e64 vcc_lo, v7, 0x1f8
	v_cndmask_b32_e32 v4, 0, v7, vcc_lo
	v_cmp_class_f32_e64 vcc_lo, v10, 0x1f8
	v_cndmask_b32_e32 v5, 0, v10, vcc_lo
	v_cmp_class_f32_e64 vcc_lo, v8, 0x1f8
	v_cndmask_b32_e32 v6, 0, v8, vcc_lo
	v_cmp_class_f32_e64 vcc_lo, v11, 0x1f8
	v_cndmask_b32_e32 v7, 0, v11, vcc_lo
	s_cbranch_scc1 .LBB165_35
; %bb.4:
	v_lshlrev_b32_e32 v12, 2, v23
	s_clause 0x1
	global_load_b128 v[8:11], v12, s[2:3]
	global_load_b128 v[12:15], v12, s[2:3] offset:16
	s_waitcnt vmcnt(1)
	v_dual_add_f32 v9, v9, v1 :: v_dual_add_f32 v8, v8, v0
	v_dual_add_f32 v11, v11, v3 :: v_dual_add_f32 v10, v10, v2
	s_waitcnt vmcnt(0)
	v_dual_add_f32 v13, v13, v5 :: v_dual_add_f32 v12, v12, v4
	v_dual_add_f32 v15, v15, v7 :: v_dual_add_f32 v14, v14, v6
	s_cbranch_execnz .LBB165_6
.LBB165_5:
	v_dual_mov_b32 v15, v7 :: v_dual_mov_b32 v14, v6
	v_dual_mov_b32 v13, v5 :: v_dual_mov_b32 v12, v4
	;; [unrolled: 1-line block ×4, first 2 shown]
.LBB165_6:
	s_load_b128 s[4:7], s[0:1], 0x30
	v_cmp_eq_u32_e64 s2, 0, v17
	s_waitcnt lgkmcnt(0)
	s_bitcmp1_b32 s7, 0
	s_mov_b32 s7, 0
	s_cselect_b32 vcc_lo, -1, 0
	s_cmp_gt_i32 s4, 0
	s_cselect_b32 s3, -1, 0
	s_cmp_lt_i32 s4, 1
	s_cbranch_scc1 .LBB165_36
; %bb.7:
	s_load_b128 s[8:11], s[0:1], 0x20
	v_mul_lo_u32 v25, v16, s4
	v_mov_b32_e32 v24, 0
	v_mov_b32_e32 v26, v16
	s_branch .LBB165_10
.LBB165_8:                              ;   in Loop: Header=BB165_10 Depth=1
	s_or_b32 exec_lo, exec_lo, s1
.LBB165_9:                              ;   in Loop: Header=BB165_10 Depth=1
	v_add_nc_u32_e32 v26, s14, v26
	s_cmp_eq_u32 s4, s7
	s_cbranch_scc1 .LBB165_37
.LBB165_10:                             ; =>This Inner Loop Header: Depth=1
	v_cmp_gt_f32_e64 s0, v9, v8
	s_mov_b32 s17, exec_lo
	s_delay_alu instid0(VALU_DEP_1) | instskip(SKIP_2) | instid1(VALU_DEP_3)
	v_cndmask_b32_e64 v27, v8, v9, s0
	v_cndmask_b32_e64 v28, 0, 1, s0
	;; [unrolled: 1-line block ×3, first 2 shown]
	v_cmp_gt_f32_e64 s1, v10, v27
	s_delay_alu instid0(VALU_DEP_1) | instskip(NEXT) | instid1(VALU_DEP_4)
	v_cndmask_b32_e64 v27, v27, v10, s1
	v_cndmask_b32_e64 v28, v28, 2, s1
	s_delay_alu instid0(VALU_DEP_4) | instskip(NEXT) | instid1(VALU_DEP_3)
	v_cndmask_b32_e64 v29, v29, v2, s1
	v_cmp_gt_f32_e64 s0, v11, v27
	s_delay_alu instid0(VALU_DEP_1) | instskip(NEXT) | instid1(VALU_DEP_4)
	v_cndmask_b32_e64 v27, v27, v11, s0
	v_cndmask_b32_e64 v28, v28, 3, s0
	s_delay_alu instid0(VALU_DEP_4) | instskip(NEXT) | instid1(VALU_DEP_3)
	v_cndmask_b32_e64 v29, v29, v3, s0
	;; [unrolled: 6-line block ×4, first 2 shown]
	v_cmp_gt_f32_e64 s1, v14, v27
	s_delay_alu instid0(VALU_DEP_1) | instskip(NEXT) | instid1(VALU_DEP_4)
	v_cndmask_b32_e64 v27, v27, v14, s1
	v_cndmask_b32_e64 v28, v28, 6, s1
	s_waitcnt lgkmcnt(0)
	v_cndmask_b32_e64 v30, v29, v6, s1
	s_delay_alu instid0(VALU_DEP_3) | instskip(NEXT) | instid1(VALU_DEP_1)
	v_cmp_gt_f32_e64 s0, v15, v27
	v_cndmask_b32_e64 v29, v27, v15, s0
	v_cndmask_b32_e64 v27, v28, 7, s0
	s_delay_alu instid0(VALU_DEP_4)
	v_cndmask_b32_e64 v28, v30, v7, s0
	ds_bpermute_b32 v30, v18, v29
	v_or_b32_e32 v27, v23, v27
	ds_bpermute_b32 v32, v18, v28
	ds_bpermute_b32 v31, v18, v27
	s_waitcnt lgkmcnt(0)
	v_cmp_lt_f32_e64 s16, v29, v30
	v_cmpx_nlt_f32_e32 v29, v30
; %bb.11:                               ;   in Loop: Header=BB165_10 Depth=1
	v_cmp_eq_f32_e64 s0, v29, v30
	v_cmp_lt_i32_e64 s1, v31, v27
	s_delay_alu instid0(VALU_DEP_1) | instskip(SKIP_2) | instid1(SALU_CYCLE_1)
	s_and_b32 s0, s0, s1
	s_and_not1_b32 s1, s16, exec_lo
	s_and_b32 s0, s0, exec_lo
	s_or_b32 s16, s1, s0
; %bb.12:                               ;   in Loop: Header=BB165_10 Depth=1
	s_or_b32 exec_lo, exec_lo, s17
	s_and_saveexec_b32 s0, s16
; %bb.13:                               ;   in Loop: Header=BB165_10 Depth=1
	v_dual_mov_b32 v28, v32 :: v_dual_mov_b32 v29, v30
	v_mov_b32_e32 v27, v31
; %bb.14:                               ;   in Loop: Header=BB165_10 Depth=1
	s_or_b32 exec_lo, exec_lo, s0
	ds_bpermute_b32 v31, v19, v29
	ds_bpermute_b32 v32, v19, v28
	ds_bpermute_b32 v30, v19, v27
	s_mov_b32 s17, exec_lo
	s_waitcnt lgkmcnt(2)
	v_cmp_lt_f32_e64 s16, v29, v31
	v_cmpx_nlt_f32_e32 v29, v31
	s_cbranch_execz .LBB165_16
; %bb.15:                               ;   in Loop: Header=BB165_10 Depth=1
	v_cmp_eq_f32_e64 s0, v29, v31
	s_waitcnt lgkmcnt(0)
	v_cmp_lt_i32_e64 s1, v30, v27
	s_delay_alu instid0(VALU_DEP_1) | instskip(SKIP_2) | instid1(SALU_CYCLE_1)
	s_and_b32 s0, s0, s1
	s_and_not1_b32 s1, s16, exec_lo
	s_and_b32 s0, s0, exec_lo
	s_or_b32 s16, s1, s0
.LBB165_16:                             ;   in Loop: Header=BB165_10 Depth=1
	s_or_b32 exec_lo, exec_lo, s17
	s_delay_alu instid0(VALU_DEP_2)
	s_and_saveexec_b32 s0, s16
	s_cbranch_execz .LBB165_18
; %bb.17:                               ;   in Loop: Header=BB165_10 Depth=1
	s_waitcnt lgkmcnt(1)
	v_dual_mov_b32 v28, v32 :: v_dual_mov_b32 v29, v31
	s_waitcnt lgkmcnt(0)
	v_mov_b32_e32 v27, v30
.LBB165_18:                             ;   in Loop: Header=BB165_10 Depth=1
	s_or_b32 exec_lo, exec_lo, s0
	ds_bpermute_b32 v31, v20, v29
	s_waitcnt lgkmcnt(2)
	ds_bpermute_b32 v32, v20, v28
	s_waitcnt lgkmcnt(2)
	ds_bpermute_b32 v30, v20, v27
	s_mov_b32 s17, exec_lo
	s_waitcnt lgkmcnt(2)
	v_cmp_lt_f32_e64 s16, v29, v31
	v_cmpx_nlt_f32_e32 v29, v31
	s_cbranch_execz .LBB165_20
; %bb.19:                               ;   in Loop: Header=BB165_10 Depth=1
	v_cmp_eq_f32_e64 s0, v29, v31
	s_waitcnt lgkmcnt(0)
	v_cmp_lt_i32_e64 s1, v30, v27
	s_delay_alu instid0(VALU_DEP_1) | instskip(SKIP_2) | instid1(SALU_CYCLE_1)
	s_and_b32 s0, s0, s1
	s_and_not1_b32 s1, s16, exec_lo
	s_and_b32 s0, s0, exec_lo
	s_or_b32 s16, s1, s0
.LBB165_20:                             ;   in Loop: Header=BB165_10 Depth=1
	s_or_b32 exec_lo, exec_lo, s17
	s_delay_alu instid0(VALU_DEP_2)
	s_and_saveexec_b32 s0, s16
	s_cbranch_execz .LBB165_22
; %bb.21:                               ;   in Loop: Header=BB165_10 Depth=1
	s_waitcnt lgkmcnt(1)
	v_dual_mov_b32 v28, v32 :: v_dual_mov_b32 v29, v31
	s_waitcnt lgkmcnt(0)
	v_mov_b32_e32 v27, v30
.LBB165_22:                             ;   in Loop: Header=BB165_10 Depth=1
	s_or_b32 exec_lo, exec_lo, s0
	ds_bpermute_b32 v31, v21, v29
	s_waitcnt lgkmcnt(2)
	ds_bpermute_b32 v32, v21, v28
	s_waitcnt lgkmcnt(2)
	ds_bpermute_b32 v30, v21, v27
	s_mov_b32 s17, exec_lo
	s_waitcnt lgkmcnt(2)
	v_cmp_lt_f32_e64 s16, v29, v31
	v_cmpx_nlt_f32_e32 v29, v31
	s_cbranch_execz .LBB165_24
; %bb.23:                               ;   in Loop: Header=BB165_10 Depth=1
	v_cmp_eq_f32_e64 s0, v29, v31
	s_waitcnt lgkmcnt(0)
	v_cmp_lt_i32_e64 s1, v30, v27
	s_delay_alu instid0(VALU_DEP_1) | instskip(SKIP_2) | instid1(SALU_CYCLE_1)
	s_and_b32 s0, s0, s1
	s_and_not1_b32 s1, s16, exec_lo
	s_and_b32 s0, s0, exec_lo
	s_or_b32 s16, s1, s0
.LBB165_24:                             ;   in Loop: Header=BB165_10 Depth=1
	s_or_b32 exec_lo, exec_lo, s17
	s_delay_alu instid0(VALU_DEP_2)
	s_and_saveexec_b32 s0, s16
	s_cbranch_execz .LBB165_26
; %bb.25:                               ;   in Loop: Header=BB165_10 Depth=1
	s_waitcnt lgkmcnt(1)
	v_dual_mov_b32 v28, v32 :: v_dual_mov_b32 v29, v31
	s_waitcnt lgkmcnt(0)
	v_mov_b32_e32 v27, v30
.LBB165_26:                             ;   in Loop: Header=BB165_10 Depth=1
	s_or_b32 exec_lo, exec_lo, s0
	s_waitcnt lgkmcnt(1)
	ds_bpermute_b32 v32, v22, v29
	ds_bpermute_b32 v31, v22, v28
	s_waitcnt lgkmcnt(2)
	ds_bpermute_b32 v30, v22, v27
	s_mov_b32 s17, exec_lo
	s_waitcnt lgkmcnt(2)
	v_cmp_lt_f32_e64 s16, v29, v32
	v_cmpx_nlt_f32_e32 v29, v32
	s_cbranch_execnz .LBB165_30
; %bb.27:                               ;   in Loop: Header=BB165_10 Depth=1
	s_or_b32 exec_lo, exec_lo, s17
	s_delay_alu instid0(VALU_DEP_2)
	s_and_saveexec_b32 s0, s16
	s_cbranch_execnz .LBB165_31
.LBB165_28:                             ;   in Loop: Header=BB165_10 Depth=1
	s_or_b32 exec_lo, exec_lo, s0
	s_and_saveexec_b32 s16, s2
	s_cbranch_execnz .LBB165_32
.LBB165_29:                             ;   in Loop: Header=BB165_10 Depth=1
	s_or_b32 exec_lo, exec_lo, s16
	s_add_i32 s7, s7, 1
	s_delay_alu instid0(SALU_CYCLE_1)
	s_cmp_ge_i32 s7, s4
	s_cbranch_scc1 .LBB165_9
	s_branch .LBB165_33
.LBB165_30:                             ;   in Loop: Header=BB165_10 Depth=1
	v_cmp_eq_f32_e64 s0, v29, v32
	s_waitcnt lgkmcnt(0)
	v_cmp_lt_i32_e64 s1, v30, v27
	s_delay_alu instid0(VALU_DEP_1) | instskip(SKIP_2) | instid1(SALU_CYCLE_1)
	s_and_b32 s0, s0, s1
	s_and_not1_b32 s1, s16, exec_lo
	s_and_b32 s0, s0, exec_lo
	s_or_b32 s16, s1, s0
	s_or_b32 exec_lo, exec_lo, s17
	s_and_saveexec_b32 s0, s16
	s_cbranch_execz .LBB165_28
.LBB165_31:                             ;   in Loop: Header=BB165_10 Depth=1
	s_waitcnt lgkmcnt(0)
	v_dual_mov_b32 v28, v31 :: v_dual_mov_b32 v27, v30
	s_or_b32 exec_lo, exec_lo, s0
	s_and_saveexec_b32 s16, s2
	s_cbranch_execz .LBB165_29
.LBB165_32:                             ;   in Loop: Header=BB165_10 Depth=1
	s_delay_alu instid0(VALU_DEP_1)
	v_dual_add_f32 v36, v24, v28 :: v_dual_add_nc_u32 v29, s7, v25
	v_cmp_le_i32_e64 s0, s5, v27
	v_cmp_gt_i32_e64 s1, s6, v27
	s_waitcnt lgkmcnt(1)
	v_subrev_nc_u32_e32 v31, s5, v27
	s_waitcnt lgkmcnt(0)
	v_ashrrev_i32_e32 v30, 31, v29
	v_cndmask_b32_e32 v24, v24, v36, vcc_lo
	s_and_b32 s0, s0, s1
	s_delay_alu instid0(SALU_CYCLE_1) | instskip(NEXT) | instid1(VALU_DEP_2)
	s_and_b32 s0, s15, s0
	v_lshlrev_b64 v[29:30], 2, v[29:30]
	v_cndmask_b32_e64 v35, 0x100, v31, s0
	s_delay_alu instid0(VALU_DEP_2) | instskip(NEXT) | instid1(VALU_DEP_1)
	v_add_co_u32 v31, s0, s12, v29
	v_add_co_ci_u32_e64 v32, s0, s13, v30, s0
	v_add_co_u32 v33, s0, s8, v29
	s_delay_alu instid0(VALU_DEP_1) | instskip(SKIP_1) | instid1(VALU_DEP_1)
	v_add_co_ci_u32_e64 v34, s0, s9, v30, s0
	v_add_co_u32 v29, s0, s10, v29
	v_add_co_ci_u32_e64 v30, s0, s11, v30, s0
	global_store_b32 v[31:32], v28, off
	global_store_b32 v[33:34], v35, off
	;; [unrolled: 1-line block ×3, first 2 shown]
	s_or_b32 exec_lo, exec_lo, s16
	s_add_i32 s7, s7, 1
	s_delay_alu instid0(SALU_CYCLE_1)
	s_cmp_ge_i32 s7, s4
	s_cbranch_scc1 .LBB165_9
.LBB165_33:                             ;   in Loop: Header=BB165_10 Depth=1
	v_ashrrev_i32_e32 v28, 31, v27
	s_mov_b32 s1, exec_lo
	s_delay_alu instid0(VALU_DEP_1) | instskip(NEXT) | instid1(VALU_DEP_1)
	v_lshrrev_b32_e32 v29, 29, v28
	v_add_nc_u32_e32 v29, v27, v29
	s_waitcnt lgkmcnt(0)
	s_delay_alu instid0(VALU_DEP_1) | instskip(SKIP_1) | instid1(VALU_DEP_2)
	v_ashrrev_i32_e32 v30, 31, v29
	v_ashrrev_i32_e32 v29, 3, v29
	v_lshrrev_b32_e32 v30, 27, v30
	s_delay_alu instid0(VALU_DEP_1) | instskip(NEXT) | instid1(VALU_DEP_1)
	v_add_nc_u32_e32 v30, v29, v30
	v_and_b32_e32 v30, 0xffffffe0, v30
	s_delay_alu instid0(VALU_DEP_1) | instskip(NEXT) | instid1(VALU_DEP_1)
	v_sub_nc_u32_e32 v30, v29, v30
	v_cmpx_eq_u32_e64 v17, v30
	s_cbranch_execz .LBB165_8
; %bb.34:                               ;   in Loop: Header=BB165_10 Depth=1
	v_lshrrev_b32_e32 v28, 24, v28
	v_lshlrev_b32_e32 v29, 3, v29
	s_delay_alu instid0(VALU_DEP_2) | instskip(NEXT) | instid1(VALU_DEP_2)
	v_add_nc_u32_e32 v28, v27, v28
	v_sub_nc_u32_e32 v27, v27, v29
	s_delay_alu instid0(VALU_DEP_2) | instskip(NEXT) | instid1(VALU_DEP_1)
	v_ashrrev_i32_e32 v28, 8, v28
	v_lshl_add_u32 v27, v28, 3, v27
	s_delay_alu instid0(VALU_DEP_1) | instskip(NEXT) | instid1(VALU_DEP_1)
	v_cmp_ne_u32_e64 s0, 7, v27
	v_cndmask_b32_e64 v15, 0xc61c4000, v15, s0
	v_cmp_ne_u32_e64 s0, 6, v27
	s_delay_alu instid0(VALU_DEP_1) | instskip(SKIP_1) | instid1(VALU_DEP_1)
	v_cndmask_b32_e64 v14, 0xc61c4000, v14, s0
	v_cmp_ne_u32_e64 s0, 5, v27
	v_cndmask_b32_e64 v13, 0xc61c4000, v13, s0
	v_cmp_ne_u32_e64 s0, 4, v27
	s_delay_alu instid0(VALU_DEP_1) | instskip(SKIP_1) | instid1(VALU_DEP_1)
	v_cndmask_b32_e64 v12, 0xc61c4000, v12, s0
	;; [unrolled: 5-line block ×3, first 2 shown]
	v_cmp_ne_u32_e64 s0, 1, v27
	v_cndmask_b32_e64 v9, 0xc61c4000, v9, s0
	v_cmp_ne_u32_e64 s0, 0, v27
	s_delay_alu instid0(VALU_DEP_1)
	v_cndmask_b32_e64 v8, 0xc61c4000, v8, s0
	s_branch .LBB165_8
.LBB165_35:
                                        ; implicit-def: $vgpr8_vgpr9_vgpr10_vgpr11_vgpr12_vgpr13_vgpr14_vgpr15
	s_and_not1_b32 vcc_lo, exec_lo, s8
	s_cbranch_vccz .LBB165_5
	s_branch .LBB165_6
.LBB165_36:
	v_mov_b32_e32 v24, 0
.LBB165_37:
	v_cmp_eq_u32_e64 s0, 0, v17
	s_delay_alu instid0(VALU_DEP_1) | instskip(NEXT) | instid1(SALU_CYCLE_1)
	s_and_b32 s0, s0, vcc_lo
	s_and_b32 exec_lo, exec_lo, s0
	s_cbranch_execz .LBB165_41
; %bb.38:
	s_and_not1_b32 vcc_lo, exec_lo, s3
	s_cbranch_vccnz .LBB165_41
; %bb.39:
	v_mul_lo_u32 v0, v16, s4
	v_cmp_lt_f32_e32 vcc_lo, 0, v24
	v_cndmask_b32_e32 v2, 1.0, v24, vcc_lo
	s_delay_alu instid0(VALU_DEP_3) | instskip(NEXT) | instid1(VALU_DEP_1)
	v_ashrrev_i32_e32 v1, 31, v0
	v_lshlrev_b64 v[0:1], 2, v[0:1]
	s_delay_alu instid0(VALU_DEP_1) | instskip(NEXT) | instid1(VALU_DEP_2)
	v_add_co_u32 v0, vcc_lo, s12, v0
	v_add_co_ci_u32_e32 v1, vcc_lo, s13, v1, vcc_lo
	.p2align	6
.LBB165_40:                             ; =>This Inner Loop Header: Depth=1
	global_load_b32 v3, v[0:1], off
	s_add_i32 s4, s4, -1
	s_delay_alu instid0(SALU_CYCLE_1) | instskip(SKIP_3) | instid1(VALU_DEP_2)
	s_cmp_lg_u32 s4, 0
	s_waitcnt vmcnt(0)
	v_div_scale_f32 v4, null, v2, v2, v3
	v_div_scale_f32 v7, vcc_lo, v3, v2, v3
	v_rcp_f32_e32 v5, v4
	s_waitcnt_depctr 0xfff
	v_fma_f32 v6, -v4, v5, 1.0
	s_delay_alu instid0(VALU_DEP_1) | instskip(NEXT) | instid1(VALU_DEP_1)
	v_fmac_f32_e32 v5, v6, v5
	v_mul_f32_e32 v6, v7, v5
	s_delay_alu instid0(VALU_DEP_1) | instskip(NEXT) | instid1(VALU_DEP_1)
	v_fma_f32 v8, -v4, v6, v7
	v_fmac_f32_e32 v6, v8, v5
	s_delay_alu instid0(VALU_DEP_1) | instskip(NEXT) | instid1(VALU_DEP_1)
	v_fma_f32 v4, -v4, v6, v7
	v_div_fmas_f32 v4, v4, v5, v6
	s_delay_alu instid0(VALU_DEP_1)
	v_div_fixup_f32 v3, v4, v2, v3
	global_store_b32 v[0:1], v3, off
	v_add_co_u32 v0, vcc_lo, v0, 4
	v_add_co_ci_u32_e32 v1, vcc_lo, 0, v1, vcc_lo
	s_cbranch_scc1 .LBB165_40
.LBB165_41:
	s_nop 0
	s_sendmsg sendmsg(MSG_DEALLOC_VGPRS)
	s_endpgm
	.section	.rodata,"a",@progbits
	.p2align	6, 0x0
	.amdhsa_kernel _ZN4vllm3moe10topkGatingILi8ELi256ELi4ELi16ELi32Ej14__hip_bfloat16LNS0_11ScoringFuncE0EEEvPKT5_PKbPfiPT4_PiiiibPKf
		.amdhsa_group_segment_fixed_size 0
		.amdhsa_private_segment_fixed_size 0
		.amdhsa_kernarg_size 72
		.amdhsa_user_sgpr_count 15
		.amdhsa_user_sgpr_dispatch_ptr 0
		.amdhsa_user_sgpr_queue_ptr 0
		.amdhsa_user_sgpr_kernarg_segment_ptr 1
		.amdhsa_user_sgpr_dispatch_id 0
		.amdhsa_user_sgpr_private_segment_size 0
		.amdhsa_wavefront_size32 1
		.amdhsa_uses_dynamic_stack 0
		.amdhsa_enable_private_segment 0
		.amdhsa_system_sgpr_workgroup_id_x 1
		.amdhsa_system_sgpr_workgroup_id_y 0
		.amdhsa_system_sgpr_workgroup_id_z 0
		.amdhsa_system_sgpr_workgroup_info 0
		.amdhsa_system_vgpr_workitem_id 1
		.amdhsa_next_free_vgpr 39
		.amdhsa_next_free_sgpr 18
		.amdhsa_reserve_vcc 1
		.amdhsa_float_round_mode_32 0
		.amdhsa_float_round_mode_16_64 0
		.amdhsa_float_denorm_mode_32 3
		.amdhsa_float_denorm_mode_16_64 3
		.amdhsa_dx10_clamp 1
		.amdhsa_ieee_mode 1
		.amdhsa_fp16_overflow 0
		.amdhsa_workgroup_processor_mode 1
		.amdhsa_memory_ordered 1
		.amdhsa_forward_progress 0
		.amdhsa_shared_vgpr_count 0
		.amdhsa_exception_fp_ieee_invalid_op 0
		.amdhsa_exception_fp_denorm_src 0
		.amdhsa_exception_fp_ieee_div_zero 0
		.amdhsa_exception_fp_ieee_overflow 0
		.amdhsa_exception_fp_ieee_underflow 0
		.amdhsa_exception_fp_ieee_inexact 0
		.amdhsa_exception_int_div_zero 0
	.end_amdhsa_kernel
	.section	.text._ZN4vllm3moe10topkGatingILi8ELi256ELi4ELi16ELi32Ej14__hip_bfloat16LNS0_11ScoringFuncE0EEEvPKT5_PKbPfiPT4_PiiiibPKf,"axG",@progbits,_ZN4vllm3moe10topkGatingILi8ELi256ELi4ELi16ELi32Ej14__hip_bfloat16LNS0_11ScoringFuncE0EEEvPKT5_PKbPfiPT4_PiiiibPKf,comdat
.Lfunc_end165:
	.size	_ZN4vllm3moe10topkGatingILi8ELi256ELi4ELi16ELi32Ej14__hip_bfloat16LNS0_11ScoringFuncE0EEEvPKT5_PKbPfiPT4_PiiiibPKf, .Lfunc_end165-_ZN4vllm3moe10topkGatingILi8ELi256ELi4ELi16ELi32Ej14__hip_bfloat16LNS0_11ScoringFuncE0EEEvPKT5_PKbPfiPT4_PiiiibPKf
                                        ; -- End function
	.section	.AMDGPU.csdata,"",@progbits
; Kernel info:
; codeLenInByte = 3588
; NumSgprs: 20
; NumVgprs: 39
; ScratchSize: 0
; MemoryBound: 0
; FloatMode: 240
; IeeeMode: 1
; LDSByteSize: 0 bytes/workgroup (compile time only)
; SGPRBlocks: 2
; VGPRBlocks: 4
; NumSGPRsForWavesPerEU: 20
; NumVGPRsForWavesPerEU: 39
; Occupancy: 16
; WaveLimiterHint : 0
; COMPUTE_PGM_RSRC2:SCRATCH_EN: 0
; COMPUTE_PGM_RSRC2:USER_SGPR: 15
; COMPUTE_PGM_RSRC2:TRAP_HANDLER: 0
; COMPUTE_PGM_RSRC2:TGID_X_EN: 1
; COMPUTE_PGM_RSRC2:TGID_Y_EN: 0
; COMPUTE_PGM_RSRC2:TGID_Z_EN: 0
; COMPUTE_PGM_RSRC2:TIDIG_COMP_CNT: 1
	.section	.text._ZN4vllm3moe10topkGatingILi8ELi512ELi4ELi16ELi64Ej14__hip_bfloat16LNS0_11ScoringFuncE0EEEvPKT5_PKbPfiPT4_PiiiibPKf,"axG",@progbits,_ZN4vllm3moe10topkGatingILi8ELi512ELi4ELi16ELi64Ej14__hip_bfloat16LNS0_11ScoringFuncE0EEEvPKT5_PKbPfiPT4_PiiiibPKf,comdat
	.protected	_ZN4vllm3moe10topkGatingILi8ELi512ELi4ELi16ELi64Ej14__hip_bfloat16LNS0_11ScoringFuncE0EEEvPKT5_PKbPfiPT4_PiiiibPKf ; -- Begin function _ZN4vllm3moe10topkGatingILi8ELi512ELi4ELi16ELi64Ej14__hip_bfloat16LNS0_11ScoringFuncE0EEEvPKT5_PKbPfiPT4_PiiiibPKf
	.globl	_ZN4vllm3moe10topkGatingILi8ELi512ELi4ELi16ELi64Ej14__hip_bfloat16LNS0_11ScoringFuncE0EEEvPKT5_PKbPfiPT4_PiiiibPKf
	.p2align	8
	.type	_ZN4vllm3moe10topkGatingILi8ELi512ELi4ELi16ELi64Ej14__hip_bfloat16LNS0_11ScoringFuncE0EEEvPKT5_PKbPfiPT4_PiiiibPKf,@function
_ZN4vllm3moe10topkGatingILi8ELi512ELi4ELi16ELi64Ej14__hip_bfloat16LNS0_11ScoringFuncE0EEEvPKT5_PKbPfiPT4_PiiiibPKf: ; @_ZN4vllm3moe10topkGatingILi8ELi512ELi4ELi16ELi64Ej14__hip_bfloat16LNS0_11ScoringFuncE0EEEvPKT5_PKbPfiPT4_PiiiibPKf
; %bb.0:
	s_load_b32 s14, s[0:1], 0x18
	v_and_b32_e32 v1, 0x3ff, v0
	v_bfe_u32 v0, v0, 10, 10
	s_lshl_b32 s2, s15, 2
	s_delay_alu instid0(VALU_DEP_2) | instskip(NEXT) | instid1(VALU_DEP_1)
	v_lshrrev_b32_e32 v2, 6, v1
	v_add3_u32 v16, s2, v0, v2
	s_mov_b32 s2, exec_lo
	s_waitcnt lgkmcnt(0)
	s_delay_alu instid0(VALU_DEP_1)
	v_cmpx_gt_i32_e64 s14, v16
	s_cbranch_execz .LBB166_45
; %bb.1:
	s_clause 0x1
	s_load_b128 s[4:7], s[0:1], 0x0
	s_load_b64 s[12:13], s[0:1], 0x10
	s_mov_b32 s8, -1
	s_mov_b32 s15, -1
	s_waitcnt lgkmcnt(0)
	s_cmp_eq_u64 s[6:7], 0
	s_cbranch_scc1 .LBB166_3
; %bb.2:
	v_ashrrev_i32_e32 v0, 31, v16
	v_add_co_u32 v2, vcc_lo, s6, v16
	s_delay_alu instid0(VALU_DEP_2) | instskip(SKIP_3) | instid1(VALU_DEP_1)
	v_add_co_ci_u32_e32 v3, vcc_lo, s7, v0, vcc_lo
	global_load_u8 v0, v[2:3], off
	s_waitcnt vmcnt(0)
	v_and_b32_e32 v0, 1, v0
	v_cmp_eq_u32_e32 vcc_lo, 1, v0
	s_xor_b32 s2, vcc_lo, -1
	s_delay_alu instid0(SALU_CYCLE_1)
	s_or_not1_b32 s15, s2, exec_lo
.LBB166_3:
	v_lshlrev_b32_e32 v2, 9, v16
	v_and_b32_e32 v17, 63, v1
	v_mbcnt_lo_u32_b32 v7, -1, 0
	s_load_b64 s[2:3], s[0:1], 0x40
	s_delay_alu instid0(VALU_DEP_3) | instskip(NEXT) | instid1(VALU_DEP_2)
	v_ashrrev_i32_e32 v3, 31, v2
	v_xor_b32_e32 v11, 16, v7
	s_delay_alu instid0(VALU_DEP_2) | instskip(SKIP_1) | instid1(VALU_DEP_2)
	v_lshlrev_b64 v[0:1], 1, v[2:3]
	v_lshlrev_b32_e32 v2, 4, v17
	v_add_co_u32 v0, vcc_lo, s4, v0
	s_delay_alu instid0(VALU_DEP_3) | instskip(NEXT) | instid1(VALU_DEP_2)
	v_add_co_ci_u32_e32 v1, vcc_lo, s5, v1, vcc_lo
	v_add_co_u32 v0, vcc_lo, v0, v2
	s_delay_alu instid0(VALU_DEP_2)
	v_add_co_ci_u32_e32 v1, vcc_lo, 0, v1, vcc_lo
	s_waitcnt lgkmcnt(0)
	s_cmp_eq_u64 s[2:3], 0
	global_load_b128 v[0:3], v[0:1], off
	s_waitcnt vmcnt(0)
	v_and_b32_e32 v4, 0xffff0000, v0
	v_lshlrev_b32_e32 v0, 16, v0
	v_lshlrev_b32_e32 v9, 16, v2
	v_lshlrev_b32_e32 v10, 16, v3
	v_and_b32_e32 v3, 0xffff0000, v3
	v_max_f32_e32 v5, v4, v4
	v_max_f32_e32 v6, v0, v0
	s_delay_alu instid0(VALU_DEP_1) | instskip(SKIP_1) | instid1(VALU_DEP_1)
	v_max_f32_e32 v5, v6, v5
	v_or_b32_e32 v6, 32, v7
	v_cmp_gt_i32_e32 vcc_lo, 64, v6
	v_cndmask_b32_e32 v6, v7, v6, vcc_lo
	v_cmp_gt_i32_e32 vcc_lo, 64, v11
	v_cndmask_b32_e32 v11, v7, v11, vcc_lo
	s_delay_alu instid0(VALU_DEP_1) | instskip(SKIP_1) | instid1(VALU_DEP_1)
	v_lshlrev_b32_e32 v19, 2, v11
	v_xor_b32_e32 v11, 8, v7
	v_cmp_gt_i32_e32 vcc_lo, 64, v11
	v_lshlrev_b32_e32 v8, 16, v1
	v_and_b32_e32 v1, 0xffff0000, v1
	v_cndmask_b32_e32 v11, v7, v11, vcc_lo
	s_delay_alu instid0(VALU_DEP_2) | instskip(NEXT) | instid1(VALU_DEP_2)
	v_max3_f32 v5, v5, v8, v1
	v_lshlrev_b32_e32 v20, 2, v11
	v_xor_b32_e32 v11, 4, v7
	s_delay_alu instid0(VALU_DEP_1) | instskip(SKIP_1) | instid1(VALU_DEP_1)
	v_cmp_gt_i32_e32 vcc_lo, 64, v11
	v_dual_cndmask_b32 v11, v7, v11 :: v_dual_and_b32 v2, 0xffff0000, v2
	v_max3_f32 v5, v5, v9, v2
	s_delay_alu instid0(VALU_DEP_2) | instskip(SKIP_1) | instid1(VALU_DEP_3)
	v_lshlrev_b32_e32 v21, 2, v11
	v_xor_b32_e32 v11, 2, v7
	v_max3_f32 v5, v5, v10, v3
	s_delay_alu instid0(VALU_DEP_2) | instskip(SKIP_4) | instid1(VALU_DEP_1)
	v_cmp_gt_i32_e32 vcc_lo, 64, v11
	v_dual_cndmask_b32 v11, v7, v11 :: v_dual_lshlrev_b32 v18, 2, v6
	ds_bpermute_b32 v6, v18, v5
	v_lshlrev_b32_e32 v22, 2, v11
	v_xor_b32_e32 v11, 1, v7
	v_cmp_gt_i32_e32 vcc_lo, 64, v11
	s_waitcnt lgkmcnt(0)
	v_dual_cndmask_b32 v7, v7, v11 :: v_dual_max_f32 v6, v6, v6
	s_delay_alu instid0(VALU_DEP_1) | instskip(NEXT) | instid1(VALU_DEP_2)
	v_lshlrev_b32_e32 v23, 2, v7
	v_max_f32_e32 v5, v5, v6
	ds_bpermute_b32 v6, v19, v5
	s_waitcnt lgkmcnt(0)
	v_max_f32_e32 v6, v6, v6
	s_delay_alu instid0(VALU_DEP_1) | instskip(SKIP_3) | instid1(VALU_DEP_1)
	v_max_f32_e32 v5, v5, v6
	ds_bpermute_b32 v6, v20, v5
	s_waitcnt lgkmcnt(0)
	v_max_f32_e32 v6, v6, v6
	v_max_f32_e32 v5, v5, v6
	ds_bpermute_b32 v6, v21, v5
	s_waitcnt lgkmcnt(0)
	v_max_f32_e32 v6, v6, v6
	s_delay_alu instid0(VALU_DEP_1) | instskip(SKIP_3) | instid1(VALU_DEP_1)
	v_max_f32_e32 v5, v5, v6
	ds_bpermute_b32 v6, v22, v5
	s_waitcnt lgkmcnt(0)
	v_max_f32_e32 v6, v6, v6
	v_max_f32_e32 v5, v5, v6
	ds_bpermute_b32 v6, v23, v5
	s_waitcnt lgkmcnt(0)
	v_max_f32_e32 v6, v6, v6
	s_delay_alu instid0(VALU_DEP_1) | instskip(NEXT) | instid1(VALU_DEP_1)
	v_max_f32_e32 v5, v5, v6
	v_sub_f32_e32 v6, v8, v5
	v_sub_f32_e32 v8, v10, v5
	s_delay_alu instid0(VALU_DEP_1)
	v_mul_f32_e32 v14, 0x3fb8aa3b, v8
	v_sub_f32_e32 v0, v0, v5
	v_sub_f32_e32 v4, v4, v5
	;; [unrolled: 1-line block ×5, first 2 shown]
	v_dual_sub_f32 v2, v2, v5 :: v_dual_mul_f32 v5, 0x3fb8aa3b, v0
	v_dual_mul_f32 v9, 0x3fb8aa3b, v4 :: v_dual_mul_f32 v10, 0x3fb8aa3b, v6
	s_delay_alu instid0(VALU_DEP_4) | instskip(SKIP_1) | instid1(VALU_DEP_4)
	v_mul_f32_e32 v12, 0x3fb8aa3b, v7
	v_rndne_f32_e32 v37, v14
	v_fma_f32 v24, 0x3fb8aa3b, v0, -v5
	v_rndne_f32_e32 v25, v5
	v_fma_f32 v26, 0x3fb8aa3b, v4, -v9
	v_rndne_f32_e32 v27, v9
	v_fma_f32 v28, 0x3fb8aa3b, v6, -v10
	v_rndne_f32_e32 v29, v10
	v_fma_f32 v32, 0x3fb8aa3b, v7, -v12
	v_fmac_f32_e32 v24, 0x32a5705f, v0
	v_mul_f32_e32 v15, 0x3fb8aa3b, v3
	v_dual_sub_f32 v5, v5, v25 :: v_dual_fmac_f32 v26, 0x32a5705f, v4
	v_mul_f32_e32 v13, 0x3fb8aa3b, v2
	v_fma_f32 v36, 0x3fb8aa3b, v8, -v14
	v_dual_sub_f32 v9, v9, v27 :: v_dual_fmac_f32 v28, 0x32a5705f, v6
	v_sub_f32_e32 v10, v10, v29
	v_mul_f32_e32 v11, 0x3fb8aa3b, v1
	v_dual_fmac_f32 v32, 0x32a5705f, v7 :: v_dual_add_f32 v5, v5, v24
	s_delay_alu instid0(VALU_DEP_4) | instskip(NEXT) | instid1(VALU_DEP_4)
	v_dual_fmac_f32 v36, 0x32a5705f, v8 :: v_dual_add_f32 v9, v9, v26
	v_add_f32_e32 v10, v10, v28
	s_delay_alu instid0(VALU_DEP_4) | instskip(SKIP_4) | instid1(VALU_DEP_3)
	v_fma_f32 v30, 0x3fb8aa3b, v1, -v11
	v_rndne_f32_e32 v31, v11
	v_exp_f32_e32 v5, v5
	v_rndne_f32_e32 v35, v13
	v_cvt_i32_f32_e32 v25, v25
	v_dual_fmac_f32 v30, 0x32a5705f, v1 :: v_dual_sub_f32 v11, v11, v31
	v_exp_f32_e32 v9, v9
	v_fma_f32 v34, 0x3fb8aa3b, v2, -v13
	v_sub_f32_e32 v13, v13, v35
	v_cvt_i32_f32_e32 v27, v27
	v_dual_sub_f32 v14, v14, v37 :: v_dual_add_f32 v11, v11, v30
	v_exp_f32_e32 v10, v10
	v_ldexp_f32 v5, v5, v25
	v_cmp_ngt_f32_e32 vcc_lo, 0xc2ce8ed0, v0
	v_cvt_i32_f32_e32 v29, v29
	v_fmac_f32_e32 v34, 0x32a5705f, v2
	v_exp_f32_e32 v11, v11
	v_ldexp_f32 v9, v9, v27
	v_cndmask_b32_e32 v5, 0, v5, vcc_lo
	v_cmp_ngt_f32_e32 vcc_lo, 0xc2ce8ed0, v4
	v_rndne_f32_e32 v33, v12
	v_cvt_i32_f32_e32 v31, v31
	v_add_f32_e32 v14, v14, v36
	v_ldexp_f32 v10, v10, v29
	v_cndmask_b32_e32 v9, 0, v9, vcc_lo
	v_cmp_ngt_f32_e32 vcc_lo, 0xc2ce8ed0, v6
	v_fma_f32 v38, 0x3fb8aa3b, v3, -v15
	v_rndne_f32_e32 v39, v15
	v_sub_f32_e32 v12, v12, v33
	v_ldexp_f32 v11, v11, v31
	v_cndmask_b32_e32 v10, 0, v10, vcc_lo
	v_cmp_nlt_f32_e32 vcc_lo, 0x42b17218, v0
	v_dual_fmac_f32 v38, 0x32a5705f, v3 :: v_dual_add_f32 v13, v13, v34
	v_dual_sub_f32 v15, v15, v39 :: v_dual_add_f32 v12, v12, v32
	v_cndmask_b32_e32 v0, 0x7f800000, v5, vcc_lo
	v_cmp_nlt_f32_e32 vcc_lo, 0x42b17218, v4
	v_cvt_i32_f32_e32 v33, v33
	s_delay_alu instid0(VALU_DEP_4)
	v_add_f32_e32 v15, v15, v38
	v_exp_f32_e32 v12, v12
	v_exp_f32_e32 v13, v13
	v_cndmask_b32_e32 v4, 0x7f800000, v9, vcc_lo
	v_cmp_ngt_f32_e32 vcc_lo, 0xc2ce8ed0, v1
	v_cvt_i32_f32_e32 v35, v35
	v_exp_f32_e32 v14, v14
	v_cvt_i32_f32_e32 v24, v37
	v_add_f32_e32 v9, v0, v4
	v_cndmask_b32_e32 v5, 0, v11, vcc_lo
	v_cmp_nlt_f32_e32 vcc_lo, 0x42b17218, v6
	v_ldexp_f32 v12, v12, v33
	v_ldexp_f32 v13, v13, v35
	v_exp_f32_e32 v15, v15
	v_cvt_i32_f32_e32 v26, v39
	v_cndmask_b32_e32 v6, 0x7f800000, v10, vcc_lo
	v_cmp_ngt_f32_e32 vcc_lo, 0xc2ce8ed0, v7
	v_ldexp_f32 v14, v14, v24
	v_lshlrev_b32_e32 v24, 3, v17
	v_cndmask_b32_e32 v10, 0, v12, vcc_lo
	v_cmp_nlt_f32_e32 vcc_lo, 0x42b17218, v1
	s_delay_alu instid0(TRANS32_DEP_1)
	v_ldexp_f32 v15, v15, v26
	v_cndmask_b32_e32 v1, 0x7f800000, v5, vcc_lo
	v_cmp_ngt_f32_e32 vcc_lo, 0xc2ce8ed0, v2
	v_add_f32_e32 v5, v9, v6
	v_cndmask_b32_e32 v9, 0, v13, vcc_lo
	v_cmp_nlt_f32_e32 vcc_lo, 0x42b17218, v7
	v_cndmask_b32_e32 v7, 0x7f800000, v10, vcc_lo
	v_cmp_ngt_f32_e32 vcc_lo, 0xc2ce8ed0, v8
	v_dual_add_f32 v5, v5, v1 :: v_dual_cndmask_b32 v10, 0, v14
	v_cmp_nlt_f32_e32 vcc_lo, 0x42b17218, v2
	s_delay_alu instid0(VALU_DEP_2) | instskip(SKIP_1) | instid1(VALU_DEP_2)
	v_dual_add_f32 v5, v5, v7 :: v_dual_cndmask_b32 v2, 0x7f800000, v9
	v_cmp_ngt_f32_e32 vcc_lo, 0xc2ce8ed0, v3
	v_add_f32_e32 v5, v5, v2
	v_cndmask_b32_e32 v9, 0, v15, vcc_lo
	v_cmp_nlt_f32_e32 vcc_lo, 0x42b17218, v8
	v_cndmask_b32_e32 v8, 0x7f800000, v10, vcc_lo
	v_cmp_nlt_f32_e32 vcc_lo, 0x42b17218, v3
	s_delay_alu instid0(VALU_DEP_2) | instskip(SKIP_1) | instid1(VALU_DEP_1)
	v_add_f32_e32 v5, v5, v8
	v_cndmask_b32_e32 v3, 0x7f800000, v9, vcc_lo
	v_add_f32_e32 v5, v5, v3
	ds_bpermute_b32 v9, v18, v5
	s_waitcnt lgkmcnt(0)
	v_add_f32_e32 v5, v5, v9
	ds_bpermute_b32 v9, v19, v5
	s_waitcnt lgkmcnt(0)
	v_add_f32_e32 v5, v5, v9
	ds_bpermute_b32 v9, v20, v5
	s_waitcnt lgkmcnt(0)
	v_add_f32_e32 v5, v5, v9
	ds_bpermute_b32 v9, v21, v5
	s_waitcnt lgkmcnt(0)
	v_add_f32_e32 v5, v5, v9
	ds_bpermute_b32 v9, v22, v5
	s_waitcnt lgkmcnt(0)
	v_add_f32_e32 v5, v5, v9
	ds_bpermute_b32 v9, v23, v5
	s_waitcnt lgkmcnt(0)
	v_add_f32_e32 v5, v5, v9
	s_delay_alu instid0(VALU_DEP_1) | instskip(SKIP_1) | instid1(VALU_DEP_2)
	v_div_scale_f32 v9, null, v5, v5, 1.0
	v_div_scale_f32 v12, vcc_lo, 1.0, v5, 1.0
	v_rcp_f32_e32 v10, v9
	s_waitcnt_depctr 0xfff
	v_fma_f32 v11, -v9, v10, 1.0
	s_delay_alu instid0(VALU_DEP_1) | instskip(NEXT) | instid1(VALU_DEP_1)
	v_fmac_f32_e32 v10, v11, v10
	v_mul_f32_e32 v11, v12, v10
	s_delay_alu instid0(VALU_DEP_1) | instskip(NEXT) | instid1(VALU_DEP_1)
	v_fma_f32 v13, -v9, v11, v12
	v_fmac_f32_e32 v11, v13, v10
	s_delay_alu instid0(VALU_DEP_1) | instskip(NEXT) | instid1(VALU_DEP_1)
	v_fma_f32 v9, -v9, v11, v12
	v_div_fmas_f32 v9, v9, v10, v11
	s_delay_alu instid0(VALU_DEP_1) | instskip(NEXT) | instid1(VALU_DEP_1)
	v_div_fixup_f32 v5, v9, v5, 1.0
	v_mul_f32_e32 v8, v5, v8
	v_mul_f32_e32 v0, v5, v0
	;; [unrolled: 1-line block ×6, first 2 shown]
	v_cmp_class_f32_e64 vcc_lo, v0, 0x1f8
	v_dual_mul_f32 v11, v5, v3 :: v_dual_cndmask_b32 v0, 0, v0
	v_cmp_class_f32_e64 vcc_lo, v4, 0x1f8
	v_dual_mul_f32 v6, v5, v6 :: v_dual_cndmask_b32 v1, 0, v4
	s_delay_alu instid0(VALU_DEP_1)
	v_cmp_class_f32_e64 vcc_lo, v6, 0x1f8
	v_cndmask_b32_e32 v2, 0, v6, vcc_lo
	v_cmp_class_f32_e64 vcc_lo, v9, 0x1f8
	v_cndmask_b32_e32 v3, 0, v9, vcc_lo
	;; [unrolled: 2-line block ×6, first 2 shown]
	s_cbranch_scc1 .LBB166_39
; %bb.4:
	v_lshlrev_b32_e32 v12, 2, v24
	s_clause 0x1
	global_load_b128 v[8:11], v12, s[2:3]
	global_load_b128 v[12:15], v12, s[2:3] offset:16
	s_waitcnt vmcnt(1)
	v_dual_add_f32 v9, v9, v1 :: v_dual_add_f32 v8, v8, v0
	v_dual_add_f32 v11, v11, v3 :: v_dual_add_f32 v10, v10, v2
	s_waitcnt vmcnt(0)
	v_dual_add_f32 v13, v13, v5 :: v_dual_add_f32 v12, v12, v4
	v_dual_add_f32 v15, v15, v7 :: v_dual_add_f32 v14, v14, v6
	s_cbranch_execnz .LBB166_6
.LBB166_5:
	v_dual_mov_b32 v15, v7 :: v_dual_mov_b32 v14, v6
	v_dual_mov_b32 v13, v5 :: v_dual_mov_b32 v12, v4
	;; [unrolled: 1-line block ×4, first 2 shown]
.LBB166_6:
	s_load_b128 s[4:7], s[0:1], 0x30
	v_cmp_eq_u32_e64 s2, 0, v17
	s_waitcnt lgkmcnt(0)
	s_bitcmp1_b32 s7, 0
	s_mov_b32 s7, 0
	s_cselect_b32 vcc_lo, -1, 0
	s_cmp_gt_i32 s4, 0
	s_cselect_b32 s3, -1, 0
	s_cmp_lt_i32 s4, 1
	s_cbranch_scc1 .LBB166_40
; %bb.7:
	s_load_b128 s[8:11], s[0:1], 0x20
	v_mul_lo_u32 v26, v16, s4
	v_mov_b32_e32 v25, 0
	v_mov_b32_e32 v27, v16
	s_branch .LBB166_10
.LBB166_8:                              ;   in Loop: Header=BB166_10 Depth=1
	s_or_b32 exec_lo, exec_lo, s1
.LBB166_9:                              ;   in Loop: Header=BB166_10 Depth=1
	v_add_nc_u32_e32 v27, s14, v27
	s_cmp_eq_u32 s4, s7
	s_cbranch_scc1 .LBB166_41
.LBB166_10:                             ; =>This Inner Loop Header: Depth=1
	v_cmp_gt_f32_e64 s0, v9, v8
	s_mov_b32 s17, exec_lo
	s_delay_alu instid0(VALU_DEP_1) | instskip(SKIP_2) | instid1(VALU_DEP_3)
	v_cndmask_b32_e64 v28, v8, v9, s0
	v_cndmask_b32_e64 v29, 0, 1, s0
	;; [unrolled: 1-line block ×3, first 2 shown]
	v_cmp_gt_f32_e64 s1, v10, v28
	s_delay_alu instid0(VALU_DEP_1) | instskip(NEXT) | instid1(VALU_DEP_4)
	v_cndmask_b32_e64 v28, v28, v10, s1
	v_cndmask_b32_e64 v29, v29, 2, s1
	s_delay_alu instid0(VALU_DEP_4) | instskip(NEXT) | instid1(VALU_DEP_3)
	v_cndmask_b32_e64 v30, v30, v2, s1
	v_cmp_gt_f32_e64 s0, v11, v28
	s_delay_alu instid0(VALU_DEP_1) | instskip(NEXT) | instid1(VALU_DEP_4)
	v_cndmask_b32_e64 v28, v28, v11, s0
	v_cndmask_b32_e64 v29, v29, 3, s0
	s_delay_alu instid0(VALU_DEP_4) | instskip(NEXT) | instid1(VALU_DEP_3)
	v_cndmask_b32_e64 v30, v30, v3, s0
	;; [unrolled: 6-line block ×4, first 2 shown]
	v_cmp_gt_f32_e64 s1, v14, v28
	s_delay_alu instid0(VALU_DEP_1) | instskip(NEXT) | instid1(VALU_DEP_4)
	v_cndmask_b32_e64 v28, v28, v14, s1
	v_cndmask_b32_e64 v29, v29, 6, s1
	s_waitcnt lgkmcnt(0)
	v_cndmask_b32_e64 v31, v30, v6, s1
	s_delay_alu instid0(VALU_DEP_3) | instskip(NEXT) | instid1(VALU_DEP_1)
	v_cmp_gt_f32_e64 s0, v15, v28
	v_cndmask_b32_e64 v30, v28, v15, s0
	v_cndmask_b32_e64 v28, v29, 7, s0
	s_delay_alu instid0(VALU_DEP_4)
	v_cndmask_b32_e64 v29, v31, v7, s0
	ds_bpermute_b32 v31, v18, v30
	v_or_b32_e32 v28, v24, v28
	ds_bpermute_b32 v33, v18, v29
	ds_bpermute_b32 v32, v18, v28
	s_waitcnt lgkmcnt(0)
	v_cmp_lt_f32_e64 s16, v30, v31
	v_cmpx_nlt_f32_e32 v30, v31
; %bb.11:                               ;   in Loop: Header=BB166_10 Depth=1
	v_cmp_eq_f32_e64 s0, v30, v31
	v_cmp_lt_i32_e64 s1, v32, v28
	s_delay_alu instid0(VALU_DEP_1) | instskip(SKIP_2) | instid1(SALU_CYCLE_1)
	s_and_b32 s0, s0, s1
	s_and_not1_b32 s1, s16, exec_lo
	s_and_b32 s0, s0, exec_lo
	s_or_b32 s16, s1, s0
; %bb.12:                               ;   in Loop: Header=BB166_10 Depth=1
	s_or_b32 exec_lo, exec_lo, s17
	s_and_saveexec_b32 s0, s16
; %bb.13:                               ;   in Loop: Header=BB166_10 Depth=1
	v_dual_mov_b32 v29, v33 :: v_dual_mov_b32 v30, v31
	v_mov_b32_e32 v28, v32
; %bb.14:                               ;   in Loop: Header=BB166_10 Depth=1
	s_or_b32 exec_lo, exec_lo, s0
	ds_bpermute_b32 v32, v19, v30
	ds_bpermute_b32 v33, v19, v29
	;; [unrolled: 1-line block ×3, first 2 shown]
	s_mov_b32 s17, exec_lo
	s_waitcnt lgkmcnt(2)
	v_cmp_lt_f32_e64 s16, v30, v32
	v_cmpx_nlt_f32_e32 v30, v32
	s_cbranch_execz .LBB166_16
; %bb.15:                               ;   in Loop: Header=BB166_10 Depth=1
	v_cmp_eq_f32_e64 s0, v30, v32
	s_waitcnt lgkmcnt(0)
	v_cmp_lt_i32_e64 s1, v31, v28
	s_delay_alu instid0(VALU_DEP_1) | instskip(SKIP_2) | instid1(SALU_CYCLE_1)
	s_and_b32 s0, s0, s1
	s_and_not1_b32 s1, s16, exec_lo
	s_and_b32 s0, s0, exec_lo
	s_or_b32 s16, s1, s0
.LBB166_16:                             ;   in Loop: Header=BB166_10 Depth=1
	s_or_b32 exec_lo, exec_lo, s17
	s_delay_alu instid0(VALU_DEP_2)
	s_and_saveexec_b32 s0, s16
	s_cbranch_execz .LBB166_18
; %bb.17:                               ;   in Loop: Header=BB166_10 Depth=1
	s_waitcnt lgkmcnt(1)
	v_dual_mov_b32 v29, v33 :: v_dual_mov_b32 v30, v32
	s_waitcnt lgkmcnt(0)
	v_mov_b32_e32 v28, v31
.LBB166_18:                             ;   in Loop: Header=BB166_10 Depth=1
	s_or_b32 exec_lo, exec_lo, s0
	ds_bpermute_b32 v32, v20, v30
	s_waitcnt lgkmcnt(2)
	ds_bpermute_b32 v33, v20, v29
	s_waitcnt lgkmcnt(2)
	ds_bpermute_b32 v31, v20, v28
	s_mov_b32 s17, exec_lo
	s_waitcnt lgkmcnt(2)
	v_cmp_lt_f32_e64 s16, v30, v32
	v_cmpx_nlt_f32_e32 v30, v32
	s_cbranch_execz .LBB166_20
; %bb.19:                               ;   in Loop: Header=BB166_10 Depth=1
	v_cmp_eq_f32_e64 s0, v30, v32
	s_waitcnt lgkmcnt(0)
	v_cmp_lt_i32_e64 s1, v31, v28
	s_delay_alu instid0(VALU_DEP_1) | instskip(SKIP_2) | instid1(SALU_CYCLE_1)
	s_and_b32 s0, s0, s1
	s_and_not1_b32 s1, s16, exec_lo
	s_and_b32 s0, s0, exec_lo
	s_or_b32 s16, s1, s0
.LBB166_20:                             ;   in Loop: Header=BB166_10 Depth=1
	s_or_b32 exec_lo, exec_lo, s17
	s_delay_alu instid0(VALU_DEP_2)
	s_and_saveexec_b32 s0, s16
	s_cbranch_execz .LBB166_22
; %bb.21:                               ;   in Loop: Header=BB166_10 Depth=1
	s_waitcnt lgkmcnt(1)
	v_dual_mov_b32 v29, v33 :: v_dual_mov_b32 v30, v32
	s_waitcnt lgkmcnt(0)
	v_mov_b32_e32 v28, v31
.LBB166_22:                             ;   in Loop: Header=BB166_10 Depth=1
	s_or_b32 exec_lo, exec_lo, s0
	ds_bpermute_b32 v32, v21, v30
	s_waitcnt lgkmcnt(2)
	ds_bpermute_b32 v33, v21, v29
	s_waitcnt lgkmcnt(2)
	ds_bpermute_b32 v31, v21, v28
	;; [unrolled: 31-line block ×3, first 2 shown]
	s_mov_b32 s17, exec_lo
	s_waitcnt lgkmcnt(2)
	v_cmp_lt_f32_e64 s16, v30, v32
	v_cmpx_nlt_f32_e32 v30, v32
	s_cbranch_execz .LBB166_28
; %bb.27:                               ;   in Loop: Header=BB166_10 Depth=1
	v_cmp_eq_f32_e64 s0, v30, v32
	s_waitcnt lgkmcnt(0)
	v_cmp_lt_i32_e64 s1, v31, v28
	s_delay_alu instid0(VALU_DEP_1) | instskip(SKIP_2) | instid1(SALU_CYCLE_1)
	s_and_b32 s0, s0, s1
	s_and_not1_b32 s1, s16, exec_lo
	s_and_b32 s0, s0, exec_lo
	s_or_b32 s16, s1, s0
.LBB166_28:                             ;   in Loop: Header=BB166_10 Depth=1
	s_or_b32 exec_lo, exec_lo, s17
	s_delay_alu instid0(VALU_DEP_2)
	s_and_saveexec_b32 s0, s16
	s_cbranch_execz .LBB166_30
; %bb.29:                               ;   in Loop: Header=BB166_10 Depth=1
	s_waitcnt lgkmcnt(1)
	v_dual_mov_b32 v29, v33 :: v_dual_mov_b32 v30, v32
	s_waitcnt lgkmcnt(0)
	v_mov_b32_e32 v28, v31
.LBB166_30:                             ;   in Loop: Header=BB166_10 Depth=1
	s_or_b32 exec_lo, exec_lo, s0
	s_waitcnt lgkmcnt(1)
	ds_bpermute_b32 v33, v23, v30
	ds_bpermute_b32 v32, v23, v29
	s_waitcnt lgkmcnt(2)
	ds_bpermute_b32 v31, v23, v28
	s_mov_b32 s17, exec_lo
	s_waitcnt lgkmcnt(2)
	v_cmp_lt_f32_e64 s16, v30, v33
	v_cmpx_nlt_f32_e32 v30, v33
	s_cbranch_execnz .LBB166_34
; %bb.31:                               ;   in Loop: Header=BB166_10 Depth=1
	s_or_b32 exec_lo, exec_lo, s17
	s_delay_alu instid0(VALU_DEP_2)
	s_and_saveexec_b32 s0, s16
	s_cbranch_execnz .LBB166_35
.LBB166_32:                             ;   in Loop: Header=BB166_10 Depth=1
	s_or_b32 exec_lo, exec_lo, s0
	s_and_saveexec_b32 s16, s2
	s_cbranch_execnz .LBB166_36
.LBB166_33:                             ;   in Loop: Header=BB166_10 Depth=1
	s_or_b32 exec_lo, exec_lo, s16
	s_add_i32 s7, s7, 1
	s_delay_alu instid0(SALU_CYCLE_1)
	s_cmp_ge_i32 s7, s4
	s_cbranch_scc1 .LBB166_9
	s_branch .LBB166_37
.LBB166_34:                             ;   in Loop: Header=BB166_10 Depth=1
	v_cmp_eq_f32_e64 s0, v30, v33
	s_waitcnt lgkmcnt(0)
	v_cmp_lt_i32_e64 s1, v31, v28
	s_delay_alu instid0(VALU_DEP_1) | instskip(SKIP_2) | instid1(SALU_CYCLE_1)
	s_and_b32 s0, s0, s1
	s_and_not1_b32 s1, s16, exec_lo
	s_and_b32 s0, s0, exec_lo
	s_or_b32 s16, s1, s0
	s_or_b32 exec_lo, exec_lo, s17
	s_and_saveexec_b32 s0, s16
	s_cbranch_execz .LBB166_32
.LBB166_35:                             ;   in Loop: Header=BB166_10 Depth=1
	s_waitcnt lgkmcnt(0)
	v_dual_mov_b32 v29, v32 :: v_dual_mov_b32 v28, v31
	s_or_b32 exec_lo, exec_lo, s0
	s_and_saveexec_b32 s16, s2
	s_cbranch_execz .LBB166_33
.LBB166_36:                             ;   in Loop: Header=BB166_10 Depth=1
	s_delay_alu instid0(VALU_DEP_1)
	v_dual_add_f32 v37, v25, v29 :: v_dual_add_nc_u32 v30, s7, v26
	v_cmp_le_i32_e64 s0, s5, v28
	v_cmp_gt_i32_e64 s1, s6, v28
	s_waitcnt lgkmcnt(1)
	v_subrev_nc_u32_e32 v32, s5, v28
	s_waitcnt lgkmcnt(0)
	v_ashrrev_i32_e32 v31, 31, v30
	v_cndmask_b32_e32 v25, v25, v37, vcc_lo
	s_and_b32 s0, s0, s1
	s_delay_alu instid0(SALU_CYCLE_1) | instskip(NEXT) | instid1(VALU_DEP_2)
	s_and_b32 s0, s15, s0
	v_lshlrev_b64 v[30:31], 2, v[30:31]
	v_cndmask_b32_e64 v36, 0x200, v32, s0
	s_delay_alu instid0(VALU_DEP_2) | instskip(NEXT) | instid1(VALU_DEP_1)
	v_add_co_u32 v32, s0, s12, v30
	v_add_co_ci_u32_e64 v33, s0, s13, v31, s0
	v_add_co_u32 v34, s0, s8, v30
	s_delay_alu instid0(VALU_DEP_1) | instskip(SKIP_1) | instid1(VALU_DEP_1)
	v_add_co_ci_u32_e64 v35, s0, s9, v31, s0
	v_add_co_u32 v30, s0, s10, v30
	v_add_co_ci_u32_e64 v31, s0, s11, v31, s0
	global_store_b32 v[32:33], v29, off
	global_store_b32 v[34:35], v36, off
	;; [unrolled: 1-line block ×3, first 2 shown]
	s_or_b32 exec_lo, exec_lo, s16
	s_add_i32 s7, s7, 1
	s_delay_alu instid0(SALU_CYCLE_1)
	s_cmp_ge_i32 s7, s4
	s_cbranch_scc1 .LBB166_9
.LBB166_37:                             ;   in Loop: Header=BB166_10 Depth=1
	v_ashrrev_i32_e32 v29, 31, v28
	s_mov_b32 s1, exec_lo
	s_delay_alu instid0(VALU_DEP_1) | instskip(NEXT) | instid1(VALU_DEP_1)
	v_lshrrev_b32_e32 v30, 29, v29
	v_add_nc_u32_e32 v30, v28, v30
	s_waitcnt lgkmcnt(0)
	s_delay_alu instid0(VALU_DEP_1) | instskip(SKIP_1) | instid1(VALU_DEP_2)
	v_ashrrev_i32_e32 v31, 31, v30
	v_ashrrev_i32_e32 v30, 3, v30
	v_lshrrev_b32_e32 v31, 26, v31
	s_delay_alu instid0(VALU_DEP_1) | instskip(NEXT) | instid1(VALU_DEP_1)
	v_add_nc_u32_e32 v31, v30, v31
	v_and_b32_e32 v31, 0xffffffc0, v31
	s_delay_alu instid0(VALU_DEP_1) | instskip(NEXT) | instid1(VALU_DEP_1)
	v_sub_nc_u32_e32 v31, v30, v31
	v_cmpx_eq_u32_e64 v17, v31
	s_cbranch_execz .LBB166_8
; %bb.38:                               ;   in Loop: Header=BB166_10 Depth=1
	v_lshrrev_b32_e32 v29, 23, v29
	v_lshlrev_b32_e32 v30, 3, v30
	s_delay_alu instid0(VALU_DEP_2) | instskip(NEXT) | instid1(VALU_DEP_2)
	v_add_nc_u32_e32 v29, v28, v29
	v_sub_nc_u32_e32 v28, v28, v30
	s_delay_alu instid0(VALU_DEP_2) | instskip(NEXT) | instid1(VALU_DEP_1)
	v_ashrrev_i32_e32 v29, 9, v29
	v_lshl_add_u32 v28, v29, 3, v28
	s_delay_alu instid0(VALU_DEP_1) | instskip(NEXT) | instid1(VALU_DEP_1)
	v_cmp_ne_u32_e64 s0, 7, v28
	v_cndmask_b32_e64 v15, 0xc61c4000, v15, s0
	v_cmp_ne_u32_e64 s0, 6, v28
	s_delay_alu instid0(VALU_DEP_1) | instskip(SKIP_1) | instid1(VALU_DEP_1)
	v_cndmask_b32_e64 v14, 0xc61c4000, v14, s0
	v_cmp_ne_u32_e64 s0, 5, v28
	v_cndmask_b32_e64 v13, 0xc61c4000, v13, s0
	v_cmp_ne_u32_e64 s0, 4, v28
	s_delay_alu instid0(VALU_DEP_1) | instskip(SKIP_1) | instid1(VALU_DEP_1)
	v_cndmask_b32_e64 v12, 0xc61c4000, v12, s0
	;; [unrolled: 5-line block ×3, first 2 shown]
	v_cmp_ne_u32_e64 s0, 1, v28
	v_cndmask_b32_e64 v9, 0xc61c4000, v9, s0
	v_cmp_ne_u32_e64 s0, 0, v28
	s_delay_alu instid0(VALU_DEP_1)
	v_cndmask_b32_e64 v8, 0xc61c4000, v8, s0
	s_branch .LBB166_8
.LBB166_39:
                                        ; implicit-def: $vgpr8_vgpr9_vgpr10_vgpr11_vgpr12_vgpr13_vgpr14_vgpr15
	s_and_not1_b32 vcc_lo, exec_lo, s8
	s_cbranch_vccz .LBB166_5
	s_branch .LBB166_6
.LBB166_40:
	v_mov_b32_e32 v25, 0
.LBB166_41:
	v_cmp_eq_u32_e64 s0, 0, v17
	s_delay_alu instid0(VALU_DEP_1) | instskip(NEXT) | instid1(SALU_CYCLE_1)
	s_and_b32 s0, s0, vcc_lo
	s_and_b32 exec_lo, exec_lo, s0
	s_cbranch_execz .LBB166_45
; %bb.42:
	s_and_not1_b32 vcc_lo, exec_lo, s3
	s_cbranch_vccnz .LBB166_45
; %bb.43:
	v_mul_lo_u32 v0, v16, s4
	v_cmp_lt_f32_e32 vcc_lo, 0, v25
	v_cndmask_b32_e32 v2, 1.0, v25, vcc_lo
	s_delay_alu instid0(VALU_DEP_3) | instskip(NEXT) | instid1(VALU_DEP_1)
	v_ashrrev_i32_e32 v1, 31, v0
	v_lshlrev_b64 v[0:1], 2, v[0:1]
	s_delay_alu instid0(VALU_DEP_1) | instskip(NEXT) | instid1(VALU_DEP_2)
	v_add_co_u32 v0, vcc_lo, s12, v0
	v_add_co_ci_u32_e32 v1, vcc_lo, s13, v1, vcc_lo
	.p2align	6
.LBB166_44:                             ; =>This Inner Loop Header: Depth=1
	global_load_b32 v3, v[0:1], off
	s_add_i32 s4, s4, -1
	s_delay_alu instid0(SALU_CYCLE_1) | instskip(SKIP_3) | instid1(VALU_DEP_2)
	s_cmp_lg_u32 s4, 0
	s_waitcnt vmcnt(0)
	v_div_scale_f32 v4, null, v2, v2, v3
	v_div_scale_f32 v7, vcc_lo, v3, v2, v3
	v_rcp_f32_e32 v5, v4
	s_waitcnt_depctr 0xfff
	v_fma_f32 v6, -v4, v5, 1.0
	s_delay_alu instid0(VALU_DEP_1) | instskip(NEXT) | instid1(VALU_DEP_1)
	v_fmac_f32_e32 v5, v6, v5
	v_mul_f32_e32 v6, v7, v5
	s_delay_alu instid0(VALU_DEP_1) | instskip(NEXT) | instid1(VALU_DEP_1)
	v_fma_f32 v8, -v4, v6, v7
	v_fmac_f32_e32 v6, v8, v5
	s_delay_alu instid0(VALU_DEP_1) | instskip(NEXT) | instid1(VALU_DEP_1)
	v_fma_f32 v4, -v4, v6, v7
	v_div_fmas_f32 v4, v4, v5, v6
	s_delay_alu instid0(VALU_DEP_1)
	v_div_fixup_f32 v3, v4, v2, v3
	global_store_b32 v[0:1], v3, off
	v_add_co_u32 v0, vcc_lo, v0, 4
	v_add_co_ci_u32_e32 v1, vcc_lo, 0, v1, vcc_lo
	s_cbranch_scc1 .LBB166_44
.LBB166_45:
	s_nop 0
	s_sendmsg sendmsg(MSG_DEALLOC_VGPRS)
	s_endpgm
	.section	.rodata,"a",@progbits
	.p2align	6, 0x0
	.amdhsa_kernel _ZN4vllm3moe10topkGatingILi8ELi512ELi4ELi16ELi64Ej14__hip_bfloat16LNS0_11ScoringFuncE0EEEvPKT5_PKbPfiPT4_PiiiibPKf
		.amdhsa_group_segment_fixed_size 0
		.amdhsa_private_segment_fixed_size 0
		.amdhsa_kernarg_size 72
		.amdhsa_user_sgpr_count 15
		.amdhsa_user_sgpr_dispatch_ptr 0
		.amdhsa_user_sgpr_queue_ptr 0
		.amdhsa_user_sgpr_kernarg_segment_ptr 1
		.amdhsa_user_sgpr_dispatch_id 0
		.amdhsa_user_sgpr_private_segment_size 0
		.amdhsa_wavefront_size32 1
		.amdhsa_uses_dynamic_stack 0
		.amdhsa_enable_private_segment 0
		.amdhsa_system_sgpr_workgroup_id_x 1
		.amdhsa_system_sgpr_workgroup_id_y 0
		.amdhsa_system_sgpr_workgroup_id_z 0
		.amdhsa_system_sgpr_workgroup_info 0
		.amdhsa_system_vgpr_workitem_id 1
		.amdhsa_next_free_vgpr 40
		.amdhsa_next_free_sgpr 18
		.amdhsa_reserve_vcc 1
		.amdhsa_float_round_mode_32 0
		.amdhsa_float_round_mode_16_64 0
		.amdhsa_float_denorm_mode_32 3
		.amdhsa_float_denorm_mode_16_64 3
		.amdhsa_dx10_clamp 1
		.amdhsa_ieee_mode 1
		.amdhsa_fp16_overflow 0
		.amdhsa_workgroup_processor_mode 1
		.amdhsa_memory_ordered 1
		.amdhsa_forward_progress 0
		.amdhsa_shared_vgpr_count 0
		.amdhsa_exception_fp_ieee_invalid_op 0
		.amdhsa_exception_fp_denorm_src 0
		.amdhsa_exception_fp_ieee_div_zero 0
		.amdhsa_exception_fp_ieee_overflow 0
		.amdhsa_exception_fp_ieee_underflow 0
		.amdhsa_exception_fp_ieee_inexact 0
		.amdhsa_exception_int_div_zero 0
	.end_amdhsa_kernel
	.section	.text._ZN4vllm3moe10topkGatingILi8ELi512ELi4ELi16ELi64Ej14__hip_bfloat16LNS0_11ScoringFuncE0EEEvPKT5_PKbPfiPT4_PiiiibPKf,"axG",@progbits,_ZN4vllm3moe10topkGatingILi8ELi512ELi4ELi16ELi64Ej14__hip_bfloat16LNS0_11ScoringFuncE0EEEvPKT5_PKbPfiPT4_PiiiibPKf,comdat
.Lfunc_end166:
	.size	_ZN4vllm3moe10topkGatingILi8ELi512ELi4ELi16ELi64Ej14__hip_bfloat16LNS0_11ScoringFuncE0EEEvPKT5_PKbPfiPT4_PiiiibPKf, .Lfunc_end166-_ZN4vllm3moe10topkGatingILi8ELi512ELi4ELi16ELi64Ej14__hip_bfloat16LNS0_11ScoringFuncE0EEEvPKT5_PKbPfiPT4_PiiiibPKf
                                        ; -- End function
	.section	.AMDGPU.csdata,"",@progbits
; Kernel info:
; codeLenInByte = 3744
; NumSgprs: 20
; NumVgprs: 40
; ScratchSize: 0
; MemoryBound: 0
; FloatMode: 240
; IeeeMode: 1
; LDSByteSize: 0 bytes/workgroup (compile time only)
; SGPRBlocks: 2
; VGPRBlocks: 4
; NumSGPRsForWavesPerEU: 20
; NumVGPRsForWavesPerEU: 40
; Occupancy: 16
; WaveLimiterHint : 0
; COMPUTE_PGM_RSRC2:SCRATCH_EN: 0
; COMPUTE_PGM_RSRC2:USER_SGPR: 15
; COMPUTE_PGM_RSRC2:TRAP_HANDLER: 0
; COMPUTE_PGM_RSRC2:TGID_X_EN: 1
; COMPUTE_PGM_RSRC2:TGID_Y_EN: 0
; COMPUTE_PGM_RSRC2:TGID_Z_EN: 0
; COMPUTE_PGM_RSRC2:TIDIG_COMP_CNT: 1
	.section	.text._ZN4vllm3moe10topkGatingILi16ELi512ELi4ELi16ELi32Ej14__hip_bfloat16LNS0_11ScoringFuncE0EEEvPKT5_PKbPfiPT4_PiiiibPKf,"axG",@progbits,_ZN4vllm3moe10topkGatingILi16ELi512ELi4ELi16ELi32Ej14__hip_bfloat16LNS0_11ScoringFuncE0EEEvPKT5_PKbPfiPT4_PiiiibPKf,comdat
	.protected	_ZN4vllm3moe10topkGatingILi16ELi512ELi4ELi16ELi32Ej14__hip_bfloat16LNS0_11ScoringFuncE0EEEvPKT5_PKbPfiPT4_PiiiibPKf ; -- Begin function _ZN4vllm3moe10topkGatingILi16ELi512ELi4ELi16ELi32Ej14__hip_bfloat16LNS0_11ScoringFuncE0EEEvPKT5_PKbPfiPT4_PiiiibPKf
	.globl	_ZN4vllm3moe10topkGatingILi16ELi512ELi4ELi16ELi32Ej14__hip_bfloat16LNS0_11ScoringFuncE0EEEvPKT5_PKbPfiPT4_PiiiibPKf
	.p2align	8
	.type	_ZN4vllm3moe10topkGatingILi16ELi512ELi4ELi16ELi32Ej14__hip_bfloat16LNS0_11ScoringFuncE0EEEvPKT5_PKbPfiPT4_PiiiibPKf,@function
_ZN4vllm3moe10topkGatingILi16ELi512ELi4ELi16ELi32Ej14__hip_bfloat16LNS0_11ScoringFuncE0EEEvPKT5_PKbPfiPT4_PiiiibPKf: ; @_ZN4vllm3moe10topkGatingILi16ELi512ELi4ELi16ELi32Ej14__hip_bfloat16LNS0_11ScoringFuncE0EEEvPKT5_PKbPfiPT4_PiiiibPKf
; %bb.0:
	s_load_b32 s14, s[0:1], 0x18
	v_and_b32_e32 v1, 0x3ff, v0
	v_bfe_u32 v0, v0, 10, 10
	s_lshl_b32 s2, s15, 2
	s_delay_alu instid0(VALU_DEP_2) | instskip(NEXT) | instid1(VALU_DEP_1)
	v_lshrrev_b32_e32 v2, 5, v1
	v_add3_u32 v32, s2, v0, v2
	s_mov_b32 s2, exec_lo
	s_waitcnt lgkmcnt(0)
	s_delay_alu instid0(VALU_DEP_1)
	v_cmpx_gt_i32_e64 s14, v32
	s_cbranch_execz .LBB167_41
; %bb.1:
	s_clause 0x1
	s_load_b128 s[4:7], s[0:1], 0x0
	s_load_b64 s[12:13], s[0:1], 0x10
	s_mov_b32 s8, -1
	s_mov_b32 s15, -1
	s_waitcnt lgkmcnt(0)
	s_cmp_eq_u64 s[6:7], 0
	s_cbranch_scc1 .LBB167_3
; %bb.2:
	v_ashrrev_i32_e32 v0, 31, v32
	v_add_co_u32 v2, vcc_lo, s6, v32
	s_delay_alu instid0(VALU_DEP_2) | instskip(SKIP_3) | instid1(VALU_DEP_1)
	v_add_co_ci_u32_e32 v3, vcc_lo, s7, v0, vcc_lo
	global_load_u8 v0, v[2:3], off
	s_waitcnt vmcnt(0)
	v_and_b32_e32 v0, 1, v0
	v_cmp_eq_u32_e32 vcc_lo, 1, v0
	s_xor_b32 s2, vcc_lo, -1
	s_delay_alu instid0(SALU_CYCLE_1)
	s_or_not1_b32 s15, s2, exec_lo
.LBB167_3:
	v_lshlrev_b32_e32 v2, 9, v32
	v_and_b32_e32 v33, 31, v1
	v_mbcnt_lo_u32_b32 v14, -1, 0
	s_load_b64 s[2:3], s[0:1], 0x40
	s_delay_alu instid0(VALU_DEP_3) | instskip(NEXT) | instid1(VALU_DEP_2)
	v_ashrrev_i32_e32 v3, 31, v2
	v_xor_b32_e32 v16, 16, v14
	v_xor_b32_e32 v19, 8, v14
	s_delay_alu instid0(VALU_DEP_3) | instskip(SKIP_1) | instid1(VALU_DEP_2)
	v_lshlrev_b64 v[0:1], 1, v[2:3]
	v_lshlrev_b32_e32 v2, 4, v33
	v_add_co_u32 v0, vcc_lo, s4, v0
	s_delay_alu instid0(VALU_DEP_3) | instskip(NEXT) | instid1(VALU_DEP_2)
	v_add_co_ci_u32_e32 v1, vcc_lo, s5, v1, vcc_lo
	v_add_co_u32 v4, vcc_lo, v0, v2
	s_delay_alu instid0(VALU_DEP_2)
	v_add_co_ci_u32_e32 v5, vcc_lo, 0, v1, vcc_lo
	v_cmp_gt_i32_e32 vcc_lo, 32, v16
	s_waitcnt lgkmcnt(0)
	s_cmp_eq_u64 s[2:3], 0
	s_clause 0x1
	global_load_b128 v[0:3], v[4:5], off
	global_load_b128 v[4:7], v[4:5], off offset:512
	v_cndmask_b32_e32 v16, v14, v16, vcc_lo
	v_cmp_gt_i32_e32 vcc_lo, 32, v19
	v_cndmask_b32_e32 v19, v14, v19, vcc_lo
	s_waitcnt vmcnt(1)
	v_lshlrev_b32_e32 v11, 16, v1
	v_and_b32_e32 v8, 0xffff0000, v0
	v_and_b32_e32 v1, 0xffff0000, v1
	v_lshlrev_b32_e32 v12, 16, v3
	v_and_b32_e32 v3, 0xffff0000, v3
	s_waitcnt vmcnt(0)
	v_lshlrev_b32_e32 v15, 16, v5
	v_max_f32_e32 v9, v8, v8
	v_and_b32_e32 v5, 0xffff0000, v5
	v_lshlrev_b32_e32 v18, 16, v7
	v_and_b32_e32 v7, 0xffff0000, v7
	v_lshlrev_b32_e32 v35, 2, v19
	v_xor_b32_e32 v19, 4, v14
	v_lshlrev_b32_e32 v34, 2, v16
	s_delay_alu instid0(VALU_DEP_2) | instskip(SKIP_1) | instid1(VALU_DEP_1)
	v_cmp_gt_i32_e32 vcc_lo, 32, v19
	v_dual_cndmask_b32 v19, v14, v19 :: v_dual_lshlrev_b32 v0, 16, v0
	v_dual_max_f32 v10, v0, v0 :: v_dual_lshlrev_b32 v17, 16, v6
	s_delay_alu instid0(VALU_DEP_2) | instskip(SKIP_1) | instid1(VALU_DEP_3)
	v_lshlrev_b32_e32 v36, 2, v19
	v_xor_b32_e32 v19, 2, v14
	v_dual_max_f32 v9, v10, v9 :: v_dual_lshlrev_b32 v10, 16, v2
	v_and_b32_e32 v2, 0xffff0000, v2
	s_delay_alu instid0(VALU_DEP_3) | instskip(NEXT) | instid1(VALU_DEP_3)
	v_cmp_gt_i32_e32 vcc_lo, 32, v19
	v_max3_f32 v9, v9, v11, v1
	v_dual_cndmask_b32 v19, v14, v19 :: v_dual_and_b32 v6, 0xffff0000, v6
	s_delay_alu instid0(VALU_DEP_2) | instskip(NEXT) | instid1(VALU_DEP_2)
	v_max3_f32 v9, v9, v10, v2
	v_lshlrev_b32_e32 v37, 2, v19
	v_xor_b32_e32 v19, 1, v14
	s_delay_alu instid0(VALU_DEP_3) | instskip(NEXT) | instid1(VALU_DEP_2)
	v_max3_f32 v9, v9, v12, v3
	v_cmp_gt_i32_e32 vcc_lo, 32, v19
	v_lshlrev_b32_e32 v13, 16, v4
	v_and_b32_e32 v4, 0xffff0000, v4
	v_cndmask_b32_e32 v14, v14, v19, vcc_lo
	s_delay_alu instid0(VALU_DEP_2) | instskip(NEXT) | instid1(VALU_DEP_1)
	v_max3_f32 v9, v9, v13, v4
	v_max3_f32 v9, v9, v15, v5
	s_delay_alu instid0(VALU_DEP_1) | instskip(NEXT) | instid1(VALU_DEP_1)
	v_max3_f32 v9, v9, v17, v6
	v_max3_f32 v9, v9, v18, v7
	ds_bpermute_b32 v16, v34, v9
	s_waitcnt lgkmcnt(0)
	v_max_f32_e32 v16, v16, v16
	s_delay_alu instid0(VALU_DEP_1) | instskip(SKIP_3) | instid1(VALU_DEP_1)
	v_max_f32_e32 v9, v9, v16
	ds_bpermute_b32 v16, v35, v9
	s_waitcnt lgkmcnt(0)
	v_max_f32_e32 v16, v16, v16
	v_dual_max_f32 v9, v9, v16 :: v_dual_lshlrev_b32 v38, 2, v14
	ds_bpermute_b32 v16, v36, v9
	s_waitcnt lgkmcnt(0)
	v_max_f32_e32 v16, v16, v16
	s_delay_alu instid0(VALU_DEP_1) | instskip(SKIP_3) | instid1(VALU_DEP_1)
	v_max_f32_e32 v9, v9, v16
	ds_bpermute_b32 v16, v37, v9
	s_waitcnt lgkmcnt(0)
	v_max_f32_e32 v16, v16, v16
	v_max_f32_e32 v9, v9, v16
	ds_bpermute_b32 v14, v38, v9
	s_waitcnt lgkmcnt(0)
	v_max_f32_e32 v14, v14, v14
	s_delay_alu instid0(VALU_DEP_1) | instskip(NEXT) | instid1(VALU_DEP_1)
	v_max_f32_e32 v9, v9, v14
	v_sub_f32_e32 v3, v3, v9
	v_sub_f32_e32 v0, v0, v9
	v_sub_f32_e32 v8, v8, v9
	v_sub_f32_e32 v11, v11, v9
	v_sub_f32_e32 v1, v1, v9
	v_sub_f32_e32 v10, v10, v9
	v_sub_f32_e32 v2, v2, v9
	v_sub_f32_e32 v12, v12, v9
	v_sub_f32_e32 v13, v13, v9
	v_dual_sub_f32 v14, v15, v9 :: v_dual_mul_f32 v23, 0x3fb8aa3b, v3
	v_sub_f32_e32 v15, v17, v9
	v_sub_f32_e32 v4, v4, v9
	v_dual_sub_f32 v5, v5, v9 :: v_dual_mul_f32 v20, 0x3fb8aa3b, v10
	v_sub_f32_e32 v6, v6, v9
	v_sub_f32_e32 v16, v18, v9
	v_dual_sub_f32 v7, v7, v9 :: v_dual_mul_f32 v26, 0x3fb8aa3b, v14
	v_mul_f32_e32 v9, 0x3fb8aa3b, v0
	v_dual_mul_f32 v17, 0x3fb8aa3b, v8 :: v_dual_mul_f32 v18, 0x3fb8aa3b, v11
	v_dual_mul_f32 v21, 0x3fb8aa3b, v2 :: v_dual_mul_f32 v22, 0x3fb8aa3b, v12
	;; [unrolled: 1-line block ×4, first 2 shown]
	v_fma_f32 v39, 0x3fb8aa3b, v0, -v9
	v_rndne_f32_e32 v40, v9
	v_rndne_f32_e32 v42, v17
	v_fma_f32 v43, 0x3fb8aa3b, v11, -v18
	v_rndne_f32_e32 v44, v18
	v_rndne_f32_e32 v46, v19
	v_fma_f32 v47, 0x3fb8aa3b, v10, -v20
	v_rndne_f32_e32 v48, v20
	v_fma_f32 v49, 0x3fb8aa3b, v2, -v21
	v_fma_f32 v55, 0x3fb8aa3b, v13, -v24
	v_rndne_f32_e32 v56, v24
	v_rndne_f32_e32 v60, v26
	v_fma_f32 v63, 0x3fb8aa3b, v15, -v28
	v_rndne_f32_e32 v64, v28
	v_fma_f32 v41, 0x3fb8aa3b, v8, -v17
	v_fma_f32 v45, 0x3fb8aa3b, v1, -v19
	;; [unrolled: 1-line block ×3, first 2 shown]
	v_rndne_f32_e32 v52, v22
	v_fma_f32 v59, 0x3fb8aa3b, v14, -v26
	v_dual_sub_f32 v17, v17, v42 :: v_dual_sub_f32 v18, v18, v44
	v_dual_fmac_f32 v43, 0x32a5705f, v11 :: v_dual_sub_f32 v20, v20, v48
	v_fmac_f32_e32 v39, 0x32a5705f, v0
	v_dual_sub_f32 v19, v19, v46 :: v_dual_sub_f32 v24, v24, v56
	v_dual_fmac_f32 v47, 0x32a5705f, v10 :: v_dual_sub_f32 v26, v26, v60
	v_sub_f32_e32 v9, v9, v40
	v_dual_fmac_f32 v49, 0x32a5705f, v2 :: v_dual_sub_f32 v28, v28, v64
	v_fmac_f32_e32 v63, 0x32a5705f, v15
	v_fmac_f32_e32 v55, 0x32a5705f, v13
	v_dual_fmac_f32 v45, 0x32a5705f, v1 :: v_dual_sub_f32 v22, v22, v52
	v_add_f32_e32 v18, v18, v43
	v_add_f32_e32 v20, v20, v47
	;; [unrolled: 1-line block ×3, first 2 shown]
	v_dual_add_f32 v28, v28, v63 :: v_dual_fmac_f32 v51, 0x32a5705f, v12
	v_dual_add_f32 v24, v24, v55 :: v_dual_fmac_f32 v41, 0x32a5705f, v8
	s_delay_alu instid0(VALU_DEP_3) | instskip(SKIP_1) | instid1(VALU_DEP_3)
	v_exp_f32_e32 v9, v9
	v_cvt_i32_f32_e32 v40, v40
	v_add_f32_e32 v22, v22, v51
	v_cvt_i32_f32_e32 v42, v42
	v_add_f32_e32 v17, v17, v41
	v_exp_f32_e32 v18, v18
	v_cmp_ngt_f32_e32 vcc_lo, 0xc2ce8ed0, v0
	v_cvt_i32_f32_e32 v44, v44
	v_mul_f32_e32 v25, 0x3fb8aa3b, v4
	v_exp_f32_e32 v17, v17
	v_ldexp_f32 v9, v9, v40
	v_fma_f32 v53, 0x3fb8aa3b, v3, -v23
	v_add_f32_e32 v19, v19, v45
	v_mul_f32_e32 v29, 0x3fb8aa3b, v6
	v_dual_mul_f32 v27, 0x3fb8aa3b, v5 :: v_dual_mul_f32 v30, 0x3fb8aa3b, v16
	v_cndmask_b32_e32 v9, 0, v9, vcc_lo
	v_cmp_ngt_f32_e32 vcc_lo, 0xc2ce8ed0, v8
	v_ldexp_f32 v18, v18, v44
	s_delay_alu instid0(TRANS32_DEP_1)
	v_ldexp_f32 v17, v17, v42
	v_rndne_f32_e32 v58, v25
	v_exp_f32_e32 v19, v19
	v_rndne_f32_e32 v50, v21
	v_fma_f32 v57, 0x3fb8aa3b, v4, -v25
	v_cndmask_b32_e32 v17, 0, v17, vcc_lo
	v_cmp_ngt_f32_e32 vcc_lo, 0xc2ce8ed0, v11
	v_fmac_f32_e32 v53, 0x32a5705f, v3
	v_rndne_f32_e32 v62, v27
	v_cvt_i32_f32_e32 v46, v46
	v_fma_f32 v61, 0x3fb8aa3b, v5, -v27
	v_cndmask_b32_e32 v18, 0, v18, vcc_lo
	v_cmp_nlt_f32_e32 vcc_lo, 0x42b17218, v0
	v_sub_f32_e32 v25, v25, v58
	v_rndne_f32_e32 v68, v30
	v_sub_f32_e32 v21, v21, v50
	v_exp_f32_e32 v20, v20
	v_cndmask_b32_e32 v0, 0x7f800000, v9, vcc_lo
	v_cmp_nlt_f32_e32 vcc_lo, 0x42b17218, v8
	v_sub_f32_e32 v27, v27, v62
	v_ldexp_f32 v19, v19, v46
	v_fma_f32 v67, 0x3fb8aa3b, v16, -v30
	v_cvt_i32_f32_e32 v48, v48
	v_cndmask_b32_e32 v8, 0x7f800000, v17, vcc_lo
	v_cmp_ngt_f32_e32 vcc_lo, 0xc2ce8ed0, v1
	v_dual_sub_f32 v30, v30, v68 :: v_dual_add_f32 v21, v21, v49
	s_delay_alu instid0(VALU_DEP_4)
	v_ldexp_f32 v20, v20, v48
	v_rndne_f32_e32 v54, v23
	v_cndmask_b32_e32 v9, 0, v19, vcc_lo
	v_cmp_nlt_f32_e32 vcc_lo, 0x42b17218, v11
	v_exp_f32_e32 v21, v21
	v_cvt_i32_f32_e32 v50, v50
	v_exp_f32_e32 v22, v22
	v_add_f32_e32 v17, v0, v8
	v_cndmask_b32_e32 v11, 0x7f800000, v18, vcc_lo
	v_cmp_ngt_f32_e32 vcc_lo, 0xc2ce8ed0, v10
	v_fmac_f32_e32 v59, 0x32a5705f, v14
	v_cvt_i32_f32_e32 v52, v52
	v_rndne_f32_e32 v66, v29
	v_cvt_i32_f32_e32 v60, v60
	v_cndmask_b32_e32 v18, 0, v20, vcc_lo
	v_cmp_nlt_f32_e32 vcc_lo, 0x42b17218, v1
	v_dual_sub_f32 v23, v23, v54 :: v_dual_add_f32 v26, v26, v59
	v_ldexp_f32 v21, v21, v50
	v_ldexp_f32 v22, v22, v52
	v_cndmask_b32_e32 v1, 0x7f800000, v9, vcc_lo
	v_cmp_ngt_f32_e32 vcc_lo, 0xc2ce8ed0, v2
	v_add_f32_e32 v23, v23, v53
	v_add_f32_e32 v9, v17, v11
	v_exp_f32_e32 v26, v26
	v_cvt_i32_f32_e32 v54, v54
	v_cndmask_b32_e32 v17, 0, v21, vcc_lo
	v_cmp_nlt_f32_e32 vcc_lo, 0x42b17218, v10
	v_exp_f32_e32 v23, v23
	v_fma_f32 v65, 0x3fb8aa3b, v6, -v29
	v_exp_f32_e32 v24, v24
	v_cvt_i32_f32_e32 v56, v56
	v_cndmask_b32_e32 v10, 0x7f800000, v18, vcc_lo
	v_cmp_ngt_f32_e32 vcc_lo, 0xc2ce8ed0, v12
	v_fmac_f32_e32 v61, 0x32a5705f, v5
	v_ldexp_f32 v26, v26, v60
	v_fmac_f32_e32 v67, 0x32a5705f, v16
	v_dual_fmac_f32 v57, 0x32a5705f, v4 :: v_dual_cndmask_b32 v18, 0, v22
	v_cmp_nlt_f32_e32 vcc_lo, 0x42b17218, v2
	v_sub_f32_e32 v29, v29, v66
	v_ldexp_f32 v23, v23, v54
	s_delay_alu instid0(VALU_DEP_4)
	v_dual_add_f32 v30, v30, v67 :: v_dual_add_f32 v25, v25, v57
	v_cndmask_b32_e32 v2, 0x7f800000, v17, vcc_lo
	v_cmp_ngt_f32_e32 vcc_lo, 0xc2ce8ed0, v3
	v_ldexp_f32 v24, v24, v56
	v_cvt_i32_f32_e32 v58, v58
	v_exp_f32_e32 v25, v25
	v_add_f32_e32 v27, v27, v61
	v_cndmask_b32_e32 v17, 0, v23, vcc_lo
	v_cmp_nlt_f32_e32 vcc_lo, 0x42b17218, v12
	v_rndne_f32_e32 v70, v31
	v_cvt_i32_f32_e32 v62, v62
	v_exp_f32_e32 v27, v27
	v_fma_f32 v69, 0x3fb8aa3b, v7, -v31
	v_cndmask_b32_e32 v12, 0x7f800000, v18, vcc_lo
	v_cmp_ngt_f32_e32 vcc_lo, 0xc2ce8ed0, v13
	v_ldexp_f32 v25, v25, v58
	v_exp_f32_e32 v28, v28
	v_cvt_i32_f32_e32 v64, v64
	v_cvt_i32_f32_e32 v66, v66
	v_cndmask_b32_e32 v18, 0, v24, vcc_lo
	v_cmp_nlt_f32_e32 vcc_lo, 0x42b17218, v3
	v_ldexp_f32 v27, v27, v62
	v_exp_f32_e32 v30, v30
	v_cvt_i32_f32_e32 v68, v68
	v_lshlrev_b32_e32 v39, 3, v33
	v_cndmask_b32_e32 v3, 0x7f800000, v17, vcc_lo
	v_cmp_ngt_f32_e32 vcc_lo, 0xc2ce8ed0, v4
	v_ldexp_f32 v28, v28, v64
	v_cndmask_b32_e32 v17, 0, v25, vcc_lo
	v_cmp_nlt_f32_e32 vcc_lo, 0x42b17218, v13
	s_delay_alu instid0(TRANS32_DEP_1)
	v_ldexp_f32 v30, v30, v68
	v_cndmask_b32_e32 v13, 0x7f800000, v18, vcc_lo
	v_cmp_ngt_f32_e32 vcc_lo, 0xc2ce8ed0, v14
	v_cndmask_b32_e32 v18, 0, v26, vcc_lo
	v_cmp_nlt_f32_e32 vcc_lo, 0x42b17218, v4
	v_sub_f32_e32 v31, v31, v70
	v_cvt_i32_f32_e32 v70, v70
	v_cndmask_b32_e32 v4, 0x7f800000, v17, vcc_lo
	v_cmp_ngt_f32_e32 vcc_lo, 0xc2ce8ed0, v5
	v_cndmask_b32_e32 v17, 0, v27, vcc_lo
	v_cmp_nlt_f32_e32 vcc_lo, 0x42b17218, v14
	v_cndmask_b32_e32 v14, 0x7f800000, v18, vcc_lo
	v_cmp_ngt_f32_e32 vcc_lo, 0xc2ce8ed0, v15
	v_dual_fmac_f32 v65, 0x32a5705f, v6 :: v_dual_cndmask_b32 v18, 0, v28
	s_delay_alu instid0(VALU_DEP_1) | instskip(SKIP_1) | instid1(VALU_DEP_2)
	v_add_f32_e32 v29, v29, v65
	v_cmp_nlt_f32_e32 vcc_lo, 0x42b17218, v5
	v_exp_f32_e32 v29, v29
	v_cndmask_b32_e32 v5, 0x7f800000, v17, vcc_lo
	v_cmp_ngt_f32_e32 vcc_lo, 0xc2ce8ed0, v6
	s_waitcnt_depctr 0xfff
	v_ldexp_f32 v29, v29, v66
	s_delay_alu instid0(VALU_DEP_1)
	v_cndmask_b32_e32 v17, 0, v29, vcc_lo
	v_cmp_nlt_f32_e32 vcc_lo, 0x42b17218, v15
	v_cndmask_b32_e32 v15, 0x7f800000, v18, vcc_lo
	v_cmp_ngt_f32_e32 vcc_lo, 0xc2ce8ed0, v16
	v_dual_fmac_f32 v69, 0x32a5705f, v7 :: v_dual_cndmask_b32 v18, 0, v30
	v_cmp_nlt_f32_e32 vcc_lo, 0x42b17218, v6
	s_delay_alu instid0(VALU_DEP_2) | instskip(SKIP_2) | instid1(VALU_DEP_3)
	v_add_f32_e32 v31, v31, v69
	v_cndmask_b32_e32 v6, 0x7f800000, v17, vcc_lo
	v_add_f32_e32 v9, v9, v1
	v_exp_f32_e32 v31, v31
	v_cmp_ngt_f32_e32 vcc_lo, 0xc2ce8ed0, v7
	s_delay_alu instid0(VALU_DEP_2) | instskip(NEXT) | instid1(VALU_DEP_1)
	v_add_f32_e32 v9, v9, v10
	v_add_f32_e32 v9, v9, v2
	s_waitcnt_depctr 0xfff
	v_ldexp_f32 v31, v31, v70
	v_add_f32_e32 v9, v9, v12
	s_delay_alu instid0(VALU_DEP_2) | instskip(SKIP_1) | instid1(VALU_DEP_3)
	v_cndmask_b32_e32 v17, 0, v31, vcc_lo
	v_cmp_nlt_f32_e32 vcc_lo, 0x42b17218, v16
	v_dual_add_f32 v9, v9, v3 :: v_dual_cndmask_b32 v16, 0x7f800000, v18
	v_cmp_nlt_f32_e32 vcc_lo, 0x42b17218, v7
	s_delay_alu instid0(VALU_DEP_2) | instskip(SKIP_1) | instid1(VALU_DEP_2)
	v_add_f32_e32 v9, v9, v13
	v_cndmask_b32_e32 v7, 0x7f800000, v17, vcc_lo
	v_add_f32_e32 v9, v9, v4
	s_delay_alu instid0(VALU_DEP_1) | instskip(NEXT) | instid1(VALU_DEP_1)
	v_add_f32_e32 v9, v9, v14
	v_add_f32_e32 v9, v9, v5
	s_delay_alu instid0(VALU_DEP_1) | instskip(NEXT) | instid1(VALU_DEP_1)
	v_add_f32_e32 v9, v9, v15
	;; [unrolled: 3-line block ×3, first 2 shown]
	v_add_f32_e32 v9, v9, v7
	ds_bpermute_b32 v17, v34, v9
	s_waitcnt lgkmcnt(0)
	v_add_f32_e32 v9, v9, v17
	ds_bpermute_b32 v17, v35, v9
	s_waitcnt lgkmcnt(0)
	;; [unrolled: 3-line block ×5, first 2 shown]
	v_add_f32_e32 v9, v9, v17
	s_delay_alu instid0(VALU_DEP_1) | instskip(SKIP_1) | instid1(VALU_DEP_2)
	v_div_scale_f32 v17, null, v9, v9, 1.0
	v_div_scale_f32 v20, vcc_lo, 1.0, v9, 1.0
	v_rcp_f32_e32 v18, v17
	s_waitcnt_depctr 0xfff
	v_fma_f32 v19, -v17, v18, 1.0
	s_delay_alu instid0(VALU_DEP_1) | instskip(NEXT) | instid1(VALU_DEP_1)
	v_fmac_f32_e32 v18, v19, v18
	v_mul_f32_e32 v19, v20, v18
	s_delay_alu instid0(VALU_DEP_1) | instskip(NEXT) | instid1(VALU_DEP_1)
	v_fma_f32 v21, -v17, v19, v20
	v_fmac_f32_e32 v19, v21, v18
	s_delay_alu instid0(VALU_DEP_1) | instskip(NEXT) | instid1(VALU_DEP_1)
	v_fma_f32 v17, -v17, v19, v20
	v_div_fmas_f32 v17, v17, v18, v19
	s_delay_alu instid0(VALU_DEP_1) | instskip(NEXT) | instid1(VALU_DEP_1)
	v_div_fixup_f32 v9, v17, v9, 1.0
	v_mul_f32_e32 v0, v9, v0
	v_mul_f32_e32 v8, v9, v8
	;; [unrolled: 1-line block ×5, first 2 shown]
	v_cmp_class_f32_e64 vcc_lo, v0, 0x1f8
	v_mul_f32_e32 v17, v9, v1
	v_mul_f32_e32 v10, v9, v10
	;; [unrolled: 1-line block ×3, first 2 shown]
	v_dual_mul_f32 v19, v9, v3 :: v_dual_cndmask_b32 v0, 0, v0
	v_cmp_class_f32_e64 vcc_lo, v8, 0x1f8
	v_mul_f32_e32 v21, v9, v5
	v_mul_f32_e32 v13, v9, v13
	;; [unrolled: 1-line block ×4, first 2 shown]
	v_cndmask_b32_e32 v1, 0, v8, vcc_lo
	v_cmp_class_f32_e64 vcc_lo, v11, 0x1f8
	v_mul_f32_e32 v14, v9, v14
	v_mul_f32_e32 v15, v9, v15
	;; [unrolled: 1-line block ×3, first 2 shown]
	v_cndmask_b32_e32 v2, 0, v11, vcc_lo
	v_cmp_class_f32_e64 vcc_lo, v17, 0x1f8
	v_cndmask_b32_e32 v3, 0, v17, vcc_lo
	v_cmp_class_f32_e64 vcc_lo, v10, 0x1f8
	;; [unrolled: 2-line block ×13, first 2 shown]
	v_cndmask_b32_e32 v15, 0, v23, vcc_lo
	s_cbranch_scc1 .LBB167_35
; %bb.4:
	v_lshlrev_b32_e32 v28, 2, v39
	s_clause 0x3
	global_load_b128 v[16:19], v28, s[2:3]
	global_load_b128 v[20:23], v28, s[2:3] offset:16
	global_load_b128 v[24:27], v28, s[2:3] offset:1024
	;; [unrolled: 1-line block ×3, first 2 shown]
	s_waitcnt vmcnt(3)
	v_dual_add_f32 v17, v17, v1 :: v_dual_add_f32 v16, v16, v0
	v_dual_add_f32 v19, v19, v3 :: v_dual_add_f32 v18, v18, v2
	s_waitcnt vmcnt(2)
	v_dual_add_f32 v21, v21, v5 :: v_dual_add_f32 v20, v20, v4
	v_dual_add_f32 v23, v23, v7 :: v_dual_add_f32 v22, v22, v6
	;; [unrolled: 3-line block ×4, first 2 shown]
	s_cbranch_execnz .LBB167_6
.LBB167_5:
	v_dual_mov_b32 v31, v15 :: v_dual_mov_b32 v30, v14
	v_dual_mov_b32 v29, v13 :: v_dual_mov_b32 v28, v12
	;; [unrolled: 1-line block ×8, first 2 shown]
.LBB167_6:
	s_load_b128 s[4:7], s[0:1], 0x30
	v_cmp_eq_u32_e64 s2, 0, v33
	s_waitcnt lgkmcnt(0)
	s_bitcmp1_b32 s7, 0
	s_mov_b32 s7, 0
	s_cselect_b32 vcc_lo, -1, 0
	s_cmp_gt_i32 s4, 0
	s_cselect_b32 s3, -1, 0
	s_cmp_lt_i32 s4, 1
	s_cbranch_scc1 .LBB167_36
; %bb.7:
	s_load_b128 s[8:11], s[0:1], 0x20
	v_mul_lo_u32 v41, v32, s4
	v_mov_b32_e32 v40, 0
	v_mov_b32_e32 v42, v32
	s_branch .LBB167_10
.LBB167_8:                              ;   in Loop: Header=BB167_10 Depth=1
	s_or_b32 exec_lo, exec_lo, s1
.LBB167_9:                              ;   in Loop: Header=BB167_10 Depth=1
	v_add_nc_u32_e32 v42, s14, v42
	s_cmp_eq_u32 s4, s7
	s_cbranch_scc1 .LBB167_37
.LBB167_10:                             ; =>This Inner Loop Header: Depth=1
	v_cmp_gt_f32_e64 s0, v17, v16
	s_mov_b32 s17, exec_lo
	s_delay_alu instid0(VALU_DEP_1) | instskip(SKIP_2) | instid1(VALU_DEP_3)
	v_cndmask_b32_e64 v43, v16, v17, s0
	v_cndmask_b32_e64 v44, 0, 1, s0
	;; [unrolled: 1-line block ×3, first 2 shown]
	v_cmp_gt_f32_e64 s1, v18, v43
	s_delay_alu instid0(VALU_DEP_1) | instskip(NEXT) | instid1(VALU_DEP_4)
	v_cndmask_b32_e64 v43, v43, v18, s1
	v_cndmask_b32_e64 v44, v44, 2, s1
	s_delay_alu instid0(VALU_DEP_4) | instskip(NEXT) | instid1(VALU_DEP_3)
	v_cndmask_b32_e64 v45, v45, v2, s1
	v_cmp_gt_f32_e64 s0, v19, v43
	s_delay_alu instid0(VALU_DEP_1) | instskip(NEXT) | instid1(VALU_DEP_4)
	v_cndmask_b32_e64 v43, v43, v19, s0
	v_cndmask_b32_e64 v44, v44, 3, s0
	s_delay_alu instid0(VALU_DEP_4) | instskip(NEXT) | instid1(VALU_DEP_3)
	v_cndmask_b32_e64 v45, v45, v3, s0
	;; [unrolled: 6-line block ×12, first 2 shown]
	v_cmp_gt_f32_e64 s1, v30, v43
	s_delay_alu instid0(VALU_DEP_1) | instskip(NEXT) | instid1(VALU_DEP_4)
	v_cndmask_b32_e64 v43, v43, v30, s1
	v_cndmask_b32_e64 v44, v44, 0x106, s1
	s_waitcnt lgkmcnt(0)
	v_cndmask_b32_e64 v46, v45, v14, s1
	s_delay_alu instid0(VALU_DEP_3) | instskip(NEXT) | instid1(VALU_DEP_1)
	v_cmp_gt_f32_e64 s0, v31, v43
	v_cndmask_b32_e64 v45, v43, v31, s0
	v_cndmask_b32_e64 v43, v44, 0x107, s0
	s_delay_alu instid0(VALU_DEP_4)
	v_cndmask_b32_e64 v44, v46, v15, s0
	ds_bpermute_b32 v46, v34, v45
	v_or_b32_e32 v43, v39, v43
	ds_bpermute_b32 v48, v34, v44
	ds_bpermute_b32 v47, v34, v43
	s_waitcnt lgkmcnt(0)
	v_cmp_lt_f32_e64 s16, v45, v46
	v_cmpx_nlt_f32_e32 v45, v46
; %bb.11:                               ;   in Loop: Header=BB167_10 Depth=1
	v_cmp_eq_f32_e64 s0, v45, v46
	v_cmp_lt_i32_e64 s1, v47, v43
	s_delay_alu instid0(VALU_DEP_1) | instskip(SKIP_2) | instid1(SALU_CYCLE_1)
	s_and_b32 s0, s0, s1
	s_and_not1_b32 s1, s16, exec_lo
	s_and_b32 s0, s0, exec_lo
	s_or_b32 s16, s1, s0
; %bb.12:                               ;   in Loop: Header=BB167_10 Depth=1
	s_or_b32 exec_lo, exec_lo, s17
	s_and_saveexec_b32 s0, s16
; %bb.13:                               ;   in Loop: Header=BB167_10 Depth=1
	v_dual_mov_b32 v44, v48 :: v_dual_mov_b32 v45, v46
	v_mov_b32_e32 v43, v47
; %bb.14:                               ;   in Loop: Header=BB167_10 Depth=1
	s_or_b32 exec_lo, exec_lo, s0
	ds_bpermute_b32 v47, v35, v45
	ds_bpermute_b32 v48, v35, v44
	;; [unrolled: 1-line block ×3, first 2 shown]
	s_mov_b32 s17, exec_lo
	s_waitcnt lgkmcnt(2)
	v_cmp_lt_f32_e64 s16, v45, v47
	v_cmpx_nlt_f32_e32 v45, v47
	s_cbranch_execz .LBB167_16
; %bb.15:                               ;   in Loop: Header=BB167_10 Depth=1
	v_cmp_eq_f32_e64 s0, v45, v47
	s_waitcnt lgkmcnt(0)
	v_cmp_lt_i32_e64 s1, v46, v43
	s_delay_alu instid0(VALU_DEP_1) | instskip(SKIP_2) | instid1(SALU_CYCLE_1)
	s_and_b32 s0, s0, s1
	s_and_not1_b32 s1, s16, exec_lo
	s_and_b32 s0, s0, exec_lo
	s_or_b32 s16, s1, s0
.LBB167_16:                             ;   in Loop: Header=BB167_10 Depth=1
	s_or_b32 exec_lo, exec_lo, s17
	s_delay_alu instid0(VALU_DEP_2)
	s_and_saveexec_b32 s0, s16
	s_cbranch_execz .LBB167_18
; %bb.17:                               ;   in Loop: Header=BB167_10 Depth=1
	s_waitcnt lgkmcnt(1)
	v_dual_mov_b32 v44, v48 :: v_dual_mov_b32 v45, v47
	s_waitcnt lgkmcnt(0)
	v_mov_b32_e32 v43, v46
.LBB167_18:                             ;   in Loop: Header=BB167_10 Depth=1
	s_or_b32 exec_lo, exec_lo, s0
	ds_bpermute_b32 v47, v36, v45
	s_waitcnt lgkmcnt(2)
	ds_bpermute_b32 v48, v36, v44
	s_waitcnt lgkmcnt(2)
	ds_bpermute_b32 v46, v36, v43
	s_mov_b32 s17, exec_lo
	s_waitcnt lgkmcnt(2)
	v_cmp_lt_f32_e64 s16, v45, v47
	v_cmpx_nlt_f32_e32 v45, v47
	s_cbranch_execz .LBB167_20
; %bb.19:                               ;   in Loop: Header=BB167_10 Depth=1
	v_cmp_eq_f32_e64 s0, v45, v47
	s_waitcnt lgkmcnt(0)
	v_cmp_lt_i32_e64 s1, v46, v43
	s_delay_alu instid0(VALU_DEP_1) | instskip(SKIP_2) | instid1(SALU_CYCLE_1)
	s_and_b32 s0, s0, s1
	s_and_not1_b32 s1, s16, exec_lo
	s_and_b32 s0, s0, exec_lo
	s_or_b32 s16, s1, s0
.LBB167_20:                             ;   in Loop: Header=BB167_10 Depth=1
	s_or_b32 exec_lo, exec_lo, s17
	s_delay_alu instid0(VALU_DEP_2)
	s_and_saveexec_b32 s0, s16
	s_cbranch_execz .LBB167_22
; %bb.21:                               ;   in Loop: Header=BB167_10 Depth=1
	s_waitcnt lgkmcnt(1)
	v_dual_mov_b32 v44, v48 :: v_dual_mov_b32 v45, v47
	s_waitcnt lgkmcnt(0)
	v_mov_b32_e32 v43, v46
.LBB167_22:                             ;   in Loop: Header=BB167_10 Depth=1
	s_or_b32 exec_lo, exec_lo, s0
	ds_bpermute_b32 v47, v37, v45
	s_waitcnt lgkmcnt(2)
	ds_bpermute_b32 v48, v37, v44
	s_waitcnt lgkmcnt(2)
	ds_bpermute_b32 v46, v37, v43
	s_mov_b32 s17, exec_lo
	s_waitcnt lgkmcnt(2)
	v_cmp_lt_f32_e64 s16, v45, v47
	v_cmpx_nlt_f32_e32 v45, v47
	s_cbranch_execz .LBB167_24
; %bb.23:                               ;   in Loop: Header=BB167_10 Depth=1
	v_cmp_eq_f32_e64 s0, v45, v47
	s_waitcnt lgkmcnt(0)
	v_cmp_lt_i32_e64 s1, v46, v43
	s_delay_alu instid0(VALU_DEP_1) | instskip(SKIP_2) | instid1(SALU_CYCLE_1)
	s_and_b32 s0, s0, s1
	s_and_not1_b32 s1, s16, exec_lo
	s_and_b32 s0, s0, exec_lo
	s_or_b32 s16, s1, s0
.LBB167_24:                             ;   in Loop: Header=BB167_10 Depth=1
	s_or_b32 exec_lo, exec_lo, s17
	s_delay_alu instid0(VALU_DEP_2)
	s_and_saveexec_b32 s0, s16
	s_cbranch_execz .LBB167_26
; %bb.25:                               ;   in Loop: Header=BB167_10 Depth=1
	s_waitcnt lgkmcnt(1)
	v_dual_mov_b32 v44, v48 :: v_dual_mov_b32 v45, v47
	s_waitcnt lgkmcnt(0)
	v_mov_b32_e32 v43, v46
.LBB167_26:                             ;   in Loop: Header=BB167_10 Depth=1
	s_or_b32 exec_lo, exec_lo, s0
	s_waitcnt lgkmcnt(1)
	ds_bpermute_b32 v48, v38, v45
	ds_bpermute_b32 v47, v38, v44
	s_waitcnt lgkmcnt(2)
	ds_bpermute_b32 v46, v38, v43
	s_mov_b32 s17, exec_lo
	s_waitcnt lgkmcnt(2)
	v_cmp_lt_f32_e64 s16, v45, v48
	v_cmpx_nlt_f32_e32 v45, v48
	s_cbranch_execnz .LBB167_30
; %bb.27:                               ;   in Loop: Header=BB167_10 Depth=1
	s_or_b32 exec_lo, exec_lo, s17
	s_delay_alu instid0(VALU_DEP_2)
	s_and_saveexec_b32 s0, s16
	s_cbranch_execnz .LBB167_31
.LBB167_28:                             ;   in Loop: Header=BB167_10 Depth=1
	s_or_b32 exec_lo, exec_lo, s0
	s_and_saveexec_b32 s16, s2
	s_cbranch_execnz .LBB167_32
.LBB167_29:                             ;   in Loop: Header=BB167_10 Depth=1
	s_or_b32 exec_lo, exec_lo, s16
	s_add_i32 s7, s7, 1
	s_delay_alu instid0(SALU_CYCLE_1)
	s_cmp_ge_i32 s7, s4
	s_cbranch_scc1 .LBB167_9
	s_branch .LBB167_33
.LBB167_30:                             ;   in Loop: Header=BB167_10 Depth=1
	v_cmp_eq_f32_e64 s0, v45, v48
	s_waitcnt lgkmcnt(0)
	v_cmp_lt_i32_e64 s1, v46, v43
	s_delay_alu instid0(VALU_DEP_1) | instskip(SKIP_2) | instid1(SALU_CYCLE_1)
	s_and_b32 s0, s0, s1
	s_and_not1_b32 s1, s16, exec_lo
	s_and_b32 s0, s0, exec_lo
	s_or_b32 s16, s1, s0
	s_or_b32 exec_lo, exec_lo, s17
	s_and_saveexec_b32 s0, s16
	s_cbranch_execz .LBB167_28
.LBB167_31:                             ;   in Loop: Header=BB167_10 Depth=1
	s_waitcnt lgkmcnt(0)
	v_dual_mov_b32 v44, v47 :: v_dual_mov_b32 v43, v46
	s_or_b32 exec_lo, exec_lo, s0
	s_and_saveexec_b32 s16, s2
	s_cbranch_execz .LBB167_29
.LBB167_32:                             ;   in Loop: Header=BB167_10 Depth=1
	s_delay_alu instid0(VALU_DEP_1)
	v_dual_add_f32 v52, v40, v44 :: v_dual_add_nc_u32 v45, s7, v41
	v_cmp_le_i32_e64 s0, s5, v43
	v_cmp_gt_i32_e64 s1, s6, v43
	s_waitcnt lgkmcnt(1)
	v_subrev_nc_u32_e32 v47, s5, v43
	s_waitcnt lgkmcnt(0)
	v_ashrrev_i32_e32 v46, 31, v45
	v_cndmask_b32_e32 v40, v40, v52, vcc_lo
	s_and_b32 s0, s0, s1
	s_delay_alu instid0(SALU_CYCLE_1) | instskip(NEXT) | instid1(VALU_DEP_2)
	s_and_b32 s0, s15, s0
	v_lshlrev_b64 v[45:46], 2, v[45:46]
	v_cndmask_b32_e64 v51, 0x200, v47, s0
	s_delay_alu instid0(VALU_DEP_2) | instskip(NEXT) | instid1(VALU_DEP_1)
	v_add_co_u32 v47, s0, s12, v45
	v_add_co_ci_u32_e64 v48, s0, s13, v46, s0
	v_add_co_u32 v49, s0, s8, v45
	s_delay_alu instid0(VALU_DEP_1) | instskip(SKIP_1) | instid1(VALU_DEP_1)
	v_add_co_ci_u32_e64 v50, s0, s9, v46, s0
	v_add_co_u32 v45, s0, s10, v45
	v_add_co_ci_u32_e64 v46, s0, s11, v46, s0
	global_store_b32 v[47:48], v44, off
	global_store_b32 v[49:50], v51, off
	;; [unrolled: 1-line block ×3, first 2 shown]
	s_or_b32 exec_lo, exec_lo, s16
	s_add_i32 s7, s7, 1
	s_delay_alu instid0(SALU_CYCLE_1)
	s_cmp_ge_i32 s7, s4
	s_cbranch_scc1 .LBB167_9
.LBB167_33:                             ;   in Loop: Header=BB167_10 Depth=1
	v_ashrrev_i32_e32 v44, 31, v43
	s_mov_b32 s1, exec_lo
	s_delay_alu instid0(VALU_DEP_1) | instskip(NEXT) | instid1(VALU_DEP_1)
	v_lshrrev_b32_e32 v45, 29, v44
	v_add_nc_u32_e32 v45, v43, v45
	s_waitcnt lgkmcnt(0)
	s_delay_alu instid0(VALU_DEP_1) | instskip(SKIP_1) | instid1(VALU_DEP_2)
	v_ashrrev_i32_e32 v46, 31, v45
	v_ashrrev_i32_e32 v45, 3, v45
	v_lshrrev_b32_e32 v46, 27, v46
	s_delay_alu instid0(VALU_DEP_1) | instskip(NEXT) | instid1(VALU_DEP_1)
	v_add_nc_u32_e32 v46, v45, v46
	v_and_b32_e32 v46, 0xffffffe0, v46
	s_delay_alu instid0(VALU_DEP_1) | instskip(NEXT) | instid1(VALU_DEP_1)
	v_sub_nc_u32_e32 v46, v45, v46
	v_cmpx_eq_u32_e64 v33, v46
	s_cbranch_execz .LBB167_8
; %bb.34:                               ;   in Loop: Header=BB167_10 Depth=1
	v_lshrrev_b32_e32 v44, 24, v44
	v_lshlrev_b32_e32 v45, 3, v45
	s_delay_alu instid0(VALU_DEP_2) | instskip(NEXT) | instid1(VALU_DEP_2)
	v_add_nc_u32_e32 v44, v43, v44
	v_sub_nc_u32_e32 v43, v43, v45
	s_delay_alu instid0(VALU_DEP_2) | instskip(NEXT) | instid1(VALU_DEP_1)
	v_ashrrev_i32_e32 v44, 8, v44
	v_lshl_add_u32 v43, v44, 3, v43
	s_delay_alu instid0(VALU_DEP_1) | instskip(NEXT) | instid1(VALU_DEP_1)
	v_cmp_ne_u32_e64 s0, 15, v43
	v_cndmask_b32_e64 v31, 0xc61c4000, v31, s0
	v_cmp_ne_u32_e64 s0, 14, v43
	s_delay_alu instid0(VALU_DEP_1) | instskip(SKIP_1) | instid1(VALU_DEP_1)
	v_cndmask_b32_e64 v30, 0xc61c4000, v30, s0
	v_cmp_ne_u32_e64 s0, 13, v43
	v_cndmask_b32_e64 v29, 0xc61c4000, v29, s0
	v_cmp_ne_u32_e64 s0, 12, v43
	s_delay_alu instid0(VALU_DEP_1) | instskip(SKIP_1) | instid1(VALU_DEP_1)
	v_cndmask_b32_e64 v28, 0xc61c4000, v28, s0
	;; [unrolled: 5-line block ×7, first 2 shown]
	v_cmp_ne_u32_e64 s0, 1, v43
	v_cndmask_b32_e64 v17, 0xc61c4000, v17, s0
	v_cmp_ne_u32_e64 s0, 0, v43
	s_delay_alu instid0(VALU_DEP_1)
	v_cndmask_b32_e64 v16, 0xc61c4000, v16, s0
	s_branch .LBB167_8
.LBB167_35:
                                        ; implicit-def: $vgpr16_vgpr17_vgpr18_vgpr19_vgpr20_vgpr21_vgpr22_vgpr23_vgpr24_vgpr25_vgpr26_vgpr27_vgpr28_vgpr29_vgpr30_vgpr31
	s_and_not1_b32 vcc_lo, exec_lo, s8
	s_cbranch_vccz .LBB167_5
	s_branch .LBB167_6
.LBB167_36:
	v_mov_b32_e32 v40, 0
.LBB167_37:
	v_cmp_eq_u32_e64 s0, 0, v33
	s_delay_alu instid0(VALU_DEP_1) | instskip(NEXT) | instid1(SALU_CYCLE_1)
	s_and_b32 s0, s0, vcc_lo
	s_and_b32 exec_lo, exec_lo, s0
	s_cbranch_execz .LBB167_41
; %bb.38:
	s_and_not1_b32 vcc_lo, exec_lo, s3
	s_cbranch_vccnz .LBB167_41
; %bb.39:
	v_mul_lo_u32 v0, v32, s4
	v_cmp_lt_f32_e32 vcc_lo, 0, v40
	v_cndmask_b32_e32 v2, 1.0, v40, vcc_lo
	s_delay_alu instid0(VALU_DEP_3) | instskip(NEXT) | instid1(VALU_DEP_1)
	v_ashrrev_i32_e32 v1, 31, v0
	v_lshlrev_b64 v[0:1], 2, v[0:1]
	s_delay_alu instid0(VALU_DEP_1) | instskip(NEXT) | instid1(VALU_DEP_2)
	v_add_co_u32 v0, vcc_lo, s12, v0
	v_add_co_ci_u32_e32 v1, vcc_lo, s13, v1, vcc_lo
	.p2align	6
.LBB167_40:                             ; =>This Inner Loop Header: Depth=1
	global_load_b32 v3, v[0:1], off
	s_add_i32 s4, s4, -1
	s_delay_alu instid0(SALU_CYCLE_1) | instskip(SKIP_3) | instid1(VALU_DEP_2)
	s_cmp_lg_u32 s4, 0
	s_waitcnt vmcnt(0)
	v_div_scale_f32 v4, null, v2, v2, v3
	v_div_scale_f32 v7, vcc_lo, v3, v2, v3
	v_rcp_f32_e32 v5, v4
	s_waitcnt_depctr 0xfff
	v_fma_f32 v6, -v4, v5, 1.0
	s_delay_alu instid0(VALU_DEP_1) | instskip(NEXT) | instid1(VALU_DEP_1)
	v_fmac_f32_e32 v5, v6, v5
	v_mul_f32_e32 v6, v7, v5
	s_delay_alu instid0(VALU_DEP_1) | instskip(NEXT) | instid1(VALU_DEP_1)
	v_fma_f32 v8, -v4, v6, v7
	v_fmac_f32_e32 v6, v8, v5
	s_delay_alu instid0(VALU_DEP_1) | instskip(NEXT) | instid1(VALU_DEP_1)
	v_fma_f32 v4, -v4, v6, v7
	v_div_fmas_f32 v4, v4, v5, v6
	s_delay_alu instid0(VALU_DEP_1)
	v_div_fixup_f32 v3, v4, v2, v3
	global_store_b32 v[0:1], v3, off
	v_add_co_u32 v0, vcc_lo, v0, 4
	v_add_co_ci_u32_e32 v1, vcc_lo, 0, v1, vcc_lo
	s_cbranch_scc1 .LBB167_40
.LBB167_41:
	s_nop 0
	s_sendmsg sendmsg(MSG_DEALLOC_VGPRS)
	s_endpgm
	.section	.rodata,"a",@progbits
	.p2align	6, 0x0
	.amdhsa_kernel _ZN4vllm3moe10topkGatingILi16ELi512ELi4ELi16ELi32Ej14__hip_bfloat16LNS0_11ScoringFuncE0EEEvPKT5_PKbPfiPT4_PiiiibPKf
		.amdhsa_group_segment_fixed_size 0
		.amdhsa_private_segment_fixed_size 0
		.amdhsa_kernarg_size 72
		.amdhsa_user_sgpr_count 15
		.amdhsa_user_sgpr_dispatch_ptr 0
		.amdhsa_user_sgpr_queue_ptr 0
		.amdhsa_user_sgpr_kernarg_segment_ptr 1
		.amdhsa_user_sgpr_dispatch_id 0
		.amdhsa_user_sgpr_private_segment_size 0
		.amdhsa_wavefront_size32 1
		.amdhsa_uses_dynamic_stack 0
		.amdhsa_enable_private_segment 0
		.amdhsa_system_sgpr_workgroup_id_x 1
		.amdhsa_system_sgpr_workgroup_id_y 0
		.amdhsa_system_sgpr_workgroup_id_z 0
		.amdhsa_system_sgpr_workgroup_info 0
		.amdhsa_system_vgpr_workitem_id 1
		.amdhsa_next_free_vgpr 71
		.amdhsa_next_free_sgpr 18
		.amdhsa_reserve_vcc 1
		.amdhsa_float_round_mode_32 0
		.amdhsa_float_round_mode_16_64 0
		.amdhsa_float_denorm_mode_32 3
		.amdhsa_float_denorm_mode_16_64 3
		.amdhsa_dx10_clamp 1
		.amdhsa_ieee_mode 1
		.amdhsa_fp16_overflow 0
		.amdhsa_workgroup_processor_mode 1
		.amdhsa_memory_ordered 1
		.amdhsa_forward_progress 0
		.amdhsa_shared_vgpr_count 0
		.amdhsa_exception_fp_ieee_invalid_op 0
		.amdhsa_exception_fp_denorm_src 0
		.amdhsa_exception_fp_ieee_div_zero 0
		.amdhsa_exception_fp_ieee_overflow 0
		.amdhsa_exception_fp_ieee_underflow 0
		.amdhsa_exception_fp_ieee_inexact 0
		.amdhsa_exception_int_div_zero 0
	.end_amdhsa_kernel
	.section	.text._ZN4vllm3moe10topkGatingILi16ELi512ELi4ELi16ELi32Ej14__hip_bfloat16LNS0_11ScoringFuncE0EEEvPKT5_PKbPfiPT4_PiiiibPKf,"axG",@progbits,_ZN4vllm3moe10topkGatingILi16ELi512ELi4ELi16ELi32Ej14__hip_bfloat16LNS0_11ScoringFuncE0EEEvPKT5_PKbPfiPT4_PiiiibPKf,comdat
.Lfunc_end167:
	.size	_ZN4vllm3moe10topkGatingILi16ELi512ELi4ELi16ELi32Ej14__hip_bfloat16LNS0_11ScoringFuncE0EEEvPKT5_PKbPfiPT4_PiiiibPKf, .Lfunc_end167-_ZN4vllm3moe10topkGatingILi16ELi512ELi4ELi16ELi32Ej14__hip_bfloat16LNS0_11ScoringFuncE0EEEvPKT5_PKbPfiPT4_PiiiibPKf
                                        ; -- End function
	.section	.AMDGPU.csdata,"",@progbits
; Kernel info:
; codeLenInByte = 5176
; NumSgprs: 20
; NumVgprs: 71
; ScratchSize: 0
; MemoryBound: 0
; FloatMode: 240
; IeeeMode: 1
; LDSByteSize: 0 bytes/workgroup (compile time only)
; SGPRBlocks: 2
; VGPRBlocks: 8
; NumSGPRsForWavesPerEU: 20
; NumVGPRsForWavesPerEU: 71
; Occupancy: 16
; WaveLimiterHint : 1
; COMPUTE_PGM_RSRC2:SCRATCH_EN: 0
; COMPUTE_PGM_RSRC2:USER_SGPR: 15
; COMPUTE_PGM_RSRC2:TRAP_HANDLER: 0
; COMPUTE_PGM_RSRC2:TGID_X_EN: 1
; COMPUTE_PGM_RSRC2:TGID_Y_EN: 0
; COMPUTE_PGM_RSRC2:TGID_Z_EN: 0
; COMPUTE_PGM_RSRC2:TIDIG_COMP_CNT: 1
	.section	.text._ZN4vllm3moe10topkGatingILi1ELi1ELi4ELi2ELi64El14__hip_bfloat16LNS0_11ScoringFuncE0EEEvPKT5_PKbPfiPT4_PiiiibPKf,"axG",@progbits,_ZN4vllm3moe10topkGatingILi1ELi1ELi4ELi2ELi64El14__hip_bfloat16LNS0_11ScoringFuncE0EEEvPKT5_PKbPfiPT4_PiiiibPKf,comdat
	.protected	_ZN4vllm3moe10topkGatingILi1ELi1ELi4ELi2ELi64El14__hip_bfloat16LNS0_11ScoringFuncE0EEEvPKT5_PKbPfiPT4_PiiiibPKf ; -- Begin function _ZN4vllm3moe10topkGatingILi1ELi1ELi4ELi2ELi64El14__hip_bfloat16LNS0_11ScoringFuncE0EEEvPKT5_PKbPfiPT4_PiiiibPKf
	.globl	_ZN4vllm3moe10topkGatingILi1ELi1ELi4ELi2ELi64El14__hip_bfloat16LNS0_11ScoringFuncE0EEEvPKT5_PKbPfiPT4_PiiiibPKf
	.p2align	8
	.type	_ZN4vllm3moe10topkGatingILi1ELi1ELi4ELi2ELi64El14__hip_bfloat16LNS0_11ScoringFuncE0EEEvPKT5_PKbPfiPT4_PiiiibPKf,@function
_ZN4vllm3moe10topkGatingILi1ELi1ELi4ELi2ELi64El14__hip_bfloat16LNS0_11ScoringFuncE0EEEvPKT5_PKbPfiPT4_PiiiibPKf: ; @_ZN4vllm3moe10topkGatingILi1ELi1ELi4ELi2ELi64El14__hip_bfloat16LNS0_11ScoringFuncE0EEEvPKT5_PKbPfiPT4_PiiiibPKf
; %bb.0:
	s_load_b32 s3, s[0:1], 0x18
	v_bfe_u32 v1, v0, 10, 10
	v_and_b32_e32 v0, 0x3ff, v0
	s_lshl_b32 s2, s15, 8
	s_delay_alu instid0(VALU_DEP_2) | instskip(NEXT) | instid1(VALU_DEP_1)
	v_lshlrev_b32_e32 v1, 6, v1
	v_add3_u32 v0, v1, v0, s2
	s_mov_b32 s2, exec_lo
	s_waitcnt lgkmcnt(0)
	s_delay_alu instid0(VALU_DEP_1)
	v_cmpx_gt_i32_e64 s3, v0
	s_cbranch_execz .LBB168_12
; %bb.1:
	s_clause 0x1
	s_load_b128 s[8:11], s[0:1], 0x0
	s_load_b64 s[12:13], s[0:1], 0x10
	v_ashrrev_i32_e32 v1, 31, v0
	s_waitcnt lgkmcnt(0)
	s_cmp_eq_u64 s[10:11], 0
	s_cbranch_scc1 .LBB168_3
; %bb.2:
	v_add_co_u32 v2, vcc_lo, s10, v0
	v_add_co_ci_u32_e32 v3, vcc_lo, s11, v1, vcc_lo
	global_load_u8 v2, v[2:3], off
	s_waitcnt vmcnt(0)
	v_and_b32_e32 v2, 1, v2
	s_delay_alu instid0(VALU_DEP_1) | instskip(SKIP_1) | instid1(SALU_CYCLE_1)
	v_cmp_eq_u32_e32 vcc_lo, 1, v2
	s_xor_b32 s2, vcc_lo, -1
	s_or_not1_b32 s14, s2, exec_lo
	s_branch .LBB168_4
.LBB168_3:
	s_mov_b32 s14, -1
.LBB168_4:
	s_load_b128 s[4:7], s[0:1], 0x30
	s_waitcnt lgkmcnt(0)
	s_bitcmp1_b32 s7, 0
	s_cselect_b32 s2, -1, 0
	s_cmp_gt_i32 s4, 0
	s_cselect_b32 s7, -1, 0
	s_cmp_lt_i32 s4, 1
	s_cbranch_scc1 .LBB168_8
; %bb.5:
	v_lshlrev_b64 v[1:2], 1, v[0:1]
	s_cmp_lt_i32 s5, 1
	v_mov_b32_e32 v9, 0
	s_delay_alu instid0(VALU_DEP_2) | instskip(NEXT) | instid1(VALU_DEP_3)
	v_add_co_u32 v1, vcc_lo, s8, v1
	v_add_co_ci_u32_e32 v2, vcc_lo, s9, v2, vcc_lo
	s_load_b128 s[8:11], s[0:1], 0x20
	s_cselect_b32 s0, -1, 0
	s_cmp_gt_i32 s6, 0
	global_load_u16 v1, v[1:2], off
	s_cselect_b32 s1, -1, 0
	s_sub_i32 s5, 0, s5
	s_and_b32 s0, s0, s1
	s_ashr_i32 s1, s5, 31
	s_and_b32 s0, s14, s0
	s_waitcnt vmcnt(0)
	v_lshlrev_b32_e32 v1, 16, v1
	s_delay_alu instid0(VALU_DEP_1) | instskip(NEXT) | instid1(VALU_DEP_1)
	v_sub_f32_e32 v1, v1, v1
	v_mul_f32_e32 v2, 0x3fb8aa3b, v1
	s_delay_alu instid0(VALU_DEP_1) | instskip(SKIP_1) | instid1(VALU_DEP_1)
	v_fma_f32 v3, 0x3fb8aa3b, v1, -v2
	v_rndne_f32_e32 v4, v2
	v_dual_fmamk_f32 v3, v1, 0x32a5705f, v3 :: v_dual_sub_f32 v2, v2, v4
	s_delay_alu instid0(VALU_DEP_1) | instskip(SKIP_2) | instid1(VALU_DEP_3)
	v_add_f32_e32 v2, v2, v3
	v_cvt_i32_f32_e32 v3, v4
	v_cmp_ngt_f32_e32 vcc_lo, 0xc2ce8ed0, v1
	v_exp_f32_e32 v2, v2
	s_waitcnt_depctr 0xfff
	v_ldexp_f32 v2, v2, v3
	v_mul_lo_u32 v3, v0, s4
	s_delay_alu instid0(VALU_DEP_2) | instskip(SKIP_1) | instid1(VALU_DEP_3)
	v_cndmask_b32_e32 v2, 0, v2, vcc_lo
	v_cmp_nlt_f32_e32 vcc_lo, 0x42b17218, v1
	v_ashrrev_i32_e32 v4, 31, v3
	s_delay_alu instid0(VALU_DEP_3) | instskip(SKIP_1) | instid1(VALU_DEP_3)
	v_cndmask_b32_e32 v10, 0x7f800000, v2, vcc_lo
	v_cndmask_b32_e64 v2, 0, s1, s0
	v_lshlrev_b64 v[7:8], 2, v[3:4]
	s_delay_alu instid0(VALU_DEP_3) | instskip(SKIP_1) | instid1(VALU_DEP_2)
	v_div_scale_f32 v5, null, v10, v10, 1.0
	v_div_scale_f32 v6, vcc_lo, 1.0, v10, 1.0
	v_rcp_f32_e32 v11, v5
	s_waitcnt_depctr 0xfff
	v_fma_f32 v1, -v5, v11, 1.0
	s_delay_alu instid0(VALU_DEP_1) | instskip(NEXT) | instid1(VALU_DEP_1)
	v_fmac_f32_e32 v11, v1, v11
	v_mul_f32_e32 v12, v6, v11
	s_delay_alu instid0(VALU_DEP_1) | instskip(NEXT) | instid1(VALU_DEP_1)
	v_fma_f32 v1, -v5, v12, v6
	v_fmac_f32_e32 v12, v1, v11
	v_cndmask_b32_e64 v1, 1, s5, s0
	s_mov_b32 s0, s4
	s_delay_alu instid0(VALU_DEP_2) | instskip(SKIP_1) | instid1(VALU_DEP_2)
	v_fma_f32 v13, -v5, v12, v6
	v_lshlrev_b64 v[5:6], 3, v[3:4]
	v_div_fmas_f32 v11, v13, v11, v12
	v_add_co_u32 v3, vcc_lo, s12, v7
	v_add_co_ci_u32_e32 v4, vcc_lo, s13, v8, vcc_lo
	s_delay_alu instid0(VALU_DEP_3) | instskip(SKIP_3) | instid1(VALU_DEP_3)
	v_div_fixup_f32 v11, v11, v10, 1.0
	s_waitcnt lgkmcnt(0)
	v_add_co_u32 v5, vcc_lo, s8, v5
	v_add_co_ci_u32_e32 v6, vcc_lo, s9, v6, vcc_lo
	v_dual_mul_f32 v10, v10, v11 :: v_dual_mov_b32 v11, v0
	v_add_co_u32 v7, vcc_lo, s10, v7
	v_add_co_ci_u32_e32 v8, vcc_lo, s11, v8, vcc_lo
	s_delay_alu instid0(VALU_DEP_3)
	v_cmp_class_f32_e64 vcc_lo, v10, 0x1f8
	v_cndmask_b32_e32 v10, 0, v10, vcc_lo
	.p2align	6
.LBB168_6:                              ; =>This Inner Loop Header: Depth=1
	global_store_b32 v[3:4], v10, off
	global_store_b64 v[5:6], v[1:2], off
	global_store_b32 v[7:8], v11, off
	v_add_co_u32 v3, vcc_lo, v3, 4
	v_add_co_ci_u32_e32 v4, vcc_lo, 0, v4, vcc_lo
	v_dual_add_f32 v12, v9, v10 :: v_dual_add_nc_u32 v11, s3, v11
	v_add_co_u32 v5, vcc_lo, v5, 8
	v_add_co_ci_u32_e32 v6, vcc_lo, 0, v6, vcc_lo
	v_add_co_u32 v7, vcc_lo, v7, 4
	s_delay_alu instid0(VALU_DEP_4) | instskip(SKIP_2) | instid1(SALU_CYCLE_1)
	v_cndmask_b32_e64 v9, v9, v12, s2
	v_add_co_ci_u32_e32 v8, vcc_lo, 0, v8, vcc_lo
	s_add_i32 s0, s0, -1
	s_cmp_lg_u32 s0, 0
	s_cbranch_scc1 .LBB168_6
; %bb.7:
	s_and_not1_b32 vcc_lo, exec_lo, s2
	s_cbranch_vccz .LBB168_9
	s_branch .LBB168_12
.LBB168_8:
	v_mov_b32_e32 v9, 0
	s_and_not1_b32 vcc_lo, exec_lo, s2
	s_cbranch_vccnz .LBB168_12
.LBB168_9:
	s_and_not1_b32 vcc_lo, exec_lo, s7
	s_cbranch_vccnz .LBB168_12
; %bb.10:
	v_mul_lo_u32 v0, v0, s4
	v_cmp_lt_f32_e32 vcc_lo, 0, v9
	v_cndmask_b32_e32 v2, 1.0, v9, vcc_lo
	s_delay_alu instid0(VALU_DEP_3) | instskip(NEXT) | instid1(VALU_DEP_1)
	v_ashrrev_i32_e32 v1, 31, v0
	v_lshlrev_b64 v[0:1], 2, v[0:1]
	s_delay_alu instid0(VALU_DEP_1) | instskip(NEXT) | instid1(VALU_DEP_2)
	v_add_co_u32 v0, vcc_lo, s12, v0
	v_add_co_ci_u32_e32 v1, vcc_lo, s13, v1, vcc_lo
	.p2align	6
.LBB168_11:                             ; =>This Inner Loop Header: Depth=1
	global_load_b32 v3, v[0:1], off
	s_add_i32 s4, s4, -1
	s_delay_alu instid0(SALU_CYCLE_1) | instskip(SKIP_3) | instid1(VALU_DEP_2)
	s_cmp_lg_u32 s4, 0
	s_waitcnt vmcnt(0)
	v_div_scale_f32 v4, null, v2, v2, v3
	v_div_scale_f32 v7, vcc_lo, v3, v2, v3
	v_rcp_f32_e32 v5, v4
	s_waitcnt_depctr 0xfff
	v_fma_f32 v6, -v4, v5, 1.0
	s_delay_alu instid0(VALU_DEP_1) | instskip(NEXT) | instid1(VALU_DEP_1)
	v_fmac_f32_e32 v5, v6, v5
	v_mul_f32_e32 v6, v7, v5
	s_delay_alu instid0(VALU_DEP_1) | instskip(NEXT) | instid1(VALU_DEP_1)
	v_fma_f32 v8, -v4, v6, v7
	v_fmac_f32_e32 v6, v8, v5
	s_delay_alu instid0(VALU_DEP_1) | instskip(NEXT) | instid1(VALU_DEP_1)
	v_fma_f32 v4, -v4, v6, v7
	v_div_fmas_f32 v4, v4, v5, v6
	s_delay_alu instid0(VALU_DEP_1)
	v_div_fixup_f32 v3, v4, v2, v3
	global_store_b32 v[0:1], v3, off
	v_add_co_u32 v0, vcc_lo, v0, 4
	v_add_co_ci_u32_e32 v1, vcc_lo, 0, v1, vcc_lo
	s_cbranch_scc1 .LBB168_11
.LBB168_12:
	s_nop 0
	s_sendmsg sendmsg(MSG_DEALLOC_VGPRS)
	s_endpgm
	.section	.rodata,"a",@progbits
	.p2align	6, 0x0
	.amdhsa_kernel _ZN4vllm3moe10topkGatingILi1ELi1ELi4ELi2ELi64El14__hip_bfloat16LNS0_11ScoringFuncE0EEEvPKT5_PKbPfiPT4_PiiiibPKf
		.amdhsa_group_segment_fixed_size 0
		.amdhsa_private_segment_fixed_size 0
		.amdhsa_kernarg_size 72
		.amdhsa_user_sgpr_count 15
		.amdhsa_user_sgpr_dispatch_ptr 0
		.amdhsa_user_sgpr_queue_ptr 0
		.amdhsa_user_sgpr_kernarg_segment_ptr 1
		.amdhsa_user_sgpr_dispatch_id 0
		.amdhsa_user_sgpr_private_segment_size 0
		.amdhsa_wavefront_size32 1
		.amdhsa_uses_dynamic_stack 0
		.amdhsa_enable_private_segment 0
		.amdhsa_system_sgpr_workgroup_id_x 1
		.amdhsa_system_sgpr_workgroup_id_y 0
		.amdhsa_system_sgpr_workgroup_id_z 0
		.amdhsa_system_sgpr_workgroup_info 0
		.amdhsa_system_vgpr_workitem_id 1
		.amdhsa_next_free_vgpr 14
		.amdhsa_next_free_sgpr 16
		.amdhsa_reserve_vcc 1
		.amdhsa_float_round_mode_32 0
		.amdhsa_float_round_mode_16_64 0
		.amdhsa_float_denorm_mode_32 3
		.amdhsa_float_denorm_mode_16_64 3
		.amdhsa_dx10_clamp 1
		.amdhsa_ieee_mode 1
		.amdhsa_fp16_overflow 0
		.amdhsa_workgroup_processor_mode 1
		.amdhsa_memory_ordered 1
		.amdhsa_forward_progress 0
		.amdhsa_shared_vgpr_count 0
		.amdhsa_exception_fp_ieee_invalid_op 0
		.amdhsa_exception_fp_denorm_src 0
		.amdhsa_exception_fp_ieee_div_zero 0
		.amdhsa_exception_fp_ieee_overflow 0
		.amdhsa_exception_fp_ieee_underflow 0
		.amdhsa_exception_fp_ieee_inexact 0
		.amdhsa_exception_int_div_zero 0
	.end_amdhsa_kernel
	.section	.text._ZN4vllm3moe10topkGatingILi1ELi1ELi4ELi2ELi64El14__hip_bfloat16LNS0_11ScoringFuncE0EEEvPKT5_PKbPfiPT4_PiiiibPKf,"axG",@progbits,_ZN4vllm3moe10topkGatingILi1ELi1ELi4ELi2ELi64El14__hip_bfloat16LNS0_11ScoringFuncE0EEEvPKT5_PKbPfiPT4_PiiiibPKf,comdat
.Lfunc_end168:
	.size	_ZN4vllm3moe10topkGatingILi1ELi1ELi4ELi2ELi64El14__hip_bfloat16LNS0_11ScoringFuncE0EEEvPKT5_PKbPfiPT4_PiiiibPKf, .Lfunc_end168-_ZN4vllm3moe10topkGatingILi1ELi1ELi4ELi2ELi64El14__hip_bfloat16LNS0_11ScoringFuncE0EEEvPKT5_PKbPfiPT4_PiiiibPKf
                                        ; -- End function
	.section	.AMDGPU.csdata,"",@progbits
; Kernel info:
; codeLenInByte = 924
; NumSgprs: 18
; NumVgprs: 14
; ScratchSize: 0
; MemoryBound: 0
; FloatMode: 240
; IeeeMode: 1
; LDSByteSize: 0 bytes/workgroup (compile time only)
; SGPRBlocks: 2
; VGPRBlocks: 1
; NumSGPRsForWavesPerEU: 18
; NumVGPRsForWavesPerEU: 14
; Occupancy: 16
; WaveLimiterHint : 0
; COMPUTE_PGM_RSRC2:SCRATCH_EN: 0
; COMPUTE_PGM_RSRC2:USER_SGPR: 15
; COMPUTE_PGM_RSRC2:TRAP_HANDLER: 0
; COMPUTE_PGM_RSRC2:TGID_X_EN: 1
; COMPUTE_PGM_RSRC2:TGID_Y_EN: 0
; COMPUTE_PGM_RSRC2:TGID_Z_EN: 0
; COMPUTE_PGM_RSRC2:TIDIG_COMP_CNT: 1
	.section	.text._ZN4vllm3moe10topkGatingILi1ELi1ELi4ELi2ELi32El14__hip_bfloat16LNS0_11ScoringFuncE0EEEvPKT5_PKbPfiPT4_PiiiibPKf,"axG",@progbits,_ZN4vllm3moe10topkGatingILi1ELi1ELi4ELi2ELi32El14__hip_bfloat16LNS0_11ScoringFuncE0EEEvPKT5_PKbPfiPT4_PiiiibPKf,comdat
	.protected	_ZN4vllm3moe10topkGatingILi1ELi1ELi4ELi2ELi32El14__hip_bfloat16LNS0_11ScoringFuncE0EEEvPKT5_PKbPfiPT4_PiiiibPKf ; -- Begin function _ZN4vllm3moe10topkGatingILi1ELi1ELi4ELi2ELi32El14__hip_bfloat16LNS0_11ScoringFuncE0EEEvPKT5_PKbPfiPT4_PiiiibPKf
	.globl	_ZN4vllm3moe10topkGatingILi1ELi1ELi4ELi2ELi32El14__hip_bfloat16LNS0_11ScoringFuncE0EEEvPKT5_PKbPfiPT4_PiiiibPKf
	.p2align	8
	.type	_ZN4vllm3moe10topkGatingILi1ELi1ELi4ELi2ELi32El14__hip_bfloat16LNS0_11ScoringFuncE0EEEvPKT5_PKbPfiPT4_PiiiibPKf,@function
_ZN4vllm3moe10topkGatingILi1ELi1ELi4ELi2ELi32El14__hip_bfloat16LNS0_11ScoringFuncE0EEEvPKT5_PKbPfiPT4_PiiiibPKf: ; @_ZN4vllm3moe10topkGatingILi1ELi1ELi4ELi2ELi32El14__hip_bfloat16LNS0_11ScoringFuncE0EEEvPKT5_PKbPfiPT4_PiiiibPKf
; %bb.0:
	s_load_b32 s3, s[0:1], 0x18
	v_bfe_u32 v1, v0, 10, 10
	v_and_b32_e32 v0, 0x3ff, v0
	s_lshl_b32 s2, s15, 7
	s_delay_alu instid0(VALU_DEP_2) | instskip(NEXT) | instid1(VALU_DEP_1)
	v_lshlrev_b32_e32 v1, 5, v1
	v_add3_u32 v0, v1, v0, s2
	s_mov_b32 s2, exec_lo
	s_waitcnt lgkmcnt(0)
	s_delay_alu instid0(VALU_DEP_1)
	v_cmpx_gt_i32_e64 s3, v0
	s_cbranch_execz .LBB169_12
; %bb.1:
	s_clause 0x1
	s_load_b128 s[8:11], s[0:1], 0x0
	s_load_b64 s[12:13], s[0:1], 0x10
	v_ashrrev_i32_e32 v1, 31, v0
	s_waitcnt lgkmcnt(0)
	s_cmp_eq_u64 s[10:11], 0
	s_cbranch_scc1 .LBB169_3
; %bb.2:
	v_add_co_u32 v2, vcc_lo, s10, v0
	v_add_co_ci_u32_e32 v3, vcc_lo, s11, v1, vcc_lo
	global_load_u8 v2, v[2:3], off
	s_waitcnt vmcnt(0)
	v_and_b32_e32 v2, 1, v2
	s_delay_alu instid0(VALU_DEP_1) | instskip(SKIP_1) | instid1(SALU_CYCLE_1)
	v_cmp_eq_u32_e32 vcc_lo, 1, v2
	s_xor_b32 s2, vcc_lo, -1
	s_or_not1_b32 s14, s2, exec_lo
	s_branch .LBB169_4
.LBB169_3:
	s_mov_b32 s14, -1
.LBB169_4:
	s_load_b128 s[4:7], s[0:1], 0x30
	s_waitcnt lgkmcnt(0)
	s_bitcmp1_b32 s7, 0
	s_cselect_b32 s2, -1, 0
	s_cmp_gt_i32 s4, 0
	s_cselect_b32 s7, -1, 0
	s_cmp_lt_i32 s4, 1
	s_cbranch_scc1 .LBB169_8
; %bb.5:
	v_lshlrev_b64 v[1:2], 1, v[0:1]
	s_cmp_lt_i32 s5, 1
	v_mov_b32_e32 v9, 0
	s_delay_alu instid0(VALU_DEP_2) | instskip(NEXT) | instid1(VALU_DEP_3)
	v_add_co_u32 v1, vcc_lo, s8, v1
	v_add_co_ci_u32_e32 v2, vcc_lo, s9, v2, vcc_lo
	s_load_b128 s[8:11], s[0:1], 0x20
	s_cselect_b32 s0, -1, 0
	s_cmp_gt_i32 s6, 0
	global_load_u16 v1, v[1:2], off
	s_cselect_b32 s1, -1, 0
	s_sub_i32 s5, 0, s5
	s_and_b32 s0, s0, s1
	s_ashr_i32 s1, s5, 31
	s_and_b32 s0, s14, s0
	s_waitcnt vmcnt(0)
	v_lshlrev_b32_e32 v1, 16, v1
	s_delay_alu instid0(VALU_DEP_1) | instskip(NEXT) | instid1(VALU_DEP_1)
	v_sub_f32_e32 v1, v1, v1
	v_mul_f32_e32 v2, 0x3fb8aa3b, v1
	s_delay_alu instid0(VALU_DEP_1) | instskip(SKIP_1) | instid1(VALU_DEP_1)
	v_fma_f32 v3, 0x3fb8aa3b, v1, -v2
	v_rndne_f32_e32 v4, v2
	v_dual_fmamk_f32 v3, v1, 0x32a5705f, v3 :: v_dual_sub_f32 v2, v2, v4
	s_delay_alu instid0(VALU_DEP_1) | instskip(SKIP_2) | instid1(VALU_DEP_3)
	v_add_f32_e32 v2, v2, v3
	v_cvt_i32_f32_e32 v3, v4
	v_cmp_ngt_f32_e32 vcc_lo, 0xc2ce8ed0, v1
	v_exp_f32_e32 v2, v2
	s_waitcnt_depctr 0xfff
	v_ldexp_f32 v2, v2, v3
	v_mul_lo_u32 v3, v0, s4
	s_delay_alu instid0(VALU_DEP_2) | instskip(SKIP_1) | instid1(VALU_DEP_3)
	v_cndmask_b32_e32 v2, 0, v2, vcc_lo
	v_cmp_nlt_f32_e32 vcc_lo, 0x42b17218, v1
	v_ashrrev_i32_e32 v4, 31, v3
	s_delay_alu instid0(VALU_DEP_3) | instskip(SKIP_1) | instid1(VALU_DEP_3)
	v_cndmask_b32_e32 v10, 0x7f800000, v2, vcc_lo
	v_cndmask_b32_e64 v2, 0, s1, s0
	v_lshlrev_b64 v[7:8], 2, v[3:4]
	s_delay_alu instid0(VALU_DEP_3) | instskip(SKIP_1) | instid1(VALU_DEP_2)
	v_div_scale_f32 v5, null, v10, v10, 1.0
	v_div_scale_f32 v6, vcc_lo, 1.0, v10, 1.0
	v_rcp_f32_e32 v11, v5
	s_waitcnt_depctr 0xfff
	v_fma_f32 v1, -v5, v11, 1.0
	s_delay_alu instid0(VALU_DEP_1) | instskip(NEXT) | instid1(VALU_DEP_1)
	v_fmac_f32_e32 v11, v1, v11
	v_mul_f32_e32 v12, v6, v11
	s_delay_alu instid0(VALU_DEP_1) | instskip(NEXT) | instid1(VALU_DEP_1)
	v_fma_f32 v1, -v5, v12, v6
	v_fmac_f32_e32 v12, v1, v11
	v_cndmask_b32_e64 v1, 1, s5, s0
	s_mov_b32 s0, s4
	s_delay_alu instid0(VALU_DEP_2) | instskip(SKIP_1) | instid1(VALU_DEP_2)
	v_fma_f32 v13, -v5, v12, v6
	v_lshlrev_b64 v[5:6], 3, v[3:4]
	v_div_fmas_f32 v11, v13, v11, v12
	v_add_co_u32 v3, vcc_lo, s12, v7
	v_add_co_ci_u32_e32 v4, vcc_lo, s13, v8, vcc_lo
	s_delay_alu instid0(VALU_DEP_3) | instskip(SKIP_3) | instid1(VALU_DEP_3)
	v_div_fixup_f32 v11, v11, v10, 1.0
	s_waitcnt lgkmcnt(0)
	v_add_co_u32 v5, vcc_lo, s8, v5
	v_add_co_ci_u32_e32 v6, vcc_lo, s9, v6, vcc_lo
	v_dual_mul_f32 v10, v10, v11 :: v_dual_mov_b32 v11, v0
	v_add_co_u32 v7, vcc_lo, s10, v7
	v_add_co_ci_u32_e32 v8, vcc_lo, s11, v8, vcc_lo
	s_delay_alu instid0(VALU_DEP_3)
	v_cmp_class_f32_e64 vcc_lo, v10, 0x1f8
	v_cndmask_b32_e32 v10, 0, v10, vcc_lo
	.p2align	6
.LBB169_6:                              ; =>This Inner Loop Header: Depth=1
	global_store_b32 v[3:4], v10, off
	global_store_b64 v[5:6], v[1:2], off
	global_store_b32 v[7:8], v11, off
	v_add_co_u32 v3, vcc_lo, v3, 4
	v_add_co_ci_u32_e32 v4, vcc_lo, 0, v4, vcc_lo
	v_dual_add_f32 v12, v9, v10 :: v_dual_add_nc_u32 v11, s3, v11
	v_add_co_u32 v5, vcc_lo, v5, 8
	v_add_co_ci_u32_e32 v6, vcc_lo, 0, v6, vcc_lo
	v_add_co_u32 v7, vcc_lo, v7, 4
	s_delay_alu instid0(VALU_DEP_4) | instskip(SKIP_2) | instid1(SALU_CYCLE_1)
	v_cndmask_b32_e64 v9, v9, v12, s2
	v_add_co_ci_u32_e32 v8, vcc_lo, 0, v8, vcc_lo
	s_add_i32 s0, s0, -1
	s_cmp_lg_u32 s0, 0
	s_cbranch_scc1 .LBB169_6
; %bb.7:
	s_and_not1_b32 vcc_lo, exec_lo, s2
	s_cbranch_vccz .LBB169_9
	s_branch .LBB169_12
.LBB169_8:
	v_mov_b32_e32 v9, 0
	s_and_not1_b32 vcc_lo, exec_lo, s2
	s_cbranch_vccnz .LBB169_12
.LBB169_9:
	s_and_not1_b32 vcc_lo, exec_lo, s7
	s_cbranch_vccnz .LBB169_12
; %bb.10:
	v_mul_lo_u32 v0, v0, s4
	v_cmp_lt_f32_e32 vcc_lo, 0, v9
	v_cndmask_b32_e32 v2, 1.0, v9, vcc_lo
	s_delay_alu instid0(VALU_DEP_3) | instskip(NEXT) | instid1(VALU_DEP_1)
	v_ashrrev_i32_e32 v1, 31, v0
	v_lshlrev_b64 v[0:1], 2, v[0:1]
	s_delay_alu instid0(VALU_DEP_1) | instskip(NEXT) | instid1(VALU_DEP_2)
	v_add_co_u32 v0, vcc_lo, s12, v0
	v_add_co_ci_u32_e32 v1, vcc_lo, s13, v1, vcc_lo
	.p2align	6
.LBB169_11:                             ; =>This Inner Loop Header: Depth=1
	global_load_b32 v3, v[0:1], off
	s_add_i32 s4, s4, -1
	s_delay_alu instid0(SALU_CYCLE_1) | instskip(SKIP_3) | instid1(VALU_DEP_2)
	s_cmp_lg_u32 s4, 0
	s_waitcnt vmcnt(0)
	v_div_scale_f32 v4, null, v2, v2, v3
	v_div_scale_f32 v7, vcc_lo, v3, v2, v3
	v_rcp_f32_e32 v5, v4
	s_waitcnt_depctr 0xfff
	v_fma_f32 v6, -v4, v5, 1.0
	s_delay_alu instid0(VALU_DEP_1) | instskip(NEXT) | instid1(VALU_DEP_1)
	v_fmac_f32_e32 v5, v6, v5
	v_mul_f32_e32 v6, v7, v5
	s_delay_alu instid0(VALU_DEP_1) | instskip(NEXT) | instid1(VALU_DEP_1)
	v_fma_f32 v8, -v4, v6, v7
	v_fmac_f32_e32 v6, v8, v5
	s_delay_alu instid0(VALU_DEP_1) | instskip(NEXT) | instid1(VALU_DEP_1)
	v_fma_f32 v4, -v4, v6, v7
	v_div_fmas_f32 v4, v4, v5, v6
	s_delay_alu instid0(VALU_DEP_1)
	v_div_fixup_f32 v3, v4, v2, v3
	global_store_b32 v[0:1], v3, off
	v_add_co_u32 v0, vcc_lo, v0, 4
	v_add_co_ci_u32_e32 v1, vcc_lo, 0, v1, vcc_lo
	s_cbranch_scc1 .LBB169_11
.LBB169_12:
	s_nop 0
	s_sendmsg sendmsg(MSG_DEALLOC_VGPRS)
	s_endpgm
	.section	.rodata,"a",@progbits
	.p2align	6, 0x0
	.amdhsa_kernel _ZN4vllm3moe10topkGatingILi1ELi1ELi4ELi2ELi32El14__hip_bfloat16LNS0_11ScoringFuncE0EEEvPKT5_PKbPfiPT4_PiiiibPKf
		.amdhsa_group_segment_fixed_size 0
		.amdhsa_private_segment_fixed_size 0
		.amdhsa_kernarg_size 72
		.amdhsa_user_sgpr_count 15
		.amdhsa_user_sgpr_dispatch_ptr 0
		.amdhsa_user_sgpr_queue_ptr 0
		.amdhsa_user_sgpr_kernarg_segment_ptr 1
		.amdhsa_user_sgpr_dispatch_id 0
		.amdhsa_user_sgpr_private_segment_size 0
		.amdhsa_wavefront_size32 1
		.amdhsa_uses_dynamic_stack 0
		.amdhsa_enable_private_segment 0
		.amdhsa_system_sgpr_workgroup_id_x 1
		.amdhsa_system_sgpr_workgroup_id_y 0
		.amdhsa_system_sgpr_workgroup_id_z 0
		.amdhsa_system_sgpr_workgroup_info 0
		.amdhsa_system_vgpr_workitem_id 1
		.amdhsa_next_free_vgpr 14
		.amdhsa_next_free_sgpr 16
		.amdhsa_reserve_vcc 1
		.amdhsa_float_round_mode_32 0
		.amdhsa_float_round_mode_16_64 0
		.amdhsa_float_denorm_mode_32 3
		.amdhsa_float_denorm_mode_16_64 3
		.amdhsa_dx10_clamp 1
		.amdhsa_ieee_mode 1
		.amdhsa_fp16_overflow 0
		.amdhsa_workgroup_processor_mode 1
		.amdhsa_memory_ordered 1
		.amdhsa_forward_progress 0
		.amdhsa_shared_vgpr_count 0
		.amdhsa_exception_fp_ieee_invalid_op 0
		.amdhsa_exception_fp_denorm_src 0
		.amdhsa_exception_fp_ieee_div_zero 0
		.amdhsa_exception_fp_ieee_overflow 0
		.amdhsa_exception_fp_ieee_underflow 0
		.amdhsa_exception_fp_ieee_inexact 0
		.amdhsa_exception_int_div_zero 0
	.end_amdhsa_kernel
	.section	.text._ZN4vllm3moe10topkGatingILi1ELi1ELi4ELi2ELi32El14__hip_bfloat16LNS0_11ScoringFuncE0EEEvPKT5_PKbPfiPT4_PiiiibPKf,"axG",@progbits,_ZN4vllm3moe10topkGatingILi1ELi1ELi4ELi2ELi32El14__hip_bfloat16LNS0_11ScoringFuncE0EEEvPKT5_PKbPfiPT4_PiiiibPKf,comdat
.Lfunc_end169:
	.size	_ZN4vllm3moe10topkGatingILi1ELi1ELi4ELi2ELi32El14__hip_bfloat16LNS0_11ScoringFuncE0EEEvPKT5_PKbPfiPT4_PiiiibPKf, .Lfunc_end169-_ZN4vllm3moe10topkGatingILi1ELi1ELi4ELi2ELi32El14__hip_bfloat16LNS0_11ScoringFuncE0EEEvPKT5_PKbPfiPT4_PiiiibPKf
                                        ; -- End function
	.section	.AMDGPU.csdata,"",@progbits
; Kernel info:
; codeLenInByte = 924
; NumSgprs: 18
; NumVgprs: 14
; ScratchSize: 0
; MemoryBound: 0
; FloatMode: 240
; IeeeMode: 1
; LDSByteSize: 0 bytes/workgroup (compile time only)
; SGPRBlocks: 2
; VGPRBlocks: 1
; NumSGPRsForWavesPerEU: 18
; NumVGPRsForWavesPerEU: 14
; Occupancy: 16
; WaveLimiterHint : 0
; COMPUTE_PGM_RSRC2:SCRATCH_EN: 0
; COMPUTE_PGM_RSRC2:USER_SGPR: 15
; COMPUTE_PGM_RSRC2:TRAP_HANDLER: 0
; COMPUTE_PGM_RSRC2:TGID_X_EN: 1
; COMPUTE_PGM_RSRC2:TGID_Y_EN: 0
; COMPUTE_PGM_RSRC2:TGID_Z_EN: 0
; COMPUTE_PGM_RSRC2:TIDIG_COMP_CNT: 1
	.section	.text._ZN4vllm3moe10topkGatingILi2ELi2ELi4ELi4ELi64El14__hip_bfloat16LNS0_11ScoringFuncE0EEEvPKT5_PKbPfiPT4_PiiiibPKf,"axG",@progbits,_ZN4vllm3moe10topkGatingILi2ELi2ELi4ELi4ELi64El14__hip_bfloat16LNS0_11ScoringFuncE0EEEvPKT5_PKbPfiPT4_PiiiibPKf,comdat
	.protected	_ZN4vllm3moe10topkGatingILi2ELi2ELi4ELi4ELi64El14__hip_bfloat16LNS0_11ScoringFuncE0EEEvPKT5_PKbPfiPT4_PiiiibPKf ; -- Begin function _ZN4vllm3moe10topkGatingILi2ELi2ELi4ELi4ELi64El14__hip_bfloat16LNS0_11ScoringFuncE0EEEvPKT5_PKbPfiPT4_PiiiibPKf
	.globl	_ZN4vllm3moe10topkGatingILi2ELi2ELi4ELi4ELi64El14__hip_bfloat16LNS0_11ScoringFuncE0EEEvPKT5_PKbPfiPT4_PiiiibPKf
	.p2align	8
	.type	_ZN4vllm3moe10topkGatingILi2ELi2ELi4ELi4ELi64El14__hip_bfloat16LNS0_11ScoringFuncE0EEEvPKT5_PKbPfiPT4_PiiiibPKf,@function
_ZN4vllm3moe10topkGatingILi2ELi2ELi4ELi4ELi64El14__hip_bfloat16LNS0_11ScoringFuncE0EEEvPKT5_PKbPfiPT4_PiiiibPKf: ; @_ZN4vllm3moe10topkGatingILi2ELi2ELi4ELi4ELi64El14__hip_bfloat16LNS0_11ScoringFuncE0EEEvPKT5_PKbPfiPT4_PiiiibPKf
; %bb.0:
	s_load_b32 s8, s[0:1], 0x18
	v_bfe_u32 v1, v0, 10, 10
	v_and_b32_e32 v0, 0x3ff, v0
	s_lshl_b32 s2, s15, 8
	s_delay_alu instid0(VALU_DEP_2) | instskip(NEXT) | instid1(VALU_DEP_1)
	v_lshlrev_b32_e32 v1, 6, v1
	v_add3_u32 v10, v1, v0, s2
	s_mov_b32 s2, exec_lo
	s_waitcnt lgkmcnt(0)
	s_delay_alu instid0(VALU_DEP_1)
	v_cmpx_gt_i32_e64 s8, v10
	s_cbranch_execz .LBB170_14
; %bb.1:
	s_clause 0x1
	s_load_b128 s[4:7], s[0:1], 0x0
	s_load_b64 s[2:3], s[0:1], 0x10
	s_waitcnt lgkmcnt(0)
	s_cmp_eq_u64 s[6:7], 0
	s_cbranch_scc1 .LBB170_3
; %bb.2:
	v_ashrrev_i32_e32 v1, 31, v10
	v_add_co_u32 v0, vcc_lo, s6, v10
	s_delay_alu instid0(VALU_DEP_2) | instskip(SKIP_3) | instid1(VALU_DEP_1)
	v_add_co_ci_u32_e32 v1, vcc_lo, s7, v1, vcc_lo
	global_load_u8 v0, v[0:1], off
	s_waitcnt vmcnt(0)
	v_and_b32_e32 v0, 1, v0
	v_cmp_eq_u32_e32 vcc_lo, 1, v0
	s_xor_b32 s6, vcc_lo, -1
	s_delay_alu instid0(SALU_CYCLE_1)
	s_or_not1_b32 s9, s6, exec_lo
	s_branch .LBB170_4
.LBB170_3:
	s_mov_b32 s9, -1
.LBB170_4:
	v_lshlrev_b32_e32 v0, 1, v10
	s_delay_alu instid0(VALU_DEP_1) | instskip(NEXT) | instid1(VALU_DEP_1)
	v_ashrrev_i32_e32 v1, 31, v0
	v_lshlrev_b64 v[0:1], 1, v[0:1]
	s_delay_alu instid0(VALU_DEP_1) | instskip(NEXT) | instid1(VALU_DEP_2)
	v_add_co_u32 v0, vcc_lo, s4, v0
	v_add_co_ci_u32_e32 v1, vcc_lo, s5, v1, vcc_lo
	s_load_b64 s[4:5], s[0:1], 0x40
	global_load_b32 v0, v[0:1], off
	s_waitcnt lgkmcnt(0)
	s_cmp_eq_u64 s[4:5], 0
	s_waitcnt vmcnt(0)
	v_and_b32_e32 v1, 0xffff0000, v0
	v_lshlrev_b32_e32 v0, 16, v0
	s_delay_alu instid0(VALU_DEP_1) | instskip(NEXT) | instid1(VALU_DEP_1)
	v_dual_max_f32 v2, v1, v1 :: v_dual_max_f32 v3, v0, v0
	v_max_f32_e32 v2, v3, v2
	s_delay_alu instid0(VALU_DEP_1) | instskip(NEXT) | instid1(VALU_DEP_1)
	v_sub_f32_e32 v1, v1, v2
	v_mul_f32_e32 v3, 0x3fb8aa3b, v1
	s_delay_alu instid0(VALU_DEP_1) | instskip(SKIP_2) | instid1(VALU_DEP_2)
	v_fma_f32 v6, 0x3fb8aa3b, v1, -v3
	v_rndne_f32_e32 v7, v3
	v_sub_f32_e32 v0, v0, v2
	v_dual_fmac_f32 v6, 0x32a5705f, v1 :: v_dual_sub_f32 v3, v3, v7
	s_delay_alu instid0(VALU_DEP_2) | instskip(SKIP_1) | instid1(VALU_DEP_3)
	v_mul_f32_e32 v2, 0x3fb8aa3b, v0
	v_cmp_ngt_f32_e32 vcc_lo, 0xc2ce8ed0, v0
	v_add_f32_e32 v3, v3, v6
	s_delay_alu instid0(VALU_DEP_3) | instskip(SKIP_1) | instid1(VALU_DEP_3)
	v_fma_f32 v4, 0x3fb8aa3b, v0, -v2
	v_rndne_f32_e32 v5, v2
	v_exp_f32_e32 v3, v3
	s_delay_alu instid0(VALU_DEP_2) | instskip(NEXT) | instid1(VALU_DEP_2)
	v_fmac_f32_e32 v4, 0x32a5705f, v0
	v_sub_f32_e32 v2, v2, v5
	s_delay_alu instid0(VALU_DEP_1) | instskip(SKIP_2) | instid1(VALU_DEP_3)
	v_add_f32_e32 v2, v2, v4
	v_cvt_i32_f32_e32 v4, v5
	v_cvt_i32_f32_e32 v5, v7
	v_exp_f32_e32 v2, v2
	s_delay_alu instid0(TRANS32_DEP_2) | instid1(VALU_DEP_1)
	v_ldexp_f32 v3, v3, v5
	s_waitcnt_depctr 0xfff
	v_ldexp_f32 v2, v2, v4
	s_delay_alu instid0(VALU_DEP_1) | instskip(SKIP_3) | instid1(VALU_DEP_4)
	v_cndmask_b32_e32 v2, 0, v2, vcc_lo
	v_cmp_ngt_f32_e32 vcc_lo, 0xc2ce8ed0, v1
	v_cndmask_b32_e32 v3, 0, v3, vcc_lo
	v_cmp_nlt_f32_e32 vcc_lo, 0x42b17218, v0
	v_cndmask_b32_e32 v0, 0x7f800000, v2, vcc_lo
	v_cmp_nlt_f32_e32 vcc_lo, 0x42b17218, v1
	s_delay_alu instid0(VALU_DEP_4) | instskip(NEXT) | instid1(VALU_DEP_1)
	v_cndmask_b32_e32 v1, 0x7f800000, v3, vcc_lo
	v_add_f32_e32 v2, v0, v1
	s_delay_alu instid0(VALU_DEP_1) | instskip(SKIP_1) | instid1(VALU_DEP_2)
	v_div_scale_f32 v3, null, v2, v2, 1.0
	v_div_scale_f32 v6, vcc_lo, 1.0, v2, 1.0
	v_rcp_f32_e32 v4, v3
	s_waitcnt_depctr 0xfff
	v_fma_f32 v5, -v3, v4, 1.0
	s_delay_alu instid0(VALU_DEP_1) | instskip(NEXT) | instid1(VALU_DEP_1)
	v_fmac_f32_e32 v4, v5, v4
	v_mul_f32_e32 v5, v6, v4
	s_delay_alu instid0(VALU_DEP_1) | instskip(NEXT) | instid1(VALU_DEP_1)
	v_fma_f32 v7, -v3, v5, v6
	v_fmac_f32_e32 v5, v7, v4
	s_delay_alu instid0(VALU_DEP_1) | instskip(NEXT) | instid1(VALU_DEP_1)
	v_fma_f32 v3, -v3, v5, v6
	v_div_fmas_f32 v3, v3, v4, v5
	s_delay_alu instid0(VALU_DEP_1) | instskip(NEXT) | instid1(VALU_DEP_1)
	v_div_fixup_f32 v2, v3, v2, 1.0
	v_mul_f32_e32 v1, v2, v1
	v_mul_f32_e32 v0, v2, v0
	s_delay_alu instid0(VALU_DEP_1) | instskip(SKIP_1) | instid1(VALU_DEP_4)
	v_cmp_class_f32_e64 vcc_lo, v0, 0x1f8
	v_cndmask_b32_e32 v0, 0, v0, vcc_lo
	v_cmp_class_f32_e64 vcc_lo, v1, 0x1f8
	v_cndmask_b32_e32 v1, 0, v1, vcc_lo
	s_delay_alu instid0(VALU_DEP_1)
	v_dual_mov_b32 v3, v1 :: v_dual_mov_b32 v2, v0
	s_cbranch_scc1 .LBB170_6
; %bb.5:
	s_load_b64 s[4:5], s[4:5], 0x0
	s_waitcnt lgkmcnt(0)
	v_dual_add_f32 v2, s4, v0 :: v_dual_add_f32 v3, s5, v1
.LBB170_6:
	s_load_b128 s[4:7], s[0:1], 0x30
	s_waitcnt lgkmcnt(0)
	s_bitcmp1_b32 s7, 0
	s_cselect_b32 vcc_lo, -1, 0
	s_cmp_gt_i32 s4, 0
	s_cselect_b32 s7, -1, 0
	s_cmp_lt_i32 s4, 1
	s_cbranch_scc1 .LBB170_10
; %bb.7:
	v_mul_lo_u32 v4, v10, s4
	s_load_b128 s[12:15], s[0:1], 0x20
	v_dual_mov_b32 v11, 0 :: v_dual_mov_b32 v12, v10
	s_mov_b32 s10, 0
	s_delay_alu instid0(VALU_DEP_2) | instskip(NEXT) | instid1(VALU_DEP_1)
	v_ashrrev_i32_e32 v5, 31, v4
	v_lshlrev_b64 v[8:9], 2, v[4:5]
	v_lshlrev_b64 v[6:7], 3, v[4:5]
	s_delay_alu instid0(VALU_DEP_2) | instskip(NEXT) | instid1(VALU_DEP_1)
	v_add_co_u32 v4, s0, s2, v8
	v_add_co_ci_u32_e64 v5, s0, s3, v9, s0
	s_waitcnt lgkmcnt(0)
	s_delay_alu instid0(VALU_DEP_3) | instskip(NEXT) | instid1(VALU_DEP_1)
	v_add_co_u32 v6, s0, s12, v6
	v_add_co_ci_u32_e64 v7, s0, s13, v7, s0
	v_add_co_u32 v8, s0, s14, v8
	s_delay_alu instid0(VALU_DEP_1)
	v_add_co_ci_u32_e64 v9, s0, s15, v9, s0
.LBB170_8:                              ; =>This Inner Loop Header: Depth=1
	v_cmp_gt_f32_e64 s0, v3, v2
	global_store_b32 v[8:9], v12, off
	v_add_co_u32 v8, s1, v8, 4
	s_delay_alu instid0(VALU_DEP_1)
	v_add_co_ci_u32_e64 v9, s1, 0, v9, s1
	v_cndmask_b32_e64 v13, v0, v1, s0
	v_cndmask_b32_e64 v14, 0, 1, s0
	;; [unrolled: 1-line block ×4, first 2 shown]
	v_add_nc_u32_e32 v12, s8, v12
	global_store_b32 v[4:5], v13, off
	v_add_f32_e32 v13, v11, v13
	v_add_co_u32 v4, s0, v4, 4
	s_delay_alu instid0(VALU_DEP_1)
	v_add_co_ci_u32_e64 v5, s0, 0, v5, s0
	v_subrev_nc_u32_e32 v17, s5, v14
	v_cmp_le_i32_e64 s0, s5, v14
	v_cmp_gt_i32_e64 s1, s6, v14
	v_cndmask_b32_e32 v11, v11, v13, vcc_lo
	s_add_i32 s10, s10, 1
	v_ashrrev_i32_e32 v13, 31, v17
	s_delay_alu instid0(VALU_DEP_3) | instskip(NEXT) | instid1(SALU_CYCLE_1)
	s_and_b32 s0, s0, s1
	s_and_b32 s0, s9, s0
	s_cmp_lt_i32 s10, s4
	s_delay_alu instid0(VALU_DEP_1)
	v_cndmask_b32_e64 v14, 0, v13, s0
	v_cndmask_b32_e64 v13, 2, v17, s0
	s_cselect_b32 s0, -1, 0
	s_cmp_eq_u32 s4, s10
	v_cndmask_b32_e64 v3, v3, v16, s0
	v_cndmask_b32_e64 v2, v2, v15, s0
	global_store_b64 v[6:7], v[13:14], off
	v_add_co_u32 v6, s0, v6, 8
	s_delay_alu instid0(VALU_DEP_1)
	v_add_co_ci_u32_e64 v7, s0, 0, v7, s0
	s_cbranch_scc0 .LBB170_8
; %bb.9:
	s_and_b32 vcc_lo, exec_lo, vcc_lo
	s_cbranch_vccnz .LBB170_11
	s_branch .LBB170_14
.LBB170_10:
	v_mov_b32_e32 v11, 0
	s_and_b32 vcc_lo, exec_lo, vcc_lo
	s_cbranch_vccz .LBB170_14
.LBB170_11:
	s_and_not1_b32 vcc_lo, exec_lo, s7
	s_cbranch_vccnz .LBB170_14
; %bb.12:
	v_mul_lo_u32 v0, v10, s4
	v_cmp_lt_f32_e32 vcc_lo, 0, v11
	v_cndmask_b32_e32 v2, 1.0, v11, vcc_lo
	s_delay_alu instid0(VALU_DEP_3) | instskip(NEXT) | instid1(VALU_DEP_1)
	v_ashrrev_i32_e32 v1, 31, v0
	v_lshlrev_b64 v[0:1], 2, v[0:1]
	s_delay_alu instid0(VALU_DEP_1) | instskip(NEXT) | instid1(VALU_DEP_2)
	v_add_co_u32 v0, vcc_lo, s2, v0
	v_add_co_ci_u32_e32 v1, vcc_lo, s3, v1, vcc_lo
	.p2align	6
.LBB170_13:                             ; =>This Inner Loop Header: Depth=1
	global_load_b32 v3, v[0:1], off
	s_add_i32 s4, s4, -1
	s_delay_alu instid0(SALU_CYCLE_1) | instskip(SKIP_3) | instid1(VALU_DEP_2)
	s_cmp_lg_u32 s4, 0
	s_waitcnt vmcnt(0)
	v_div_scale_f32 v4, null, v2, v2, v3
	v_div_scale_f32 v7, vcc_lo, v3, v2, v3
	v_rcp_f32_e32 v5, v4
	s_waitcnt_depctr 0xfff
	v_fma_f32 v6, -v4, v5, 1.0
	s_delay_alu instid0(VALU_DEP_1) | instskip(NEXT) | instid1(VALU_DEP_1)
	v_fmac_f32_e32 v5, v6, v5
	v_mul_f32_e32 v6, v7, v5
	s_delay_alu instid0(VALU_DEP_1) | instskip(NEXT) | instid1(VALU_DEP_1)
	v_fma_f32 v8, -v4, v6, v7
	v_fmac_f32_e32 v6, v8, v5
	s_delay_alu instid0(VALU_DEP_1) | instskip(NEXT) | instid1(VALU_DEP_1)
	v_fma_f32 v4, -v4, v6, v7
	v_div_fmas_f32 v4, v4, v5, v6
	s_delay_alu instid0(VALU_DEP_1)
	v_div_fixup_f32 v3, v4, v2, v3
	global_store_b32 v[0:1], v3, off
	v_add_co_u32 v0, vcc_lo, v0, 4
	v_add_co_ci_u32_e32 v1, vcc_lo, 0, v1, vcc_lo
	s_cbranch_scc1 .LBB170_13
.LBB170_14:
	s_nop 0
	s_sendmsg sendmsg(MSG_DEALLOC_VGPRS)
	s_endpgm
	.section	.rodata,"a",@progbits
	.p2align	6, 0x0
	.amdhsa_kernel _ZN4vllm3moe10topkGatingILi2ELi2ELi4ELi4ELi64El14__hip_bfloat16LNS0_11ScoringFuncE0EEEvPKT5_PKbPfiPT4_PiiiibPKf
		.amdhsa_group_segment_fixed_size 0
		.amdhsa_private_segment_fixed_size 0
		.amdhsa_kernarg_size 72
		.amdhsa_user_sgpr_count 15
		.amdhsa_user_sgpr_dispatch_ptr 0
		.amdhsa_user_sgpr_queue_ptr 0
		.amdhsa_user_sgpr_kernarg_segment_ptr 1
		.amdhsa_user_sgpr_dispatch_id 0
		.amdhsa_user_sgpr_private_segment_size 0
		.amdhsa_wavefront_size32 1
		.amdhsa_uses_dynamic_stack 0
		.amdhsa_enable_private_segment 0
		.amdhsa_system_sgpr_workgroup_id_x 1
		.amdhsa_system_sgpr_workgroup_id_y 0
		.amdhsa_system_sgpr_workgroup_id_z 0
		.amdhsa_system_sgpr_workgroup_info 0
		.amdhsa_system_vgpr_workitem_id 1
		.amdhsa_next_free_vgpr 18
		.amdhsa_next_free_sgpr 16
		.amdhsa_reserve_vcc 1
		.amdhsa_float_round_mode_32 0
		.amdhsa_float_round_mode_16_64 0
		.amdhsa_float_denorm_mode_32 3
		.amdhsa_float_denorm_mode_16_64 3
		.amdhsa_dx10_clamp 1
		.amdhsa_ieee_mode 1
		.amdhsa_fp16_overflow 0
		.amdhsa_workgroup_processor_mode 1
		.amdhsa_memory_ordered 1
		.amdhsa_forward_progress 0
		.amdhsa_shared_vgpr_count 0
		.amdhsa_exception_fp_ieee_invalid_op 0
		.amdhsa_exception_fp_denorm_src 0
		.amdhsa_exception_fp_ieee_div_zero 0
		.amdhsa_exception_fp_ieee_overflow 0
		.amdhsa_exception_fp_ieee_underflow 0
		.amdhsa_exception_fp_ieee_inexact 0
		.amdhsa_exception_int_div_zero 0
	.end_amdhsa_kernel
	.section	.text._ZN4vllm3moe10topkGatingILi2ELi2ELi4ELi4ELi64El14__hip_bfloat16LNS0_11ScoringFuncE0EEEvPKT5_PKbPfiPT4_PiiiibPKf,"axG",@progbits,_ZN4vllm3moe10topkGatingILi2ELi2ELi4ELi4ELi64El14__hip_bfloat16LNS0_11ScoringFuncE0EEEvPKT5_PKbPfiPT4_PiiiibPKf,comdat
.Lfunc_end170:
	.size	_ZN4vllm3moe10topkGatingILi2ELi2ELi4ELi4ELi64El14__hip_bfloat16LNS0_11ScoringFuncE0EEEvPKT5_PKbPfiPT4_PiiiibPKf, .Lfunc_end170-_ZN4vllm3moe10topkGatingILi2ELi2ELi4ELi4ELi64El14__hip_bfloat16LNS0_11ScoringFuncE0EEEvPKT5_PKbPfiPT4_PiiiibPKf
                                        ; -- End function
	.section	.AMDGPU.csdata,"",@progbits
; Kernel info:
; codeLenInByte = 1268
; NumSgprs: 18
; NumVgprs: 18
; ScratchSize: 0
; MemoryBound: 0
; FloatMode: 240
; IeeeMode: 1
; LDSByteSize: 0 bytes/workgroup (compile time only)
; SGPRBlocks: 2
; VGPRBlocks: 2
; NumSGPRsForWavesPerEU: 18
; NumVGPRsForWavesPerEU: 18
; Occupancy: 16
; WaveLimiterHint : 0
; COMPUTE_PGM_RSRC2:SCRATCH_EN: 0
; COMPUTE_PGM_RSRC2:USER_SGPR: 15
; COMPUTE_PGM_RSRC2:TRAP_HANDLER: 0
; COMPUTE_PGM_RSRC2:TGID_X_EN: 1
; COMPUTE_PGM_RSRC2:TGID_Y_EN: 0
; COMPUTE_PGM_RSRC2:TGID_Z_EN: 0
; COMPUTE_PGM_RSRC2:TIDIG_COMP_CNT: 1
	.section	.text._ZN4vllm3moe10topkGatingILi2ELi2ELi4ELi4ELi32El14__hip_bfloat16LNS0_11ScoringFuncE0EEEvPKT5_PKbPfiPT4_PiiiibPKf,"axG",@progbits,_ZN4vllm3moe10topkGatingILi2ELi2ELi4ELi4ELi32El14__hip_bfloat16LNS0_11ScoringFuncE0EEEvPKT5_PKbPfiPT4_PiiiibPKf,comdat
	.protected	_ZN4vllm3moe10topkGatingILi2ELi2ELi4ELi4ELi32El14__hip_bfloat16LNS0_11ScoringFuncE0EEEvPKT5_PKbPfiPT4_PiiiibPKf ; -- Begin function _ZN4vllm3moe10topkGatingILi2ELi2ELi4ELi4ELi32El14__hip_bfloat16LNS0_11ScoringFuncE0EEEvPKT5_PKbPfiPT4_PiiiibPKf
	.globl	_ZN4vllm3moe10topkGatingILi2ELi2ELi4ELi4ELi32El14__hip_bfloat16LNS0_11ScoringFuncE0EEEvPKT5_PKbPfiPT4_PiiiibPKf
	.p2align	8
	.type	_ZN4vllm3moe10topkGatingILi2ELi2ELi4ELi4ELi32El14__hip_bfloat16LNS0_11ScoringFuncE0EEEvPKT5_PKbPfiPT4_PiiiibPKf,@function
_ZN4vllm3moe10topkGatingILi2ELi2ELi4ELi4ELi32El14__hip_bfloat16LNS0_11ScoringFuncE0EEEvPKT5_PKbPfiPT4_PiiiibPKf: ; @_ZN4vllm3moe10topkGatingILi2ELi2ELi4ELi4ELi32El14__hip_bfloat16LNS0_11ScoringFuncE0EEEvPKT5_PKbPfiPT4_PiiiibPKf
; %bb.0:
	s_load_b32 s8, s[0:1], 0x18
	v_bfe_u32 v1, v0, 10, 10
	v_and_b32_e32 v0, 0x3ff, v0
	s_lshl_b32 s2, s15, 7
	s_delay_alu instid0(VALU_DEP_2) | instskip(NEXT) | instid1(VALU_DEP_1)
	v_lshlrev_b32_e32 v1, 5, v1
	v_add3_u32 v10, v1, v0, s2
	s_mov_b32 s2, exec_lo
	s_waitcnt lgkmcnt(0)
	s_delay_alu instid0(VALU_DEP_1)
	v_cmpx_gt_i32_e64 s8, v10
	s_cbranch_execz .LBB171_14
; %bb.1:
	s_clause 0x1
	s_load_b128 s[4:7], s[0:1], 0x0
	s_load_b64 s[2:3], s[0:1], 0x10
	s_waitcnt lgkmcnt(0)
	s_cmp_eq_u64 s[6:7], 0
	s_cbranch_scc1 .LBB171_3
; %bb.2:
	v_ashrrev_i32_e32 v1, 31, v10
	v_add_co_u32 v0, vcc_lo, s6, v10
	s_delay_alu instid0(VALU_DEP_2) | instskip(SKIP_3) | instid1(VALU_DEP_1)
	v_add_co_ci_u32_e32 v1, vcc_lo, s7, v1, vcc_lo
	global_load_u8 v0, v[0:1], off
	s_waitcnt vmcnt(0)
	v_and_b32_e32 v0, 1, v0
	v_cmp_eq_u32_e32 vcc_lo, 1, v0
	s_xor_b32 s6, vcc_lo, -1
	s_delay_alu instid0(SALU_CYCLE_1)
	s_or_not1_b32 s9, s6, exec_lo
	s_branch .LBB171_4
.LBB171_3:
	s_mov_b32 s9, -1
.LBB171_4:
	v_lshlrev_b32_e32 v0, 1, v10
	s_delay_alu instid0(VALU_DEP_1) | instskip(NEXT) | instid1(VALU_DEP_1)
	v_ashrrev_i32_e32 v1, 31, v0
	v_lshlrev_b64 v[0:1], 1, v[0:1]
	s_delay_alu instid0(VALU_DEP_1) | instskip(NEXT) | instid1(VALU_DEP_2)
	v_add_co_u32 v0, vcc_lo, s4, v0
	v_add_co_ci_u32_e32 v1, vcc_lo, s5, v1, vcc_lo
	s_load_b64 s[4:5], s[0:1], 0x40
	global_load_b32 v0, v[0:1], off
	s_waitcnt lgkmcnt(0)
	s_cmp_eq_u64 s[4:5], 0
	s_waitcnt vmcnt(0)
	v_and_b32_e32 v1, 0xffff0000, v0
	v_lshlrev_b32_e32 v0, 16, v0
	s_delay_alu instid0(VALU_DEP_1) | instskip(NEXT) | instid1(VALU_DEP_1)
	v_dual_max_f32 v2, v1, v1 :: v_dual_max_f32 v3, v0, v0
	v_max_f32_e32 v2, v3, v2
	s_delay_alu instid0(VALU_DEP_1) | instskip(NEXT) | instid1(VALU_DEP_1)
	v_sub_f32_e32 v1, v1, v2
	v_mul_f32_e32 v3, 0x3fb8aa3b, v1
	s_delay_alu instid0(VALU_DEP_1) | instskip(SKIP_2) | instid1(VALU_DEP_2)
	v_fma_f32 v6, 0x3fb8aa3b, v1, -v3
	v_rndne_f32_e32 v7, v3
	v_sub_f32_e32 v0, v0, v2
	v_dual_fmac_f32 v6, 0x32a5705f, v1 :: v_dual_sub_f32 v3, v3, v7
	s_delay_alu instid0(VALU_DEP_2) | instskip(SKIP_1) | instid1(VALU_DEP_3)
	v_mul_f32_e32 v2, 0x3fb8aa3b, v0
	v_cmp_ngt_f32_e32 vcc_lo, 0xc2ce8ed0, v0
	v_add_f32_e32 v3, v3, v6
	s_delay_alu instid0(VALU_DEP_3) | instskip(SKIP_1) | instid1(VALU_DEP_3)
	v_fma_f32 v4, 0x3fb8aa3b, v0, -v2
	v_rndne_f32_e32 v5, v2
	v_exp_f32_e32 v3, v3
	s_delay_alu instid0(VALU_DEP_2) | instskip(NEXT) | instid1(VALU_DEP_2)
	v_fmac_f32_e32 v4, 0x32a5705f, v0
	v_sub_f32_e32 v2, v2, v5
	s_delay_alu instid0(VALU_DEP_1) | instskip(SKIP_2) | instid1(VALU_DEP_3)
	v_add_f32_e32 v2, v2, v4
	v_cvt_i32_f32_e32 v4, v5
	v_cvt_i32_f32_e32 v5, v7
	v_exp_f32_e32 v2, v2
	s_delay_alu instid0(TRANS32_DEP_2) | instid1(VALU_DEP_1)
	v_ldexp_f32 v3, v3, v5
	s_waitcnt_depctr 0xfff
	v_ldexp_f32 v2, v2, v4
	s_delay_alu instid0(VALU_DEP_1) | instskip(SKIP_3) | instid1(VALU_DEP_4)
	v_cndmask_b32_e32 v2, 0, v2, vcc_lo
	v_cmp_ngt_f32_e32 vcc_lo, 0xc2ce8ed0, v1
	v_cndmask_b32_e32 v3, 0, v3, vcc_lo
	v_cmp_nlt_f32_e32 vcc_lo, 0x42b17218, v0
	v_cndmask_b32_e32 v0, 0x7f800000, v2, vcc_lo
	v_cmp_nlt_f32_e32 vcc_lo, 0x42b17218, v1
	s_delay_alu instid0(VALU_DEP_4) | instskip(NEXT) | instid1(VALU_DEP_1)
	v_cndmask_b32_e32 v1, 0x7f800000, v3, vcc_lo
	v_add_f32_e32 v2, v0, v1
	s_delay_alu instid0(VALU_DEP_1) | instskip(SKIP_1) | instid1(VALU_DEP_2)
	v_div_scale_f32 v3, null, v2, v2, 1.0
	v_div_scale_f32 v6, vcc_lo, 1.0, v2, 1.0
	v_rcp_f32_e32 v4, v3
	s_waitcnt_depctr 0xfff
	v_fma_f32 v5, -v3, v4, 1.0
	s_delay_alu instid0(VALU_DEP_1) | instskip(NEXT) | instid1(VALU_DEP_1)
	v_fmac_f32_e32 v4, v5, v4
	v_mul_f32_e32 v5, v6, v4
	s_delay_alu instid0(VALU_DEP_1) | instskip(NEXT) | instid1(VALU_DEP_1)
	v_fma_f32 v7, -v3, v5, v6
	v_fmac_f32_e32 v5, v7, v4
	s_delay_alu instid0(VALU_DEP_1) | instskip(NEXT) | instid1(VALU_DEP_1)
	v_fma_f32 v3, -v3, v5, v6
	v_div_fmas_f32 v3, v3, v4, v5
	s_delay_alu instid0(VALU_DEP_1) | instskip(NEXT) | instid1(VALU_DEP_1)
	v_div_fixup_f32 v2, v3, v2, 1.0
	v_mul_f32_e32 v1, v2, v1
	v_mul_f32_e32 v0, v2, v0
	s_delay_alu instid0(VALU_DEP_1) | instskip(SKIP_1) | instid1(VALU_DEP_4)
	v_cmp_class_f32_e64 vcc_lo, v0, 0x1f8
	v_cndmask_b32_e32 v0, 0, v0, vcc_lo
	v_cmp_class_f32_e64 vcc_lo, v1, 0x1f8
	v_cndmask_b32_e32 v1, 0, v1, vcc_lo
	s_delay_alu instid0(VALU_DEP_1)
	v_dual_mov_b32 v3, v1 :: v_dual_mov_b32 v2, v0
	s_cbranch_scc1 .LBB171_6
; %bb.5:
	s_load_b64 s[4:5], s[4:5], 0x0
	s_waitcnt lgkmcnt(0)
	v_dual_add_f32 v2, s4, v0 :: v_dual_add_f32 v3, s5, v1
.LBB171_6:
	s_load_b128 s[4:7], s[0:1], 0x30
	s_waitcnt lgkmcnt(0)
	s_bitcmp1_b32 s7, 0
	s_cselect_b32 vcc_lo, -1, 0
	s_cmp_gt_i32 s4, 0
	s_cselect_b32 s7, -1, 0
	s_cmp_lt_i32 s4, 1
	s_cbranch_scc1 .LBB171_10
; %bb.7:
	v_mul_lo_u32 v4, v10, s4
	s_load_b128 s[12:15], s[0:1], 0x20
	v_dual_mov_b32 v11, 0 :: v_dual_mov_b32 v12, v10
	s_mov_b32 s10, 0
	s_delay_alu instid0(VALU_DEP_2) | instskip(NEXT) | instid1(VALU_DEP_1)
	v_ashrrev_i32_e32 v5, 31, v4
	v_lshlrev_b64 v[8:9], 2, v[4:5]
	v_lshlrev_b64 v[6:7], 3, v[4:5]
	s_delay_alu instid0(VALU_DEP_2) | instskip(NEXT) | instid1(VALU_DEP_1)
	v_add_co_u32 v4, s0, s2, v8
	v_add_co_ci_u32_e64 v5, s0, s3, v9, s0
	s_waitcnt lgkmcnt(0)
	s_delay_alu instid0(VALU_DEP_3) | instskip(NEXT) | instid1(VALU_DEP_1)
	v_add_co_u32 v6, s0, s12, v6
	v_add_co_ci_u32_e64 v7, s0, s13, v7, s0
	v_add_co_u32 v8, s0, s14, v8
	s_delay_alu instid0(VALU_DEP_1)
	v_add_co_ci_u32_e64 v9, s0, s15, v9, s0
.LBB171_8:                              ; =>This Inner Loop Header: Depth=1
	v_cmp_gt_f32_e64 s0, v3, v2
	global_store_b32 v[8:9], v12, off
	v_add_co_u32 v8, s1, v8, 4
	s_delay_alu instid0(VALU_DEP_1)
	v_add_co_ci_u32_e64 v9, s1, 0, v9, s1
	v_cndmask_b32_e64 v13, v0, v1, s0
	v_cndmask_b32_e64 v14, 0, 1, s0
	;; [unrolled: 1-line block ×4, first 2 shown]
	v_add_nc_u32_e32 v12, s8, v12
	global_store_b32 v[4:5], v13, off
	v_add_f32_e32 v13, v11, v13
	v_add_co_u32 v4, s0, v4, 4
	s_delay_alu instid0(VALU_DEP_1)
	v_add_co_ci_u32_e64 v5, s0, 0, v5, s0
	v_subrev_nc_u32_e32 v17, s5, v14
	v_cmp_le_i32_e64 s0, s5, v14
	v_cmp_gt_i32_e64 s1, s6, v14
	v_cndmask_b32_e32 v11, v11, v13, vcc_lo
	s_add_i32 s10, s10, 1
	v_ashrrev_i32_e32 v13, 31, v17
	s_delay_alu instid0(VALU_DEP_3) | instskip(NEXT) | instid1(SALU_CYCLE_1)
	s_and_b32 s0, s0, s1
	s_and_b32 s0, s9, s0
	s_cmp_lt_i32 s10, s4
	s_delay_alu instid0(VALU_DEP_1)
	v_cndmask_b32_e64 v14, 0, v13, s0
	v_cndmask_b32_e64 v13, 2, v17, s0
	s_cselect_b32 s0, -1, 0
	s_cmp_eq_u32 s4, s10
	v_cndmask_b32_e64 v3, v3, v16, s0
	v_cndmask_b32_e64 v2, v2, v15, s0
	global_store_b64 v[6:7], v[13:14], off
	v_add_co_u32 v6, s0, v6, 8
	s_delay_alu instid0(VALU_DEP_1)
	v_add_co_ci_u32_e64 v7, s0, 0, v7, s0
	s_cbranch_scc0 .LBB171_8
; %bb.9:
	s_and_b32 vcc_lo, exec_lo, vcc_lo
	s_cbranch_vccnz .LBB171_11
	s_branch .LBB171_14
.LBB171_10:
	v_mov_b32_e32 v11, 0
	s_and_b32 vcc_lo, exec_lo, vcc_lo
	s_cbranch_vccz .LBB171_14
.LBB171_11:
	s_and_not1_b32 vcc_lo, exec_lo, s7
	s_cbranch_vccnz .LBB171_14
; %bb.12:
	v_mul_lo_u32 v0, v10, s4
	v_cmp_lt_f32_e32 vcc_lo, 0, v11
	v_cndmask_b32_e32 v2, 1.0, v11, vcc_lo
	s_delay_alu instid0(VALU_DEP_3) | instskip(NEXT) | instid1(VALU_DEP_1)
	v_ashrrev_i32_e32 v1, 31, v0
	v_lshlrev_b64 v[0:1], 2, v[0:1]
	s_delay_alu instid0(VALU_DEP_1) | instskip(NEXT) | instid1(VALU_DEP_2)
	v_add_co_u32 v0, vcc_lo, s2, v0
	v_add_co_ci_u32_e32 v1, vcc_lo, s3, v1, vcc_lo
	.p2align	6
.LBB171_13:                             ; =>This Inner Loop Header: Depth=1
	global_load_b32 v3, v[0:1], off
	s_add_i32 s4, s4, -1
	s_delay_alu instid0(SALU_CYCLE_1) | instskip(SKIP_3) | instid1(VALU_DEP_2)
	s_cmp_lg_u32 s4, 0
	s_waitcnt vmcnt(0)
	v_div_scale_f32 v4, null, v2, v2, v3
	v_div_scale_f32 v7, vcc_lo, v3, v2, v3
	v_rcp_f32_e32 v5, v4
	s_waitcnt_depctr 0xfff
	v_fma_f32 v6, -v4, v5, 1.0
	s_delay_alu instid0(VALU_DEP_1) | instskip(NEXT) | instid1(VALU_DEP_1)
	v_fmac_f32_e32 v5, v6, v5
	v_mul_f32_e32 v6, v7, v5
	s_delay_alu instid0(VALU_DEP_1) | instskip(NEXT) | instid1(VALU_DEP_1)
	v_fma_f32 v8, -v4, v6, v7
	v_fmac_f32_e32 v6, v8, v5
	s_delay_alu instid0(VALU_DEP_1) | instskip(NEXT) | instid1(VALU_DEP_1)
	v_fma_f32 v4, -v4, v6, v7
	v_div_fmas_f32 v4, v4, v5, v6
	s_delay_alu instid0(VALU_DEP_1)
	v_div_fixup_f32 v3, v4, v2, v3
	global_store_b32 v[0:1], v3, off
	v_add_co_u32 v0, vcc_lo, v0, 4
	v_add_co_ci_u32_e32 v1, vcc_lo, 0, v1, vcc_lo
	s_cbranch_scc1 .LBB171_13
.LBB171_14:
	s_nop 0
	s_sendmsg sendmsg(MSG_DEALLOC_VGPRS)
	s_endpgm
	.section	.rodata,"a",@progbits
	.p2align	6, 0x0
	.amdhsa_kernel _ZN4vllm3moe10topkGatingILi2ELi2ELi4ELi4ELi32El14__hip_bfloat16LNS0_11ScoringFuncE0EEEvPKT5_PKbPfiPT4_PiiiibPKf
		.amdhsa_group_segment_fixed_size 0
		.amdhsa_private_segment_fixed_size 0
		.amdhsa_kernarg_size 72
		.amdhsa_user_sgpr_count 15
		.amdhsa_user_sgpr_dispatch_ptr 0
		.amdhsa_user_sgpr_queue_ptr 0
		.amdhsa_user_sgpr_kernarg_segment_ptr 1
		.amdhsa_user_sgpr_dispatch_id 0
		.amdhsa_user_sgpr_private_segment_size 0
		.amdhsa_wavefront_size32 1
		.amdhsa_uses_dynamic_stack 0
		.amdhsa_enable_private_segment 0
		.amdhsa_system_sgpr_workgroup_id_x 1
		.amdhsa_system_sgpr_workgroup_id_y 0
		.amdhsa_system_sgpr_workgroup_id_z 0
		.amdhsa_system_sgpr_workgroup_info 0
		.amdhsa_system_vgpr_workitem_id 1
		.amdhsa_next_free_vgpr 18
		.amdhsa_next_free_sgpr 16
		.amdhsa_reserve_vcc 1
		.amdhsa_float_round_mode_32 0
		.amdhsa_float_round_mode_16_64 0
		.amdhsa_float_denorm_mode_32 3
		.amdhsa_float_denorm_mode_16_64 3
		.amdhsa_dx10_clamp 1
		.amdhsa_ieee_mode 1
		.amdhsa_fp16_overflow 0
		.amdhsa_workgroup_processor_mode 1
		.amdhsa_memory_ordered 1
		.amdhsa_forward_progress 0
		.amdhsa_shared_vgpr_count 0
		.amdhsa_exception_fp_ieee_invalid_op 0
		.amdhsa_exception_fp_denorm_src 0
		.amdhsa_exception_fp_ieee_div_zero 0
		.amdhsa_exception_fp_ieee_overflow 0
		.amdhsa_exception_fp_ieee_underflow 0
		.amdhsa_exception_fp_ieee_inexact 0
		.amdhsa_exception_int_div_zero 0
	.end_amdhsa_kernel
	.section	.text._ZN4vllm3moe10topkGatingILi2ELi2ELi4ELi4ELi32El14__hip_bfloat16LNS0_11ScoringFuncE0EEEvPKT5_PKbPfiPT4_PiiiibPKf,"axG",@progbits,_ZN4vllm3moe10topkGatingILi2ELi2ELi4ELi4ELi32El14__hip_bfloat16LNS0_11ScoringFuncE0EEEvPKT5_PKbPfiPT4_PiiiibPKf,comdat
.Lfunc_end171:
	.size	_ZN4vllm3moe10topkGatingILi2ELi2ELi4ELi4ELi32El14__hip_bfloat16LNS0_11ScoringFuncE0EEEvPKT5_PKbPfiPT4_PiiiibPKf, .Lfunc_end171-_ZN4vllm3moe10topkGatingILi2ELi2ELi4ELi4ELi32El14__hip_bfloat16LNS0_11ScoringFuncE0EEEvPKT5_PKbPfiPT4_PiiiibPKf
                                        ; -- End function
	.section	.AMDGPU.csdata,"",@progbits
; Kernel info:
; codeLenInByte = 1268
; NumSgprs: 18
; NumVgprs: 18
; ScratchSize: 0
; MemoryBound: 0
; FloatMode: 240
; IeeeMode: 1
; LDSByteSize: 0 bytes/workgroup (compile time only)
; SGPRBlocks: 2
; VGPRBlocks: 2
; NumSGPRsForWavesPerEU: 18
; NumVGPRsForWavesPerEU: 18
; Occupancy: 16
; WaveLimiterHint : 0
; COMPUTE_PGM_RSRC2:SCRATCH_EN: 0
; COMPUTE_PGM_RSRC2:USER_SGPR: 15
; COMPUTE_PGM_RSRC2:TRAP_HANDLER: 0
; COMPUTE_PGM_RSRC2:TGID_X_EN: 1
; COMPUTE_PGM_RSRC2:TGID_Y_EN: 0
; COMPUTE_PGM_RSRC2:TGID_Z_EN: 0
; COMPUTE_PGM_RSRC2:TIDIG_COMP_CNT: 1
	.section	.text._ZN4vllm3moe10topkGatingILi4ELi4ELi4ELi8ELi64El14__hip_bfloat16LNS0_11ScoringFuncE0EEEvPKT5_PKbPfiPT4_PiiiibPKf,"axG",@progbits,_ZN4vllm3moe10topkGatingILi4ELi4ELi4ELi8ELi64El14__hip_bfloat16LNS0_11ScoringFuncE0EEEvPKT5_PKbPfiPT4_PiiiibPKf,comdat
	.protected	_ZN4vllm3moe10topkGatingILi4ELi4ELi4ELi8ELi64El14__hip_bfloat16LNS0_11ScoringFuncE0EEEvPKT5_PKbPfiPT4_PiiiibPKf ; -- Begin function _ZN4vllm3moe10topkGatingILi4ELi4ELi4ELi8ELi64El14__hip_bfloat16LNS0_11ScoringFuncE0EEEvPKT5_PKbPfiPT4_PiiiibPKf
	.globl	_ZN4vllm3moe10topkGatingILi4ELi4ELi4ELi8ELi64El14__hip_bfloat16LNS0_11ScoringFuncE0EEEvPKT5_PKbPfiPT4_PiiiibPKf
	.p2align	8
	.type	_ZN4vllm3moe10topkGatingILi4ELi4ELi4ELi8ELi64El14__hip_bfloat16LNS0_11ScoringFuncE0EEEvPKT5_PKbPfiPT4_PiiiibPKf,@function
_ZN4vllm3moe10topkGatingILi4ELi4ELi4ELi8ELi64El14__hip_bfloat16LNS0_11ScoringFuncE0EEEvPKT5_PKbPfiPT4_PiiiibPKf: ; @_ZN4vllm3moe10topkGatingILi4ELi4ELi4ELi8ELi64El14__hip_bfloat16LNS0_11ScoringFuncE0EEEvPKT5_PKbPfiPT4_PiiiibPKf
; %bb.0:
	s_load_b32 s10, s[0:1], 0x18
	v_bfe_u32 v1, v0, 10, 10
	v_and_b32_e32 v0, 0x3ff, v0
	s_lshl_b32 s2, s15, 8
	s_delay_alu instid0(VALU_DEP_2) | instskip(NEXT) | instid1(VALU_DEP_1)
	v_lshlrev_b32_e32 v1, 6, v1
	v_add3_u32 v14, v1, v0, s2
	s_mov_b32 s2, exec_lo
	s_waitcnt lgkmcnt(0)
	s_delay_alu instid0(VALU_DEP_1)
	v_cmpx_gt_i32_e64 s10, v14
	s_cbranch_execz .LBB172_15
; %bb.1:
	s_clause 0x1
	s_load_b128 s[4:7], s[0:1], 0x0
	s_load_b64 s[8:9], s[0:1], 0x10
	s_mov_b32 s12, -1
	s_mov_b32 s11, -1
	s_waitcnt lgkmcnt(0)
	s_cmp_eq_u64 s[6:7], 0
	s_cbranch_scc1 .LBB172_3
; %bb.2:
	v_ashrrev_i32_e32 v1, 31, v14
	v_add_co_u32 v0, vcc_lo, s6, v14
	s_delay_alu instid0(VALU_DEP_2) | instskip(SKIP_3) | instid1(VALU_DEP_1)
	v_add_co_ci_u32_e32 v1, vcc_lo, s7, v1, vcc_lo
	global_load_u8 v0, v[0:1], off
	s_waitcnt vmcnt(0)
	v_and_b32_e32 v0, 1, v0
	v_cmp_eq_u32_e32 vcc_lo, 1, v0
	s_xor_b32 s2, vcc_lo, -1
	s_delay_alu instid0(SALU_CYCLE_1)
	s_or_not1_b32 s11, s2, exec_lo
.LBB172_3:
	v_lshlrev_b32_e32 v0, 2, v14
	s_load_b64 s[2:3], s[0:1], 0x40
	s_delay_alu instid0(VALU_DEP_1) | instskip(NEXT) | instid1(VALU_DEP_1)
	v_ashrrev_i32_e32 v1, 31, v0
	v_lshlrev_b64 v[0:1], 1, v[0:1]
	s_delay_alu instid0(VALU_DEP_1) | instskip(NEXT) | instid1(VALU_DEP_2)
	v_add_co_u32 v0, vcc_lo, s4, v0
	v_add_co_ci_u32_e32 v1, vcc_lo, s5, v1, vcc_lo
	s_waitcnt lgkmcnt(0)
	s_cmp_eq_u64 s[2:3], 0
	global_load_b64 v[0:1], v[0:1], off
	s_waitcnt vmcnt(0)
	v_and_b32_e32 v2, 0xffff0000, v0
	v_lshlrev_b32_e32 v3, 16, v0
	v_alignbit_b32 v0, v1, v0, 16
	s_delay_alu instid0(VALU_DEP_2) | instskip(SKIP_1) | instid1(VALU_DEP_3)
	v_dual_max_f32 v4, v2, v2 :: v_dual_max_f32 v5, v3, v3
	v_and_b32_e32 v1, 0xffff0000, v1
	v_and_b32_e32 v0, 0xffff0000, v0
	s_delay_alu instid0(VALU_DEP_3) | instskip(NEXT) | instid1(VALU_DEP_1)
	v_max_f32_e32 v4, v5, v4
	v_max3_f32 v4, v4, v0, v1
	s_delay_alu instid0(VALU_DEP_1) | instskip(SKIP_1) | instid1(VALU_DEP_1)
	v_sub_f32_e32 v3, v3, v4
	v_sub_f32_e32 v1, v1, v4
	v_dual_sub_f32 v2, v2, v4 :: v_dual_mul_f32 v7, 0x3fb8aa3b, v1
	s_delay_alu instid0(VALU_DEP_1) | instskip(NEXT) | instid1(VALU_DEP_2)
	v_mul_f32_e32 v5, 0x3fb8aa3b, v2
	v_fma_f32 v15, 0x3fb8aa3b, v1, -v7
	s_delay_alu instid0(VALU_DEP_2) | instskip(SKIP_2) | instid1(VALU_DEP_2)
	v_fma_f32 v10, 0x3fb8aa3b, v2, -v5
	v_rndne_f32_e32 v11, v5
	v_rndne_f32_e32 v16, v7
	v_dual_fmac_f32 v10, 0x32a5705f, v2 :: v_dual_sub_f32 v5, v5, v11
	s_delay_alu instid0(VALU_DEP_2) | instskip(NEXT) | instid1(VALU_DEP_2)
	v_sub_f32_e32 v7, v7, v16
	v_dual_add_f32 v5, v5, v10 :: v_dual_sub_f32 v0, v0, v4
	v_mul_f32_e32 v4, 0x3fb8aa3b, v3
	v_fmac_f32_e32 v15, 0x32a5705f, v1
	s_delay_alu instid0(VALU_DEP_3) | instskip(NEXT) | instid1(VALU_DEP_3)
	v_exp_f32_e32 v5, v5
	v_mul_f32_e32 v6, 0x3fb8aa3b, v0
	s_delay_alu instid0(VALU_DEP_3) | instskip(SKIP_2) | instid1(VALU_DEP_4)
	v_fma_f32 v8, 0x3fb8aa3b, v3, -v4
	v_rndne_f32_e32 v9, v4
	v_add_f32_e32 v7, v7, v15
	v_fma_f32 v12, 0x3fb8aa3b, v0, -v6
	v_rndne_f32_e32 v13, v6
	s_delay_alu instid0(VALU_DEP_4) | instskip(SKIP_4) | instid1(VALU_DEP_3)
	v_sub_f32_e32 v4, v4, v9
	v_fmac_f32_e32 v8, 0x32a5705f, v3
	v_cmp_ngt_f32_e32 vcc_lo, 0xc2ce8ed0, v3
	v_exp_f32_e32 v7, v7
	v_cvt_i32_f32_e32 v10, v13
	v_add_f32_e32 v4, v4, v8
	v_cvt_i32_f32_e32 v8, v9
	v_cvt_i32_f32_e32 v9, v11
	;; [unrolled: 1-line block ×3, first 2 shown]
	s_delay_alu instid0(VALU_DEP_4) | instskip(NEXT) | instid1(VALU_DEP_2)
	v_exp_f32_e32 v4, v4
	v_ldexp_f32 v5, v5, v9
	s_delay_alu instid0(TRANS32_DEP_2) | instid1(VALU_DEP_2)
	v_ldexp_f32 v7, v7, v11
	s_waitcnt_depctr 0xfff
	v_ldexp_f32 v4, v4, v8
	s_delay_alu instid0(VALU_DEP_1) | instskip(SKIP_3) | instid1(VALU_DEP_1)
	v_cndmask_b32_e32 v4, 0, v4, vcc_lo
	v_sub_f32_e32 v6, v6, v13
	v_cmp_ngt_f32_e32 vcc_lo, 0xc2ce8ed0, v2
	v_dual_fmac_f32 v12, 0x32a5705f, v0 :: v_dual_cndmask_b32 v5, 0, v5
	v_add_f32_e32 v6, v6, v12
	v_cmp_ngt_f32_e32 vcc_lo, 0xc2ce8ed0, v0
	s_delay_alu instid0(VALU_DEP_2) | instskip(SKIP_2) | instid1(VALU_DEP_1)
	v_exp_f32_e32 v6, v6
	s_waitcnt_depctr 0xfff
	v_ldexp_f32 v6, v6, v10
	v_cndmask_b32_e32 v6, 0, v6, vcc_lo
	v_cmp_nlt_f32_e32 vcc_lo, 0x42b17218, v3
	v_cndmask_b32_e32 v3, 0x7f800000, v4, vcc_lo
	v_cmp_nlt_f32_e32 vcc_lo, 0x42b17218, v2
	v_cndmask_b32_e32 v2, 0x7f800000, v5, vcc_lo
	v_cmp_ngt_f32_e32 vcc_lo, 0xc2ce8ed0, v1
	s_delay_alu instid0(VALU_DEP_2) | instskip(SKIP_3) | instid1(VALU_DEP_4)
	v_dual_add_f32 v5, v3, v2 :: v_dual_cndmask_b32 v4, 0, v7
	v_cmp_nlt_f32_e32 vcc_lo, 0x42b17218, v0
	v_cndmask_b32_e32 v0, 0x7f800000, v6, vcc_lo
	v_cmp_nlt_f32_e32 vcc_lo, 0x42b17218, v1
	v_cndmask_b32_e32 v1, 0x7f800000, v4, vcc_lo
	s_delay_alu instid0(VALU_DEP_3) | instskip(NEXT) | instid1(VALU_DEP_1)
	v_add_f32_e32 v4, v5, v0
	v_add_f32_e32 v4, v4, v1
	s_delay_alu instid0(VALU_DEP_1) | instskip(SKIP_1) | instid1(VALU_DEP_2)
	v_div_scale_f32 v5, null, v4, v4, 1.0
	v_div_scale_f32 v8, vcc_lo, 1.0, v4, 1.0
	v_rcp_f32_e32 v6, v5
	s_waitcnt_depctr 0xfff
	v_fma_f32 v7, -v5, v6, 1.0
	s_delay_alu instid0(VALU_DEP_1) | instskip(NEXT) | instid1(VALU_DEP_1)
	v_fmac_f32_e32 v6, v7, v6
	v_mul_f32_e32 v7, v8, v6
	s_delay_alu instid0(VALU_DEP_1) | instskip(NEXT) | instid1(VALU_DEP_1)
	v_fma_f32 v9, -v5, v7, v8
	v_fmac_f32_e32 v7, v9, v6
	s_delay_alu instid0(VALU_DEP_1) | instskip(NEXT) | instid1(VALU_DEP_1)
	v_fma_f32 v5, -v5, v7, v8
	v_div_fmas_f32 v5, v5, v6, v7
	s_delay_alu instid0(VALU_DEP_1) | instskip(NEXT) | instid1(VALU_DEP_1)
	v_div_fixup_f32 v4, v5, v4, 1.0
	v_mul_f32_e32 v3, v4, v3
	v_mul_f32_e32 v2, v4, v2
	;; [unrolled: 1-line block ×4, first 2 shown]
	s_delay_alu instid0(VALU_DEP_4)
	v_cmp_class_f32_e64 vcc_lo, v3, 0x1f8
	v_cndmask_b32_e32 v0, 0, v3, vcc_lo
	v_cmp_class_f32_e64 vcc_lo, v2, 0x1f8
	v_cndmask_b32_e32 v1, 0, v2, vcc_lo
	;; [unrolled: 2-line block ×4, first 2 shown]
	s_cbranch_scc1 .LBB172_10
; %bb.4:
	s_load_b128 s[4:7], s[2:3], 0x0
	s_waitcnt lgkmcnt(0)
	v_dual_add_f32 v4, s4, v0 :: v_dual_add_f32 v5, s5, v1
	v_dual_add_f32 v6, s6, v2 :: v_dual_add_f32 v7, s7, v3
	s_cbranch_execnz .LBB172_6
.LBB172_5:
	v_dual_mov_b32 v7, v3 :: v_dual_mov_b32 v6, v2
	v_dual_mov_b32 v5, v1 :: v_dual_mov_b32 v4, v0
.LBB172_6:
	s_load_b128 s[4:7], s[0:1], 0x30
	s_waitcnt lgkmcnt(0)
	s_bitcmp1_b32 s7, 0
	s_mov_b32 s7, 0
	s_cselect_b32 vcc_lo, -1, 0
	s_cmp_gt_i32 s4, 0
	s_cselect_b32 s3, -1, 0
	s_cmp_lt_i32 s4, 1
	s_cbranch_scc1 .LBB172_11
; %bb.7:
	v_mul_lo_u32 v8, v14, s4
	s_load_b128 s[12:15], s[0:1], 0x20
	v_dual_mov_b32 v15, 0 :: v_dual_mov_b32 v16, v14
	s_delay_alu instid0(VALU_DEP_2) | instskip(NEXT) | instid1(VALU_DEP_1)
	v_ashrrev_i32_e32 v9, 31, v8
	v_lshlrev_b64 v[12:13], 2, v[8:9]
	v_lshlrev_b64 v[10:11], 3, v[8:9]
	s_delay_alu instid0(VALU_DEP_2) | instskip(NEXT) | instid1(VALU_DEP_1)
	v_add_co_u32 v8, s0, s8, v12
	v_add_co_ci_u32_e64 v9, s0, s9, v13, s0
	s_waitcnt lgkmcnt(0)
	s_delay_alu instid0(VALU_DEP_3) | instskip(NEXT) | instid1(VALU_DEP_1)
	v_add_co_u32 v10, s0, s12, v10
	v_add_co_ci_u32_e64 v11, s0, s13, v11, s0
	v_add_co_u32 v12, s0, s14, v12
	s_delay_alu instid0(VALU_DEP_1)
	v_add_co_ci_u32_e64 v13, s0, s15, v13, s0
.LBB172_8:                              ; =>This Inner Loop Header: Depth=1
	v_cmp_gt_f32_e64 s0, v5, v4
	global_store_b32 v[12:13], v16, off
	v_add_co_u32 v12, s1, v12, 4
	s_delay_alu instid0(VALU_DEP_1) | instskip(SKIP_4) | instid1(VALU_DEP_3)
	v_add_co_ci_u32_e64 v13, s1, 0, v13, s1
	v_cndmask_b32_e64 v17, v4, v5, s0
	v_cndmask_b32_e64 v18, v0, v1, s0
	;; [unrolled: 1-line block ×3, first 2 shown]
	s_add_i32 s7, s7, 1
	v_cmp_gt_f32_e64 s1, v6, v17
	s_delay_alu instid0(VALU_DEP_1) | instskip(SKIP_2) | instid1(VALU_DEP_3)
	v_cndmask_b32_e64 v17, v17, v6, s1
	v_cndmask_b32_e64 v18, v18, v2, s1
	;; [unrolled: 1-line block ×3, first 2 shown]
	v_cmp_gt_f32_e64 s0, v7, v17
	s_delay_alu instid0(VALU_DEP_1) | instskip(NEXT) | instid1(VALU_DEP_3)
	v_cndmask_b32_e64 v17, v18, v3, s0
	v_cndmask_b32_e64 v18, v19, 3, s0
	v_add_nc_u32_e32 v16, s10, v16
	global_store_b32 v[8:9], v17, off
	v_add_f32_e32 v17, v15, v17
	v_cmp_ne_u32_e64 s2, 0, v18
	v_subrev_nc_u32_e32 v19, s5, v18
	v_cmp_le_i32_e64 s0, s5, v18
	v_cmp_gt_i32_e64 s1, s6, v18
	v_cndmask_b32_e32 v15, v15, v17, vcc_lo
	v_cndmask_b32_e64 v20, 0xc61c4000, v4, s2
	v_cmp_ne_u32_e64 s2, 1, v18
	s_delay_alu instid0(VALU_DEP_4) | instskip(NEXT) | instid1(SALU_CYCLE_1)
	s_and_b32 s0, s0, s1
	s_and_b32 s0, s11, s0
	s_delay_alu instid0(VALU_DEP_1) | instskip(SKIP_3) | instid1(VALU_DEP_2)
	v_cndmask_b32_e64 v21, 0xc61c4000, v5, s2
	v_cmp_ne_u32_e64 s2, 2, v18
	v_cndmask_b32_e64 v17, 4, v19, s0
	s_cmp_lt_i32 s7, s4
	v_cndmask_b32_e64 v22, 0xc61c4000, v6, s2
	v_cmp_ne_u32_e64 s2, 3, v18
	v_ashrrev_i32_e32 v18, 31, v19
	s_delay_alu instid0(VALU_DEP_2) | instskip(NEXT) | instid1(VALU_DEP_2)
	v_cndmask_b32_e64 v23, 0xc61c4000, v7, s2
	v_cndmask_b32_e64 v18, 0, v18, s0
	s_cselect_b32 s0, -1, 0
	v_add_co_u32 v8, s2, v8, 4
	s_delay_alu instid0(VALU_DEP_3)
	v_cndmask_b32_e64 v7, v7, v23, s0
	v_cndmask_b32_e64 v6, v6, v22, s0
	;; [unrolled: 1-line block ×4, first 2 shown]
	global_store_b64 v[10:11], v[17:18], off
	v_add_co_u32 v10, s0, v10, 8
	v_add_co_ci_u32_e64 v9, s2, 0, v9, s2
	v_add_co_ci_u32_e64 v11, s0, 0, v11, s0
	s_cmp_eq_u32 s4, s7
	s_cbranch_scc0 .LBB172_8
; %bb.9:
	s_and_b32 vcc_lo, exec_lo, vcc_lo
	s_cbranch_vccnz .LBB172_12
	s_branch .LBB172_15
.LBB172_10:
                                        ; implicit-def: $vgpr4_vgpr5_vgpr6_vgpr7
	s_and_not1_b32 vcc_lo, exec_lo, s12
	s_cbranch_vccz .LBB172_5
	s_branch .LBB172_6
.LBB172_11:
	v_mov_b32_e32 v15, 0
	s_and_b32 vcc_lo, exec_lo, vcc_lo
	s_cbranch_vccz .LBB172_15
.LBB172_12:
	s_and_not1_b32 vcc_lo, exec_lo, s3
	s_cbranch_vccnz .LBB172_15
; %bb.13:
	v_mul_lo_u32 v0, v14, s4
	v_cmp_lt_f32_e32 vcc_lo, 0, v15
	v_cndmask_b32_e32 v2, 1.0, v15, vcc_lo
	s_delay_alu instid0(VALU_DEP_3) | instskip(NEXT) | instid1(VALU_DEP_1)
	v_ashrrev_i32_e32 v1, 31, v0
	v_lshlrev_b64 v[0:1], 2, v[0:1]
	s_delay_alu instid0(VALU_DEP_1) | instskip(NEXT) | instid1(VALU_DEP_2)
	v_add_co_u32 v0, vcc_lo, s8, v0
	v_add_co_ci_u32_e32 v1, vcc_lo, s9, v1, vcc_lo
	.p2align	6
.LBB172_14:                             ; =>This Inner Loop Header: Depth=1
	global_load_b32 v3, v[0:1], off
	s_add_i32 s4, s4, -1
	s_delay_alu instid0(SALU_CYCLE_1) | instskip(SKIP_3) | instid1(VALU_DEP_2)
	s_cmp_lg_u32 s4, 0
	s_waitcnt vmcnt(0)
	v_div_scale_f32 v4, null, v2, v2, v3
	v_div_scale_f32 v7, vcc_lo, v3, v2, v3
	v_rcp_f32_e32 v5, v4
	s_waitcnt_depctr 0xfff
	v_fma_f32 v6, -v4, v5, 1.0
	s_delay_alu instid0(VALU_DEP_1) | instskip(NEXT) | instid1(VALU_DEP_1)
	v_fmac_f32_e32 v5, v6, v5
	v_mul_f32_e32 v6, v7, v5
	s_delay_alu instid0(VALU_DEP_1) | instskip(NEXT) | instid1(VALU_DEP_1)
	v_fma_f32 v8, -v4, v6, v7
	v_fmac_f32_e32 v6, v8, v5
	s_delay_alu instid0(VALU_DEP_1) | instskip(NEXT) | instid1(VALU_DEP_1)
	v_fma_f32 v4, -v4, v6, v7
	v_div_fmas_f32 v4, v4, v5, v6
	s_delay_alu instid0(VALU_DEP_1)
	v_div_fixup_f32 v3, v4, v2, v3
	global_store_b32 v[0:1], v3, off
	v_add_co_u32 v0, vcc_lo, v0, 4
	v_add_co_ci_u32_e32 v1, vcc_lo, 0, v1, vcc_lo
	s_cbranch_scc1 .LBB172_14
.LBB172_15:
	s_nop 0
	s_sendmsg sendmsg(MSG_DEALLOC_VGPRS)
	s_endpgm
	.section	.rodata,"a",@progbits
	.p2align	6, 0x0
	.amdhsa_kernel _ZN4vllm3moe10topkGatingILi4ELi4ELi4ELi8ELi64El14__hip_bfloat16LNS0_11ScoringFuncE0EEEvPKT5_PKbPfiPT4_PiiiibPKf
		.amdhsa_group_segment_fixed_size 0
		.amdhsa_private_segment_fixed_size 0
		.amdhsa_kernarg_size 72
		.amdhsa_user_sgpr_count 15
		.amdhsa_user_sgpr_dispatch_ptr 0
		.amdhsa_user_sgpr_queue_ptr 0
		.amdhsa_user_sgpr_kernarg_segment_ptr 1
		.amdhsa_user_sgpr_dispatch_id 0
		.amdhsa_user_sgpr_private_segment_size 0
		.amdhsa_wavefront_size32 1
		.amdhsa_uses_dynamic_stack 0
		.amdhsa_enable_private_segment 0
		.amdhsa_system_sgpr_workgroup_id_x 1
		.amdhsa_system_sgpr_workgroup_id_y 0
		.amdhsa_system_sgpr_workgroup_id_z 0
		.amdhsa_system_sgpr_workgroup_info 0
		.amdhsa_system_vgpr_workitem_id 1
		.amdhsa_next_free_vgpr 24
		.amdhsa_next_free_sgpr 16
		.amdhsa_reserve_vcc 1
		.amdhsa_float_round_mode_32 0
		.amdhsa_float_round_mode_16_64 0
		.amdhsa_float_denorm_mode_32 3
		.amdhsa_float_denorm_mode_16_64 3
		.amdhsa_dx10_clamp 1
		.amdhsa_ieee_mode 1
		.amdhsa_fp16_overflow 0
		.amdhsa_workgroup_processor_mode 1
		.amdhsa_memory_ordered 1
		.amdhsa_forward_progress 0
		.amdhsa_shared_vgpr_count 0
		.amdhsa_exception_fp_ieee_invalid_op 0
		.amdhsa_exception_fp_denorm_src 0
		.amdhsa_exception_fp_ieee_div_zero 0
		.amdhsa_exception_fp_ieee_overflow 0
		.amdhsa_exception_fp_ieee_underflow 0
		.amdhsa_exception_fp_ieee_inexact 0
		.amdhsa_exception_int_div_zero 0
	.end_amdhsa_kernel
	.section	.text._ZN4vllm3moe10topkGatingILi4ELi4ELi4ELi8ELi64El14__hip_bfloat16LNS0_11ScoringFuncE0EEEvPKT5_PKbPfiPT4_PiiiibPKf,"axG",@progbits,_ZN4vllm3moe10topkGatingILi4ELi4ELi4ELi8ELi64El14__hip_bfloat16LNS0_11ScoringFuncE0EEEvPKT5_PKbPfiPT4_PiiiibPKf,comdat
.Lfunc_end172:
	.size	_ZN4vllm3moe10topkGatingILi4ELi4ELi4ELi8ELi64El14__hip_bfloat16LNS0_11ScoringFuncE0EEEvPKT5_PKbPfiPT4_PiiiibPKf, .Lfunc_end172-_ZN4vllm3moe10topkGatingILi4ELi4ELi4ELi8ELi64El14__hip_bfloat16LNS0_11ScoringFuncE0EEEvPKT5_PKbPfiPT4_PiiiibPKf
                                        ; -- End function
	.section	.AMDGPU.csdata,"",@progbits
; Kernel info:
; codeLenInByte = 1720
; NumSgprs: 18
; NumVgprs: 24
; ScratchSize: 0
; MemoryBound: 0
; FloatMode: 240
; IeeeMode: 1
; LDSByteSize: 0 bytes/workgroup (compile time only)
; SGPRBlocks: 2
; VGPRBlocks: 2
; NumSGPRsForWavesPerEU: 18
; NumVGPRsForWavesPerEU: 24
; Occupancy: 16
; WaveLimiterHint : 0
; COMPUTE_PGM_RSRC2:SCRATCH_EN: 0
; COMPUTE_PGM_RSRC2:USER_SGPR: 15
; COMPUTE_PGM_RSRC2:TRAP_HANDLER: 0
; COMPUTE_PGM_RSRC2:TGID_X_EN: 1
; COMPUTE_PGM_RSRC2:TGID_Y_EN: 0
; COMPUTE_PGM_RSRC2:TGID_Z_EN: 0
; COMPUTE_PGM_RSRC2:TIDIG_COMP_CNT: 1
	.section	.text._ZN4vllm3moe10topkGatingILi4ELi4ELi4ELi8ELi32El14__hip_bfloat16LNS0_11ScoringFuncE0EEEvPKT5_PKbPfiPT4_PiiiibPKf,"axG",@progbits,_ZN4vllm3moe10topkGatingILi4ELi4ELi4ELi8ELi32El14__hip_bfloat16LNS0_11ScoringFuncE0EEEvPKT5_PKbPfiPT4_PiiiibPKf,comdat
	.protected	_ZN4vllm3moe10topkGatingILi4ELi4ELi4ELi8ELi32El14__hip_bfloat16LNS0_11ScoringFuncE0EEEvPKT5_PKbPfiPT4_PiiiibPKf ; -- Begin function _ZN4vllm3moe10topkGatingILi4ELi4ELi4ELi8ELi32El14__hip_bfloat16LNS0_11ScoringFuncE0EEEvPKT5_PKbPfiPT4_PiiiibPKf
	.globl	_ZN4vllm3moe10topkGatingILi4ELi4ELi4ELi8ELi32El14__hip_bfloat16LNS0_11ScoringFuncE0EEEvPKT5_PKbPfiPT4_PiiiibPKf
	.p2align	8
	.type	_ZN4vllm3moe10topkGatingILi4ELi4ELi4ELi8ELi32El14__hip_bfloat16LNS0_11ScoringFuncE0EEEvPKT5_PKbPfiPT4_PiiiibPKf,@function
_ZN4vllm3moe10topkGatingILi4ELi4ELi4ELi8ELi32El14__hip_bfloat16LNS0_11ScoringFuncE0EEEvPKT5_PKbPfiPT4_PiiiibPKf: ; @_ZN4vllm3moe10topkGatingILi4ELi4ELi4ELi8ELi32El14__hip_bfloat16LNS0_11ScoringFuncE0EEEvPKT5_PKbPfiPT4_PiiiibPKf
; %bb.0:
	s_load_b32 s10, s[0:1], 0x18
	v_bfe_u32 v1, v0, 10, 10
	v_and_b32_e32 v0, 0x3ff, v0
	s_lshl_b32 s2, s15, 7
	s_delay_alu instid0(VALU_DEP_2) | instskip(NEXT) | instid1(VALU_DEP_1)
	v_lshlrev_b32_e32 v1, 5, v1
	v_add3_u32 v14, v1, v0, s2
	s_mov_b32 s2, exec_lo
	s_waitcnt lgkmcnt(0)
	s_delay_alu instid0(VALU_DEP_1)
	v_cmpx_gt_i32_e64 s10, v14
	s_cbranch_execz .LBB173_15
; %bb.1:
	s_clause 0x1
	s_load_b128 s[4:7], s[0:1], 0x0
	s_load_b64 s[8:9], s[0:1], 0x10
	s_mov_b32 s12, -1
	s_mov_b32 s11, -1
	s_waitcnt lgkmcnt(0)
	s_cmp_eq_u64 s[6:7], 0
	s_cbranch_scc1 .LBB173_3
; %bb.2:
	v_ashrrev_i32_e32 v1, 31, v14
	v_add_co_u32 v0, vcc_lo, s6, v14
	s_delay_alu instid0(VALU_DEP_2) | instskip(SKIP_3) | instid1(VALU_DEP_1)
	v_add_co_ci_u32_e32 v1, vcc_lo, s7, v1, vcc_lo
	global_load_u8 v0, v[0:1], off
	s_waitcnt vmcnt(0)
	v_and_b32_e32 v0, 1, v0
	v_cmp_eq_u32_e32 vcc_lo, 1, v0
	s_xor_b32 s2, vcc_lo, -1
	s_delay_alu instid0(SALU_CYCLE_1)
	s_or_not1_b32 s11, s2, exec_lo
.LBB173_3:
	v_lshlrev_b32_e32 v0, 2, v14
	s_load_b64 s[2:3], s[0:1], 0x40
	s_delay_alu instid0(VALU_DEP_1) | instskip(NEXT) | instid1(VALU_DEP_1)
	v_ashrrev_i32_e32 v1, 31, v0
	v_lshlrev_b64 v[0:1], 1, v[0:1]
	s_delay_alu instid0(VALU_DEP_1) | instskip(NEXT) | instid1(VALU_DEP_2)
	v_add_co_u32 v0, vcc_lo, s4, v0
	v_add_co_ci_u32_e32 v1, vcc_lo, s5, v1, vcc_lo
	s_waitcnt lgkmcnt(0)
	s_cmp_eq_u64 s[2:3], 0
	global_load_b64 v[0:1], v[0:1], off
	s_waitcnt vmcnt(0)
	v_and_b32_e32 v2, 0xffff0000, v0
	v_lshlrev_b32_e32 v3, 16, v0
	v_alignbit_b32 v0, v1, v0, 16
	s_delay_alu instid0(VALU_DEP_2) | instskip(SKIP_1) | instid1(VALU_DEP_3)
	v_dual_max_f32 v4, v2, v2 :: v_dual_max_f32 v5, v3, v3
	v_and_b32_e32 v1, 0xffff0000, v1
	v_and_b32_e32 v0, 0xffff0000, v0
	s_delay_alu instid0(VALU_DEP_3) | instskip(NEXT) | instid1(VALU_DEP_1)
	v_max_f32_e32 v4, v5, v4
	v_max3_f32 v4, v4, v0, v1
	s_delay_alu instid0(VALU_DEP_1) | instskip(SKIP_1) | instid1(VALU_DEP_1)
	v_sub_f32_e32 v3, v3, v4
	v_sub_f32_e32 v1, v1, v4
	v_dual_sub_f32 v2, v2, v4 :: v_dual_mul_f32 v7, 0x3fb8aa3b, v1
	s_delay_alu instid0(VALU_DEP_1) | instskip(NEXT) | instid1(VALU_DEP_2)
	v_mul_f32_e32 v5, 0x3fb8aa3b, v2
	v_fma_f32 v15, 0x3fb8aa3b, v1, -v7
	s_delay_alu instid0(VALU_DEP_2) | instskip(SKIP_2) | instid1(VALU_DEP_2)
	v_fma_f32 v10, 0x3fb8aa3b, v2, -v5
	v_rndne_f32_e32 v11, v5
	v_rndne_f32_e32 v16, v7
	v_dual_fmac_f32 v10, 0x32a5705f, v2 :: v_dual_sub_f32 v5, v5, v11
	s_delay_alu instid0(VALU_DEP_2) | instskip(NEXT) | instid1(VALU_DEP_2)
	v_sub_f32_e32 v7, v7, v16
	v_dual_add_f32 v5, v5, v10 :: v_dual_sub_f32 v0, v0, v4
	v_mul_f32_e32 v4, 0x3fb8aa3b, v3
	v_fmac_f32_e32 v15, 0x32a5705f, v1
	s_delay_alu instid0(VALU_DEP_3) | instskip(NEXT) | instid1(VALU_DEP_3)
	v_exp_f32_e32 v5, v5
	v_mul_f32_e32 v6, 0x3fb8aa3b, v0
	s_delay_alu instid0(VALU_DEP_3) | instskip(SKIP_2) | instid1(VALU_DEP_4)
	v_fma_f32 v8, 0x3fb8aa3b, v3, -v4
	v_rndne_f32_e32 v9, v4
	v_add_f32_e32 v7, v7, v15
	v_fma_f32 v12, 0x3fb8aa3b, v0, -v6
	v_rndne_f32_e32 v13, v6
	s_delay_alu instid0(VALU_DEP_4) | instskip(SKIP_4) | instid1(VALU_DEP_3)
	v_sub_f32_e32 v4, v4, v9
	v_fmac_f32_e32 v8, 0x32a5705f, v3
	v_cmp_ngt_f32_e32 vcc_lo, 0xc2ce8ed0, v3
	v_exp_f32_e32 v7, v7
	v_cvt_i32_f32_e32 v10, v13
	v_add_f32_e32 v4, v4, v8
	v_cvt_i32_f32_e32 v8, v9
	v_cvt_i32_f32_e32 v9, v11
	;; [unrolled: 1-line block ×3, first 2 shown]
	s_delay_alu instid0(VALU_DEP_4) | instskip(NEXT) | instid1(VALU_DEP_2)
	v_exp_f32_e32 v4, v4
	v_ldexp_f32 v5, v5, v9
	s_delay_alu instid0(TRANS32_DEP_2) | instid1(VALU_DEP_2)
	v_ldexp_f32 v7, v7, v11
	s_waitcnt_depctr 0xfff
	v_ldexp_f32 v4, v4, v8
	s_delay_alu instid0(VALU_DEP_1) | instskip(SKIP_3) | instid1(VALU_DEP_1)
	v_cndmask_b32_e32 v4, 0, v4, vcc_lo
	v_sub_f32_e32 v6, v6, v13
	v_cmp_ngt_f32_e32 vcc_lo, 0xc2ce8ed0, v2
	v_dual_fmac_f32 v12, 0x32a5705f, v0 :: v_dual_cndmask_b32 v5, 0, v5
	v_add_f32_e32 v6, v6, v12
	v_cmp_ngt_f32_e32 vcc_lo, 0xc2ce8ed0, v0
	s_delay_alu instid0(VALU_DEP_2) | instskip(SKIP_2) | instid1(VALU_DEP_1)
	v_exp_f32_e32 v6, v6
	s_waitcnt_depctr 0xfff
	v_ldexp_f32 v6, v6, v10
	v_cndmask_b32_e32 v6, 0, v6, vcc_lo
	v_cmp_nlt_f32_e32 vcc_lo, 0x42b17218, v3
	v_cndmask_b32_e32 v3, 0x7f800000, v4, vcc_lo
	v_cmp_nlt_f32_e32 vcc_lo, 0x42b17218, v2
	v_cndmask_b32_e32 v2, 0x7f800000, v5, vcc_lo
	v_cmp_ngt_f32_e32 vcc_lo, 0xc2ce8ed0, v1
	s_delay_alu instid0(VALU_DEP_2) | instskip(SKIP_3) | instid1(VALU_DEP_4)
	v_dual_add_f32 v5, v3, v2 :: v_dual_cndmask_b32 v4, 0, v7
	v_cmp_nlt_f32_e32 vcc_lo, 0x42b17218, v0
	v_cndmask_b32_e32 v0, 0x7f800000, v6, vcc_lo
	v_cmp_nlt_f32_e32 vcc_lo, 0x42b17218, v1
	v_cndmask_b32_e32 v1, 0x7f800000, v4, vcc_lo
	s_delay_alu instid0(VALU_DEP_3) | instskip(NEXT) | instid1(VALU_DEP_1)
	v_add_f32_e32 v4, v5, v0
	v_add_f32_e32 v4, v4, v1
	s_delay_alu instid0(VALU_DEP_1) | instskip(SKIP_1) | instid1(VALU_DEP_2)
	v_div_scale_f32 v5, null, v4, v4, 1.0
	v_div_scale_f32 v8, vcc_lo, 1.0, v4, 1.0
	v_rcp_f32_e32 v6, v5
	s_waitcnt_depctr 0xfff
	v_fma_f32 v7, -v5, v6, 1.0
	s_delay_alu instid0(VALU_DEP_1) | instskip(NEXT) | instid1(VALU_DEP_1)
	v_fmac_f32_e32 v6, v7, v6
	v_mul_f32_e32 v7, v8, v6
	s_delay_alu instid0(VALU_DEP_1) | instskip(NEXT) | instid1(VALU_DEP_1)
	v_fma_f32 v9, -v5, v7, v8
	v_fmac_f32_e32 v7, v9, v6
	s_delay_alu instid0(VALU_DEP_1) | instskip(NEXT) | instid1(VALU_DEP_1)
	v_fma_f32 v5, -v5, v7, v8
	v_div_fmas_f32 v5, v5, v6, v7
	s_delay_alu instid0(VALU_DEP_1) | instskip(NEXT) | instid1(VALU_DEP_1)
	v_div_fixup_f32 v4, v5, v4, 1.0
	v_mul_f32_e32 v3, v4, v3
	v_mul_f32_e32 v2, v4, v2
	;; [unrolled: 1-line block ×4, first 2 shown]
	s_delay_alu instid0(VALU_DEP_4)
	v_cmp_class_f32_e64 vcc_lo, v3, 0x1f8
	v_cndmask_b32_e32 v0, 0, v3, vcc_lo
	v_cmp_class_f32_e64 vcc_lo, v2, 0x1f8
	v_cndmask_b32_e32 v1, 0, v2, vcc_lo
	;; [unrolled: 2-line block ×4, first 2 shown]
	s_cbranch_scc1 .LBB173_10
; %bb.4:
	s_load_b128 s[4:7], s[2:3], 0x0
	s_waitcnt lgkmcnt(0)
	v_dual_add_f32 v4, s4, v0 :: v_dual_add_f32 v5, s5, v1
	v_dual_add_f32 v6, s6, v2 :: v_dual_add_f32 v7, s7, v3
	s_cbranch_execnz .LBB173_6
.LBB173_5:
	v_dual_mov_b32 v7, v3 :: v_dual_mov_b32 v6, v2
	v_dual_mov_b32 v5, v1 :: v_dual_mov_b32 v4, v0
.LBB173_6:
	s_load_b128 s[4:7], s[0:1], 0x30
	s_waitcnt lgkmcnt(0)
	s_bitcmp1_b32 s7, 0
	s_mov_b32 s7, 0
	s_cselect_b32 vcc_lo, -1, 0
	s_cmp_gt_i32 s4, 0
	s_cselect_b32 s3, -1, 0
	s_cmp_lt_i32 s4, 1
	s_cbranch_scc1 .LBB173_11
; %bb.7:
	v_mul_lo_u32 v8, v14, s4
	s_load_b128 s[12:15], s[0:1], 0x20
	v_dual_mov_b32 v15, 0 :: v_dual_mov_b32 v16, v14
	s_delay_alu instid0(VALU_DEP_2) | instskip(NEXT) | instid1(VALU_DEP_1)
	v_ashrrev_i32_e32 v9, 31, v8
	v_lshlrev_b64 v[12:13], 2, v[8:9]
	v_lshlrev_b64 v[10:11], 3, v[8:9]
	s_delay_alu instid0(VALU_DEP_2) | instskip(NEXT) | instid1(VALU_DEP_1)
	v_add_co_u32 v8, s0, s8, v12
	v_add_co_ci_u32_e64 v9, s0, s9, v13, s0
	s_waitcnt lgkmcnt(0)
	s_delay_alu instid0(VALU_DEP_3) | instskip(NEXT) | instid1(VALU_DEP_1)
	v_add_co_u32 v10, s0, s12, v10
	v_add_co_ci_u32_e64 v11, s0, s13, v11, s0
	v_add_co_u32 v12, s0, s14, v12
	s_delay_alu instid0(VALU_DEP_1)
	v_add_co_ci_u32_e64 v13, s0, s15, v13, s0
.LBB173_8:                              ; =>This Inner Loop Header: Depth=1
	v_cmp_gt_f32_e64 s0, v5, v4
	global_store_b32 v[12:13], v16, off
	v_add_co_u32 v12, s1, v12, 4
	s_delay_alu instid0(VALU_DEP_1) | instskip(SKIP_4) | instid1(VALU_DEP_3)
	v_add_co_ci_u32_e64 v13, s1, 0, v13, s1
	v_cndmask_b32_e64 v17, v4, v5, s0
	v_cndmask_b32_e64 v18, v0, v1, s0
	;; [unrolled: 1-line block ×3, first 2 shown]
	s_add_i32 s7, s7, 1
	v_cmp_gt_f32_e64 s1, v6, v17
	s_delay_alu instid0(VALU_DEP_1) | instskip(SKIP_2) | instid1(VALU_DEP_3)
	v_cndmask_b32_e64 v17, v17, v6, s1
	v_cndmask_b32_e64 v18, v18, v2, s1
	;; [unrolled: 1-line block ×3, first 2 shown]
	v_cmp_gt_f32_e64 s0, v7, v17
	s_delay_alu instid0(VALU_DEP_1) | instskip(NEXT) | instid1(VALU_DEP_3)
	v_cndmask_b32_e64 v17, v18, v3, s0
	v_cndmask_b32_e64 v18, v19, 3, s0
	v_add_nc_u32_e32 v16, s10, v16
	global_store_b32 v[8:9], v17, off
	v_add_f32_e32 v17, v15, v17
	v_cmp_ne_u32_e64 s2, 0, v18
	v_subrev_nc_u32_e32 v19, s5, v18
	v_cmp_le_i32_e64 s0, s5, v18
	v_cmp_gt_i32_e64 s1, s6, v18
	v_cndmask_b32_e32 v15, v15, v17, vcc_lo
	v_cndmask_b32_e64 v20, 0xc61c4000, v4, s2
	v_cmp_ne_u32_e64 s2, 1, v18
	s_delay_alu instid0(VALU_DEP_4) | instskip(NEXT) | instid1(SALU_CYCLE_1)
	s_and_b32 s0, s0, s1
	s_and_b32 s0, s11, s0
	s_delay_alu instid0(VALU_DEP_1) | instskip(SKIP_3) | instid1(VALU_DEP_2)
	v_cndmask_b32_e64 v21, 0xc61c4000, v5, s2
	v_cmp_ne_u32_e64 s2, 2, v18
	v_cndmask_b32_e64 v17, 4, v19, s0
	s_cmp_lt_i32 s7, s4
	v_cndmask_b32_e64 v22, 0xc61c4000, v6, s2
	v_cmp_ne_u32_e64 s2, 3, v18
	v_ashrrev_i32_e32 v18, 31, v19
	s_delay_alu instid0(VALU_DEP_2) | instskip(NEXT) | instid1(VALU_DEP_2)
	v_cndmask_b32_e64 v23, 0xc61c4000, v7, s2
	v_cndmask_b32_e64 v18, 0, v18, s0
	s_cselect_b32 s0, -1, 0
	v_add_co_u32 v8, s2, v8, 4
	s_delay_alu instid0(VALU_DEP_3)
	v_cndmask_b32_e64 v7, v7, v23, s0
	v_cndmask_b32_e64 v6, v6, v22, s0
	v_cndmask_b32_e64 v5, v5, v21, s0
	v_cndmask_b32_e64 v4, v4, v20, s0
	global_store_b64 v[10:11], v[17:18], off
	v_add_co_u32 v10, s0, v10, 8
	v_add_co_ci_u32_e64 v9, s2, 0, v9, s2
	v_add_co_ci_u32_e64 v11, s0, 0, v11, s0
	s_cmp_eq_u32 s4, s7
	s_cbranch_scc0 .LBB173_8
; %bb.9:
	s_and_b32 vcc_lo, exec_lo, vcc_lo
	s_cbranch_vccnz .LBB173_12
	s_branch .LBB173_15
.LBB173_10:
                                        ; implicit-def: $vgpr4_vgpr5_vgpr6_vgpr7
	s_and_not1_b32 vcc_lo, exec_lo, s12
	s_cbranch_vccz .LBB173_5
	s_branch .LBB173_6
.LBB173_11:
	v_mov_b32_e32 v15, 0
	s_and_b32 vcc_lo, exec_lo, vcc_lo
	s_cbranch_vccz .LBB173_15
.LBB173_12:
	s_and_not1_b32 vcc_lo, exec_lo, s3
	s_cbranch_vccnz .LBB173_15
; %bb.13:
	v_mul_lo_u32 v0, v14, s4
	v_cmp_lt_f32_e32 vcc_lo, 0, v15
	v_cndmask_b32_e32 v2, 1.0, v15, vcc_lo
	s_delay_alu instid0(VALU_DEP_3) | instskip(NEXT) | instid1(VALU_DEP_1)
	v_ashrrev_i32_e32 v1, 31, v0
	v_lshlrev_b64 v[0:1], 2, v[0:1]
	s_delay_alu instid0(VALU_DEP_1) | instskip(NEXT) | instid1(VALU_DEP_2)
	v_add_co_u32 v0, vcc_lo, s8, v0
	v_add_co_ci_u32_e32 v1, vcc_lo, s9, v1, vcc_lo
	.p2align	6
.LBB173_14:                             ; =>This Inner Loop Header: Depth=1
	global_load_b32 v3, v[0:1], off
	s_add_i32 s4, s4, -1
	s_delay_alu instid0(SALU_CYCLE_1) | instskip(SKIP_3) | instid1(VALU_DEP_2)
	s_cmp_lg_u32 s4, 0
	s_waitcnt vmcnt(0)
	v_div_scale_f32 v4, null, v2, v2, v3
	v_div_scale_f32 v7, vcc_lo, v3, v2, v3
	v_rcp_f32_e32 v5, v4
	s_waitcnt_depctr 0xfff
	v_fma_f32 v6, -v4, v5, 1.0
	s_delay_alu instid0(VALU_DEP_1) | instskip(NEXT) | instid1(VALU_DEP_1)
	v_fmac_f32_e32 v5, v6, v5
	v_mul_f32_e32 v6, v7, v5
	s_delay_alu instid0(VALU_DEP_1) | instskip(NEXT) | instid1(VALU_DEP_1)
	v_fma_f32 v8, -v4, v6, v7
	v_fmac_f32_e32 v6, v8, v5
	s_delay_alu instid0(VALU_DEP_1) | instskip(NEXT) | instid1(VALU_DEP_1)
	v_fma_f32 v4, -v4, v6, v7
	v_div_fmas_f32 v4, v4, v5, v6
	s_delay_alu instid0(VALU_DEP_1)
	v_div_fixup_f32 v3, v4, v2, v3
	global_store_b32 v[0:1], v3, off
	v_add_co_u32 v0, vcc_lo, v0, 4
	v_add_co_ci_u32_e32 v1, vcc_lo, 0, v1, vcc_lo
	s_cbranch_scc1 .LBB173_14
.LBB173_15:
	s_nop 0
	s_sendmsg sendmsg(MSG_DEALLOC_VGPRS)
	s_endpgm
	.section	.rodata,"a",@progbits
	.p2align	6, 0x0
	.amdhsa_kernel _ZN4vllm3moe10topkGatingILi4ELi4ELi4ELi8ELi32El14__hip_bfloat16LNS0_11ScoringFuncE0EEEvPKT5_PKbPfiPT4_PiiiibPKf
		.amdhsa_group_segment_fixed_size 0
		.amdhsa_private_segment_fixed_size 0
		.amdhsa_kernarg_size 72
		.amdhsa_user_sgpr_count 15
		.amdhsa_user_sgpr_dispatch_ptr 0
		.amdhsa_user_sgpr_queue_ptr 0
		.amdhsa_user_sgpr_kernarg_segment_ptr 1
		.amdhsa_user_sgpr_dispatch_id 0
		.amdhsa_user_sgpr_private_segment_size 0
		.amdhsa_wavefront_size32 1
		.amdhsa_uses_dynamic_stack 0
		.amdhsa_enable_private_segment 0
		.amdhsa_system_sgpr_workgroup_id_x 1
		.amdhsa_system_sgpr_workgroup_id_y 0
		.amdhsa_system_sgpr_workgroup_id_z 0
		.amdhsa_system_sgpr_workgroup_info 0
		.amdhsa_system_vgpr_workitem_id 1
		.amdhsa_next_free_vgpr 24
		.amdhsa_next_free_sgpr 16
		.amdhsa_reserve_vcc 1
		.amdhsa_float_round_mode_32 0
		.amdhsa_float_round_mode_16_64 0
		.amdhsa_float_denorm_mode_32 3
		.amdhsa_float_denorm_mode_16_64 3
		.amdhsa_dx10_clamp 1
		.amdhsa_ieee_mode 1
		.amdhsa_fp16_overflow 0
		.amdhsa_workgroup_processor_mode 1
		.amdhsa_memory_ordered 1
		.amdhsa_forward_progress 0
		.amdhsa_shared_vgpr_count 0
		.amdhsa_exception_fp_ieee_invalid_op 0
		.amdhsa_exception_fp_denorm_src 0
		.amdhsa_exception_fp_ieee_div_zero 0
		.amdhsa_exception_fp_ieee_overflow 0
		.amdhsa_exception_fp_ieee_underflow 0
		.amdhsa_exception_fp_ieee_inexact 0
		.amdhsa_exception_int_div_zero 0
	.end_amdhsa_kernel
	.section	.text._ZN4vllm3moe10topkGatingILi4ELi4ELi4ELi8ELi32El14__hip_bfloat16LNS0_11ScoringFuncE0EEEvPKT5_PKbPfiPT4_PiiiibPKf,"axG",@progbits,_ZN4vllm3moe10topkGatingILi4ELi4ELi4ELi8ELi32El14__hip_bfloat16LNS0_11ScoringFuncE0EEEvPKT5_PKbPfiPT4_PiiiibPKf,comdat
.Lfunc_end173:
	.size	_ZN4vllm3moe10topkGatingILi4ELi4ELi4ELi8ELi32El14__hip_bfloat16LNS0_11ScoringFuncE0EEEvPKT5_PKbPfiPT4_PiiiibPKf, .Lfunc_end173-_ZN4vllm3moe10topkGatingILi4ELi4ELi4ELi8ELi32El14__hip_bfloat16LNS0_11ScoringFuncE0EEEvPKT5_PKbPfiPT4_PiiiibPKf
                                        ; -- End function
	.section	.AMDGPU.csdata,"",@progbits
; Kernel info:
; codeLenInByte = 1720
; NumSgprs: 18
; NumVgprs: 24
; ScratchSize: 0
; MemoryBound: 0
; FloatMode: 240
; IeeeMode: 1
; LDSByteSize: 0 bytes/workgroup (compile time only)
; SGPRBlocks: 2
; VGPRBlocks: 2
; NumSGPRsForWavesPerEU: 18
; NumVGPRsForWavesPerEU: 24
; Occupancy: 16
; WaveLimiterHint : 0
; COMPUTE_PGM_RSRC2:SCRATCH_EN: 0
; COMPUTE_PGM_RSRC2:USER_SGPR: 15
; COMPUTE_PGM_RSRC2:TRAP_HANDLER: 0
; COMPUTE_PGM_RSRC2:TGID_X_EN: 1
; COMPUTE_PGM_RSRC2:TGID_Y_EN: 0
; COMPUTE_PGM_RSRC2:TGID_Z_EN: 0
; COMPUTE_PGM_RSRC2:TIDIG_COMP_CNT: 1
	.section	.text._ZN4vllm3moe10topkGatingILi8ELi8ELi4ELi16ELi64El14__hip_bfloat16LNS0_11ScoringFuncE0EEEvPKT5_PKbPfiPT4_PiiiibPKf,"axG",@progbits,_ZN4vllm3moe10topkGatingILi8ELi8ELi4ELi16ELi64El14__hip_bfloat16LNS0_11ScoringFuncE0EEEvPKT5_PKbPfiPT4_PiiiibPKf,comdat
	.protected	_ZN4vllm3moe10topkGatingILi8ELi8ELi4ELi16ELi64El14__hip_bfloat16LNS0_11ScoringFuncE0EEEvPKT5_PKbPfiPT4_PiiiibPKf ; -- Begin function _ZN4vllm3moe10topkGatingILi8ELi8ELi4ELi16ELi64El14__hip_bfloat16LNS0_11ScoringFuncE0EEEvPKT5_PKbPfiPT4_PiiiibPKf
	.globl	_ZN4vllm3moe10topkGatingILi8ELi8ELi4ELi16ELi64El14__hip_bfloat16LNS0_11ScoringFuncE0EEEvPKT5_PKbPfiPT4_PiiiibPKf
	.p2align	8
	.type	_ZN4vllm3moe10topkGatingILi8ELi8ELi4ELi16ELi64El14__hip_bfloat16LNS0_11ScoringFuncE0EEEvPKT5_PKbPfiPT4_PiiiibPKf,@function
_ZN4vllm3moe10topkGatingILi8ELi8ELi4ELi16ELi64El14__hip_bfloat16LNS0_11ScoringFuncE0EEEvPKT5_PKbPfiPT4_PiiiibPKf: ; @_ZN4vllm3moe10topkGatingILi8ELi8ELi4ELi16ELi64El14__hip_bfloat16LNS0_11ScoringFuncE0EEEvPKT5_PKbPfiPT4_PiiiibPKf
; %bb.0:
	s_load_b32 s14, s[0:1], 0x18
	v_bfe_u32 v1, v0, 10, 10
	v_and_b32_e32 v0, 0x3ff, v0
	s_lshl_b32 s2, s15, 8
	s_delay_alu instid0(VALU_DEP_2) | instskip(NEXT) | instid1(VALU_DEP_1)
	v_lshlrev_b32_e32 v1, 6, v1
	v_add3_u32 v16, v1, v0, s2
	s_mov_b32 s2, exec_lo
	s_waitcnt lgkmcnt(0)
	s_delay_alu instid0(VALU_DEP_1)
	v_cmpx_gt_i32_e64 s14, v16
	s_cbranch_execz .LBB174_15
; %bb.1:
	s_clause 0x1
	s_load_b128 s[4:7], s[0:1], 0x0
	s_load_b64 s[12:13], s[0:1], 0x10
	s_mov_b32 s8, -1
	s_mov_b32 s15, -1
	s_waitcnt lgkmcnt(0)
	s_cmp_eq_u64 s[6:7], 0
	s_cbranch_scc1 .LBB174_3
; %bb.2:
	v_ashrrev_i32_e32 v1, 31, v16
	v_add_co_u32 v0, vcc_lo, s6, v16
	s_delay_alu instid0(VALU_DEP_2) | instskip(SKIP_3) | instid1(VALU_DEP_1)
	v_add_co_ci_u32_e32 v1, vcc_lo, s7, v1, vcc_lo
	global_load_u8 v0, v[0:1], off
	s_waitcnt vmcnt(0)
	v_and_b32_e32 v0, 1, v0
	v_cmp_eq_u32_e32 vcc_lo, 1, v0
	s_xor_b32 s2, vcc_lo, -1
	s_delay_alu instid0(SALU_CYCLE_1)
	s_or_not1_b32 s15, s2, exec_lo
.LBB174_3:
	v_lshlrev_b32_e32 v0, 3, v16
	s_load_b64 s[2:3], s[0:1], 0x40
	s_delay_alu instid0(VALU_DEP_1) | instskip(NEXT) | instid1(VALU_DEP_1)
	v_ashrrev_i32_e32 v1, 31, v0
	v_lshlrev_b64 v[0:1], 1, v[0:1]
	s_delay_alu instid0(VALU_DEP_1) | instskip(NEXT) | instid1(VALU_DEP_2)
	v_add_co_u32 v0, vcc_lo, s4, v0
	v_add_co_ci_u32_e32 v1, vcc_lo, s5, v1, vcc_lo
	s_waitcnt lgkmcnt(0)
	s_cmp_eq_u64 s[2:3], 0
	global_load_b128 v[0:3], v[0:1], off
	s_waitcnt vmcnt(0)
	v_lshlrev_b32_e32 v7, 16, v1
	v_and_b32_e32 v4, 0xffff0000, v0
	v_and_b32_e32 v1, 0xffff0000, v1
	v_lshlrev_b32_e32 v0, 16, v0
	v_lshlrev_b32_e32 v8, 16, v3
	v_and_b32_e32 v3, 0xffff0000, v3
	v_max_f32_e32 v5, v4, v4
	s_delay_alu instid0(VALU_DEP_4) | instskip(NEXT) | instid1(VALU_DEP_1)
	v_max_f32_e32 v6, v0, v0
	v_dual_max_f32 v5, v6, v5 :: v_dual_lshlrev_b32 v6, 16, v2
	v_and_b32_e32 v2, 0xffff0000, v2
	s_delay_alu instid0(VALU_DEP_2) | instskip(NEXT) | instid1(VALU_DEP_1)
	v_max3_f32 v5, v5, v7, v1
	v_max3_f32 v5, v5, v6, v2
	s_delay_alu instid0(VALU_DEP_1) | instskip(NEXT) | instid1(VALU_DEP_1)
	v_max3_f32 v5, v5, v8, v3
	v_sub_f32_e32 v3, v3, v5
	v_sub_f32_e32 v6, v6, v5
	;; [unrolled: 1-line block ×3, first 2 shown]
	s_delay_alu instid0(VALU_DEP_3) | instskip(NEXT) | instid1(VALU_DEP_3)
	v_dual_sub_f32 v8, v8, v5 :: v_dual_mul_f32 v15, 0x3fb8aa3b, v3
	v_dual_mul_f32 v12, 0x3fb8aa3b, v6 :: v_dual_sub_f32 v7, v7, v5
	s_delay_alu instid0(VALU_DEP_3) | instskip(NEXT) | instid1(VALU_DEP_3)
	v_dual_sub_f32 v4, v4, v5 :: v_dual_mul_f32 v13, 0x3fb8aa3b, v2
	v_rndne_f32_e32 v32, v15
	s_delay_alu instid0(VALU_DEP_3) | instskip(NEXT) | instid1(VALU_DEP_4)
	v_fma_f32 v25, 0x3fb8aa3b, v6, -v12
	v_mul_f32_e32 v10, 0x3fb8aa3b, v7
	v_rndne_f32_e32 v26, v12
	v_rndne_f32_e32 v28, v13
	v_fma_f32 v31, 0x3fb8aa3b, v3, -v15
	v_mul_f32_e32 v9, 0x3fb8aa3b, v4
	v_rndne_f32_e32 v22, v10
	v_fma_f32 v21, 0x3fb8aa3b, v7, -v10
	v_sub_f32_e32 v12, v12, v26
	v_cvt_i32_f32_e32 v26, v26
	v_fma_f32 v19, 0x3fb8aa3b, v4, -v9
	v_dual_sub_f32 v10, v10, v22 :: v_dual_sub_f32 v1, v1, v5
	v_sub_f32_e32 v0, v0, v5
	v_rndne_f32_e32 v20, v9
	s_delay_alu instid0(VALU_DEP_4)
	v_fmac_f32_e32 v19, 0x32a5705f, v4
	v_cvt_i32_f32_e32 v22, v22
	v_mul_f32_e32 v11, 0x3fb8aa3b, v1
	v_mul_f32_e32 v5, 0x3fb8aa3b, v0
	v_cmp_ngt_f32_e32 vcc_lo, 0xc2ce8ed0, v0
	v_fmac_f32_e32 v31, 0x32a5705f, v3
	s_delay_alu instid0(VALU_DEP_4) | instskip(NEXT) | instid1(VALU_DEP_4)
	v_rndne_f32_e32 v24, v11
	v_fma_f32 v17, 0x3fb8aa3b, v0, -v5
	v_rndne_f32_e32 v18, v5
	v_fma_f32 v23, 0x3fb8aa3b, v1, -v11
	s_delay_alu instid0(VALU_DEP_3) | instskip(NEXT) | instid1(VALU_DEP_3)
	v_fmac_f32_e32 v17, 0x32a5705f, v0
	v_dual_sub_f32 v5, v5, v18 :: v_dual_mul_f32 v14, 0x3fb8aa3b, v8
	v_cvt_i32_f32_e32 v18, v18
	v_fma_f32 v27, 0x3fb8aa3b, v2, -v13
	s_delay_alu instid0(VALU_DEP_3) | instskip(NEXT) | instid1(VALU_DEP_4)
	v_add_f32_e32 v5, v5, v17
	v_fma_f32 v29, 0x3fb8aa3b, v8, -v14
	v_rndne_f32_e32 v30, v14
	v_sub_f32_e32 v9, v9, v20
	v_cvt_i32_f32_e32 v20, v20
	v_exp_f32_e32 v5, v5
	s_delay_alu instid0(VALU_DEP_3)
	v_dual_fmac_f32 v29, 0x32a5705f, v8 :: v_dual_sub_f32 v14, v14, v30
	v_fmac_f32_e32 v25, 0x32a5705f, v6
	v_add_f32_e32 v9, v9, v19
	v_cvt_i32_f32_e32 v17, v30
	v_cvt_i32_f32_e32 v19, v32
	v_dual_add_f32 v14, v14, v29 :: v_dual_fmac_f32 v21, 0x32a5705f, v7
	v_dual_add_f32 v12, v12, v25 :: v_dual_sub_f32 v11, v11, v24
	v_exp_f32_e32 v9, v9
	s_delay_alu instid0(TRANS32_DEP_2) | instskip(NEXT) | instid1(VALU_DEP_3)
	v_ldexp_f32 v5, v5, v18
	v_add_f32_e32 v10, v10, v21
	v_cvt_i32_f32_e32 v24, v24
	v_exp_f32_e32 v12, v12
	v_exp_f32_e32 v14, v14
	v_cndmask_b32_e32 v5, 0, v5, vcc_lo
	v_exp_f32_e32 v10, v10
	v_cmp_ngt_f32_e32 vcc_lo, 0xc2ce8ed0, v4
	v_ldexp_f32 v9, v9, v20
	s_delay_alu instid0(TRANS32_DEP_3) | instskip(NEXT) | instid1(VALU_DEP_2)
	v_ldexp_f32 v12, v12, v26
	v_cndmask_b32_e32 v9, 0, v9, vcc_lo
	v_cmp_ngt_f32_e32 vcc_lo, 0xc2ce8ed0, v7
	s_waitcnt_depctr 0xfff
	v_ldexp_f32 v10, v10, v22
	v_fmac_f32_e32 v23, 0x32a5705f, v1
	v_ldexp_f32 v14, v14, v17
	s_delay_alu instid0(VALU_DEP_2) | instskip(SKIP_3) | instid1(VALU_DEP_4)
	v_dual_cndmask_b32 v10, 0, v10 :: v_dual_add_f32 v11, v11, v23
	v_cmp_nlt_f32_e32 vcc_lo, 0x42b17218, v0
	v_sub_f32_e32 v13, v13, v28
	v_cvt_i32_f32_e32 v28, v28
	v_exp_f32_e32 v11, v11
	v_cndmask_b32_e32 v0, 0x7f800000, v5, vcc_lo
	v_cmp_nlt_f32_e32 vcc_lo, 0x42b17218, v4
	v_dual_sub_f32 v15, v15, v32 :: v_dual_cndmask_b32 v4, 0x7f800000, v9
	v_cmp_ngt_f32_e32 vcc_lo, 0xc2ce8ed0, v1
	s_delay_alu instid0(VALU_DEP_2) | instskip(SKIP_4) | instid1(VALU_DEP_2)
	v_add_f32_e32 v15, v15, v31
	s_waitcnt_depctr 0xfff
	v_ldexp_f32 v11, v11, v24
	v_add_f32_e32 v9, v0, v4
	v_exp_f32_e32 v15, v15
	v_cndmask_b32_e32 v5, 0, v11, vcc_lo
	v_cmp_nlt_f32_e32 vcc_lo, 0x42b17218, v7
	v_cndmask_b32_e32 v7, 0x7f800000, v10, vcc_lo
	v_cmp_ngt_f32_e32 vcc_lo, 0xc2ce8ed0, v6
	v_fmac_f32_e32 v27, 0x32a5705f, v2
	s_waitcnt_depctr 0xfff
	v_ldexp_f32 v15, v15, v19
	v_dual_cndmask_b32 v10, 0, v12 :: v_dual_add_f32 v13, v13, v27
	v_cmp_nlt_f32_e32 vcc_lo, 0x42b17218, v1
	s_delay_alu instid0(VALU_DEP_2) | instskip(SKIP_3) | instid1(VALU_DEP_1)
	v_exp_f32_e32 v13, v13
	v_cndmask_b32_e32 v1, 0x7f800000, v5, vcc_lo
	v_cmp_ngt_f32_e32 vcc_lo, 0xc2ce8ed0, v2
	v_add_f32_e32 v5, v9, v7
	v_add_f32_e32 v5, v5, v1
	s_waitcnt_depctr 0xfff
	v_ldexp_f32 v13, v13, v28
	s_delay_alu instid0(VALU_DEP_1) | instskip(SKIP_3) | instid1(VALU_DEP_2)
	v_cndmask_b32_e32 v9, 0, v13, vcc_lo
	v_cmp_nlt_f32_e32 vcc_lo, 0x42b17218, v6
	v_cndmask_b32_e32 v6, 0x7f800000, v10, vcc_lo
	v_cmp_ngt_f32_e32 vcc_lo, 0xc2ce8ed0, v8
	v_add_f32_e32 v5, v5, v6
	v_cndmask_b32_e32 v10, 0, v14, vcc_lo
	v_cmp_nlt_f32_e32 vcc_lo, 0x42b17218, v2
	v_cndmask_b32_e32 v2, 0x7f800000, v9, vcc_lo
	v_cmp_ngt_f32_e32 vcc_lo, 0xc2ce8ed0, v3
	s_delay_alu instid0(VALU_DEP_2) | instskip(SKIP_4) | instid1(VALU_DEP_2)
	v_add_f32_e32 v5, v5, v2
	v_cndmask_b32_e32 v9, 0, v15, vcc_lo
	v_cmp_nlt_f32_e32 vcc_lo, 0x42b17218, v8
	v_cndmask_b32_e32 v8, 0x7f800000, v10, vcc_lo
	v_cmp_nlt_f32_e32 vcc_lo, 0x42b17218, v3
	v_add_f32_e32 v5, v5, v8
	v_cndmask_b32_e32 v3, 0x7f800000, v9, vcc_lo
	s_delay_alu instid0(VALU_DEP_1) | instskip(NEXT) | instid1(VALU_DEP_1)
	v_add_f32_e32 v5, v5, v3
	v_div_scale_f32 v9, null, v5, v5, 1.0
	v_div_scale_f32 v12, vcc_lo, 1.0, v5, 1.0
	s_delay_alu instid0(VALU_DEP_2) | instskip(SKIP_2) | instid1(VALU_DEP_1)
	v_rcp_f32_e32 v10, v9
	s_waitcnt_depctr 0xfff
	v_fma_f32 v11, -v9, v10, 1.0
	v_fmac_f32_e32 v10, v11, v10
	s_delay_alu instid0(VALU_DEP_1) | instskip(NEXT) | instid1(VALU_DEP_1)
	v_mul_f32_e32 v11, v12, v10
	v_fma_f32 v13, -v9, v11, v12
	s_delay_alu instid0(VALU_DEP_1) | instskip(NEXT) | instid1(VALU_DEP_1)
	v_fmac_f32_e32 v11, v13, v10
	v_fma_f32 v9, -v9, v11, v12
	s_delay_alu instid0(VALU_DEP_1) | instskip(NEXT) | instid1(VALU_DEP_1)
	v_div_fmas_f32 v9, v9, v10, v11
	v_div_fixup_f32 v5, v9, v5, 1.0
	s_delay_alu instid0(VALU_DEP_1)
	v_mul_f32_e32 v0, v5, v0
	v_mul_f32_e32 v4, v5, v4
	;; [unrolled: 1-line block ×5, first 2 shown]
	v_cmp_class_f32_e64 vcc_lo, v0, 0x1f8
	v_mul_f32_e32 v9, v5, v1
	v_mul_f32_e32 v6, v5, v6
	v_dual_mul_f32 v11, v5, v3 :: v_dual_cndmask_b32 v0, 0, v0
	v_cmp_class_f32_e64 vcc_lo, v4, 0x1f8
	v_cndmask_b32_e32 v1, 0, v4, vcc_lo
	v_cmp_class_f32_e64 vcc_lo, v7, 0x1f8
	v_cndmask_b32_e32 v2, 0, v7, vcc_lo
	;; [unrolled: 2-line block ×7, first 2 shown]
	s_cbranch_scc1 .LBB174_10
; %bb.4:
	s_load_b256 s[4:11], s[2:3], 0x0
	s_waitcnt lgkmcnt(0)
	v_dual_add_f32 v8, s4, v0 :: v_dual_add_f32 v9, s5, v1
	v_dual_add_f32 v10, s6, v2 :: v_dual_add_f32 v11, s7, v3
	;; [unrolled: 1-line block ×4, first 2 shown]
	s_cbranch_execnz .LBB174_6
.LBB174_5:
	v_dual_mov_b32 v15, v7 :: v_dual_mov_b32 v14, v6
	v_dual_mov_b32 v13, v5 :: v_dual_mov_b32 v12, v4
	;; [unrolled: 1-line block ×4, first 2 shown]
.LBB174_6:
	s_load_b128 s[4:7], s[0:1], 0x30
	s_waitcnt lgkmcnt(0)
	s_bitcmp1_b32 s7, 0
	s_mov_b32 s7, 0
	s_cselect_b32 vcc_lo, -1, 0
	s_cmp_gt_i32 s4, 0
	s_cselect_b32 s3, -1, 0
	s_cmp_lt_i32 s4, 1
	s_cbranch_scc1 .LBB174_11
; %bb.7:
	s_load_b128 s[8:11], s[0:1], 0x20
	v_mul_lo_u32 v18, v16, s4
	v_mov_b32_e32 v17, 0
	v_mov_b32_e32 v19, v16
.LBB174_8:                              ; =>This Inner Loop Header: Depth=1
	s_delay_alu instid0(VALU_DEP_1) | instskip(NEXT) | instid1(VALU_DEP_1)
	v_cmp_gt_f32_e64 s0, v9, v8
	v_cndmask_b32_e64 v20, v8, v9, s0
	v_cndmask_b32_e64 v21, v0, v1, s0
	;; [unrolled: 1-line block ×3, first 2 shown]
	s_delay_alu instid0(VALU_DEP_3) | instskip(NEXT) | instid1(VALU_DEP_1)
	v_cmp_gt_f32_e64 s1, v10, v20
	v_cndmask_b32_e64 v20, v20, v10, s1
	s_delay_alu instid0(VALU_DEP_4) | instskip(NEXT) | instid1(VALU_DEP_4)
	v_cndmask_b32_e64 v21, v21, v2, s1
	v_cndmask_b32_e64 v22, v22, 2, s1
	s_delay_alu instid0(VALU_DEP_3) | instskip(NEXT) | instid1(VALU_DEP_1)
	v_cmp_gt_f32_e64 s0, v11, v20
	v_cndmask_b32_e64 v20, v20, v11, s0
	s_delay_alu instid0(VALU_DEP_4) | instskip(NEXT) | instid1(VALU_DEP_4)
	v_cndmask_b32_e64 v21, v21, v3, s0
	v_cndmask_b32_e64 v22, v22, 3, s0
	;; [unrolled: 6-line block ×4, first 2 shown]
	s_delay_alu instid0(VALU_DEP_3) | instskip(NEXT) | instid1(VALU_DEP_1)
	v_cmp_gt_f32_e64 s1, v14, v20
	v_cndmask_b32_e64 v23, v20, v14, s1
	v_add_nc_u32_e32 v20, s7, v18
	v_cndmask_b32_e64 v24, v21, v6, s1
	v_cndmask_b32_e64 v22, v22, 6, s1
	s_add_i32 s7, s7, 1
	v_cmp_gt_f32_e64 s0, v15, v23
	v_ashrrev_i32_e32 v21, 31, v20
	s_delay_alu instid0(VALU_DEP_2) | instskip(NEXT) | instid1(VALU_DEP_2)
	v_cndmask_b32_e64 v29, v22, 7, s0
	v_lshlrev_b64 v[22:23], 2, v[20:21]
	v_cndmask_b32_e64 v28, v24, v7, s0
	v_lshlrev_b64 v[20:21], 3, v[20:21]
	s_delay_alu instid0(VALU_DEP_4) | instskip(SKIP_2) | instid1(VALU_DEP_1)
	v_subrev_nc_u32_e32 v26, s5, v29
	v_cmp_gt_i32_e64 s1, s6, v29
	v_add_co_u32 v24, s0, s12, v22
	v_add_co_ci_u32_e64 v25, s0, s13, v23, s0
	v_cmp_le_i32_e64 s0, s5, v29
	v_ashrrev_i32_e32 v27, 31, v26
	s_waitcnt lgkmcnt(0)
	v_add_co_u32 v22, s2, s10, v22
	s_delay_alu instid0(VALU_DEP_1)
	v_add_co_ci_u32_e64 v23, s2, s11, v23, s2
	s_and_b32 s0, s0, s1
	v_add_f32_e32 v30, v17, v28
	s_and_b32 s0, s15, s0
	global_store_b32 v[22:23], v19, off
	v_add_nc_u32_e32 v19, s14, v19
	v_cndmask_b32_e64 v27, 0, v27, s0
	v_cndmask_b32_e64 v26, 8, v26, s0
	v_add_co_u32 v20, s0, s8, v20
	s_delay_alu instid0(VALU_DEP_1)
	v_add_co_ci_u32_e64 v21, s0, s9, v21, s0
	v_cmp_ne_u32_e64 s0, 0, v29
	v_cndmask_b32_e32 v17, v17, v30, vcc_lo
	s_cmp_lt_i32 s7, s4
	global_store_b32 v[24:25], v28, off
	global_store_b64 v[20:21], v[26:27], off
	v_cndmask_b32_e64 v22, 0xc61c4000, v8, s0
	v_cmp_ne_u32_e64 s0, 1, v29
	s_delay_alu instid0(VALU_DEP_1) | instskip(SKIP_1) | instid1(VALU_DEP_1)
	v_cndmask_b32_e64 v23, 0xc61c4000, v9, s0
	v_cmp_ne_u32_e64 s0, 2, v29
	v_cndmask_b32_e64 v30, 0xc61c4000, v10, s0
	v_cmp_ne_u32_e64 s0, 3, v29
	s_delay_alu instid0(VALU_DEP_1) | instskip(SKIP_1) | instid1(VALU_DEP_1)
	v_cndmask_b32_e64 v31, 0xc61c4000, v11, s0
	v_cmp_ne_u32_e64 s0, 5, v29
	;; [unrolled: 5-line block ×3, first 2 shown]
	v_cndmask_b32_e64 v34, 0xc61c4000, v14, s0
	v_cmp_ne_u32_e64 s0, 4, v29
	s_delay_alu instid0(VALU_DEP_1)
	v_cndmask_b32_e64 v29, 0xc61c4000, v12, s0
	s_cselect_b32 s0, -1, 0
	s_cmp_eq_u32 s4, s7
	v_cndmask_b32_e64 v15, v15, v33, s0
	v_cndmask_b32_e64 v14, v14, v34, s0
	;; [unrolled: 1-line block ×8, first 2 shown]
	s_cbranch_scc0 .LBB174_8
; %bb.9:
	s_and_b32 vcc_lo, exec_lo, vcc_lo
	s_cbranch_vccnz .LBB174_12
	s_branch .LBB174_15
.LBB174_10:
                                        ; implicit-def: $vgpr8_vgpr9_vgpr10_vgpr11_vgpr12_vgpr13_vgpr14_vgpr15
	s_and_not1_b32 vcc_lo, exec_lo, s8
	s_cbranch_vccz .LBB174_5
	s_branch .LBB174_6
.LBB174_11:
	v_mov_b32_e32 v17, 0
	s_and_b32 vcc_lo, exec_lo, vcc_lo
	s_cbranch_vccz .LBB174_15
.LBB174_12:
	s_and_not1_b32 vcc_lo, exec_lo, s3
	s_cbranch_vccnz .LBB174_15
; %bb.13:
	v_mul_lo_u32 v0, v16, s4
	v_cmp_lt_f32_e32 vcc_lo, 0, v17
	v_cndmask_b32_e32 v2, 1.0, v17, vcc_lo
	s_delay_alu instid0(VALU_DEP_3) | instskip(NEXT) | instid1(VALU_DEP_1)
	v_ashrrev_i32_e32 v1, 31, v0
	v_lshlrev_b64 v[0:1], 2, v[0:1]
	s_delay_alu instid0(VALU_DEP_1) | instskip(NEXT) | instid1(VALU_DEP_2)
	v_add_co_u32 v0, vcc_lo, s12, v0
	v_add_co_ci_u32_e32 v1, vcc_lo, s13, v1, vcc_lo
	.p2align	6
.LBB174_14:                             ; =>This Inner Loop Header: Depth=1
	global_load_b32 v3, v[0:1], off
	s_add_i32 s4, s4, -1
	s_delay_alu instid0(SALU_CYCLE_1) | instskip(SKIP_3) | instid1(VALU_DEP_2)
	s_cmp_lg_u32 s4, 0
	s_waitcnt vmcnt(0)
	v_div_scale_f32 v4, null, v2, v2, v3
	v_div_scale_f32 v7, vcc_lo, v3, v2, v3
	v_rcp_f32_e32 v5, v4
	s_waitcnt_depctr 0xfff
	v_fma_f32 v6, -v4, v5, 1.0
	s_delay_alu instid0(VALU_DEP_1) | instskip(NEXT) | instid1(VALU_DEP_1)
	v_fmac_f32_e32 v5, v6, v5
	v_mul_f32_e32 v6, v7, v5
	s_delay_alu instid0(VALU_DEP_1) | instskip(NEXT) | instid1(VALU_DEP_1)
	v_fma_f32 v8, -v4, v6, v7
	v_fmac_f32_e32 v6, v8, v5
	s_delay_alu instid0(VALU_DEP_1) | instskip(NEXT) | instid1(VALU_DEP_1)
	v_fma_f32 v4, -v4, v6, v7
	v_div_fmas_f32 v4, v4, v5, v6
	s_delay_alu instid0(VALU_DEP_1)
	v_div_fixup_f32 v3, v4, v2, v3
	global_store_b32 v[0:1], v3, off
	v_add_co_u32 v0, vcc_lo, v0, 4
	v_add_co_ci_u32_e32 v1, vcc_lo, 0, v1, vcc_lo
	s_cbranch_scc1 .LBB174_14
.LBB174_15:
	s_nop 0
	s_sendmsg sendmsg(MSG_DEALLOC_VGPRS)
	s_endpgm
	.section	.rodata,"a",@progbits
	.p2align	6, 0x0
	.amdhsa_kernel _ZN4vllm3moe10topkGatingILi8ELi8ELi4ELi16ELi64El14__hip_bfloat16LNS0_11ScoringFuncE0EEEvPKT5_PKbPfiPT4_PiiiibPKf
		.amdhsa_group_segment_fixed_size 0
		.amdhsa_private_segment_fixed_size 0
		.amdhsa_kernarg_size 72
		.amdhsa_user_sgpr_count 15
		.amdhsa_user_sgpr_dispatch_ptr 0
		.amdhsa_user_sgpr_queue_ptr 0
		.amdhsa_user_sgpr_kernarg_segment_ptr 1
		.amdhsa_user_sgpr_dispatch_id 0
		.amdhsa_user_sgpr_private_segment_size 0
		.amdhsa_wavefront_size32 1
		.amdhsa_uses_dynamic_stack 0
		.amdhsa_enable_private_segment 0
		.amdhsa_system_sgpr_workgroup_id_x 1
		.amdhsa_system_sgpr_workgroup_id_y 0
		.amdhsa_system_sgpr_workgroup_id_z 0
		.amdhsa_system_sgpr_workgroup_info 0
		.amdhsa_system_vgpr_workitem_id 1
		.amdhsa_next_free_vgpr 35
		.amdhsa_next_free_sgpr 16
		.amdhsa_reserve_vcc 1
		.amdhsa_float_round_mode_32 0
		.amdhsa_float_round_mode_16_64 0
		.amdhsa_float_denorm_mode_32 3
		.amdhsa_float_denorm_mode_16_64 3
		.amdhsa_dx10_clamp 1
		.amdhsa_ieee_mode 1
		.amdhsa_fp16_overflow 0
		.amdhsa_workgroup_processor_mode 1
		.amdhsa_memory_ordered 1
		.amdhsa_forward_progress 0
		.amdhsa_shared_vgpr_count 0
		.amdhsa_exception_fp_ieee_invalid_op 0
		.amdhsa_exception_fp_denorm_src 0
		.amdhsa_exception_fp_ieee_div_zero 0
		.amdhsa_exception_fp_ieee_overflow 0
		.amdhsa_exception_fp_ieee_underflow 0
		.amdhsa_exception_fp_ieee_inexact 0
		.amdhsa_exception_int_div_zero 0
	.end_amdhsa_kernel
	.section	.text._ZN4vllm3moe10topkGatingILi8ELi8ELi4ELi16ELi64El14__hip_bfloat16LNS0_11ScoringFuncE0EEEvPKT5_PKbPfiPT4_PiiiibPKf,"axG",@progbits,_ZN4vllm3moe10topkGatingILi8ELi8ELi4ELi16ELi64El14__hip_bfloat16LNS0_11ScoringFuncE0EEEvPKT5_PKbPfiPT4_PiiiibPKf,comdat
.Lfunc_end174:
	.size	_ZN4vllm3moe10topkGatingILi8ELi8ELi4ELi16ELi64El14__hip_bfloat16LNS0_11ScoringFuncE0EEEvPKT5_PKbPfiPT4_PiiiibPKf, .Lfunc_end174-_ZN4vllm3moe10topkGatingILi8ELi8ELi4ELi16ELi64El14__hip_bfloat16LNS0_11ScoringFuncE0EEEvPKT5_PKbPfiPT4_PiiiibPKf
                                        ; -- End function
	.section	.AMDGPU.csdata,"",@progbits
; Kernel info:
; codeLenInByte = 2472
; NumSgprs: 18
; NumVgprs: 35
; ScratchSize: 0
; MemoryBound: 0
; FloatMode: 240
; IeeeMode: 1
; LDSByteSize: 0 bytes/workgroup (compile time only)
; SGPRBlocks: 2
; VGPRBlocks: 4
; NumSGPRsForWavesPerEU: 18
; NumVGPRsForWavesPerEU: 35
; Occupancy: 16
; WaveLimiterHint : 0
; COMPUTE_PGM_RSRC2:SCRATCH_EN: 0
; COMPUTE_PGM_RSRC2:USER_SGPR: 15
; COMPUTE_PGM_RSRC2:TRAP_HANDLER: 0
; COMPUTE_PGM_RSRC2:TGID_X_EN: 1
; COMPUTE_PGM_RSRC2:TGID_Y_EN: 0
; COMPUTE_PGM_RSRC2:TGID_Z_EN: 0
; COMPUTE_PGM_RSRC2:TIDIG_COMP_CNT: 1
	.section	.text._ZN4vllm3moe10topkGatingILi8ELi8ELi4ELi16ELi32El14__hip_bfloat16LNS0_11ScoringFuncE0EEEvPKT5_PKbPfiPT4_PiiiibPKf,"axG",@progbits,_ZN4vllm3moe10topkGatingILi8ELi8ELi4ELi16ELi32El14__hip_bfloat16LNS0_11ScoringFuncE0EEEvPKT5_PKbPfiPT4_PiiiibPKf,comdat
	.protected	_ZN4vllm3moe10topkGatingILi8ELi8ELi4ELi16ELi32El14__hip_bfloat16LNS0_11ScoringFuncE0EEEvPKT5_PKbPfiPT4_PiiiibPKf ; -- Begin function _ZN4vllm3moe10topkGatingILi8ELi8ELi4ELi16ELi32El14__hip_bfloat16LNS0_11ScoringFuncE0EEEvPKT5_PKbPfiPT4_PiiiibPKf
	.globl	_ZN4vllm3moe10topkGatingILi8ELi8ELi4ELi16ELi32El14__hip_bfloat16LNS0_11ScoringFuncE0EEEvPKT5_PKbPfiPT4_PiiiibPKf
	.p2align	8
	.type	_ZN4vllm3moe10topkGatingILi8ELi8ELi4ELi16ELi32El14__hip_bfloat16LNS0_11ScoringFuncE0EEEvPKT5_PKbPfiPT4_PiiiibPKf,@function
_ZN4vllm3moe10topkGatingILi8ELi8ELi4ELi16ELi32El14__hip_bfloat16LNS0_11ScoringFuncE0EEEvPKT5_PKbPfiPT4_PiiiibPKf: ; @_ZN4vllm3moe10topkGatingILi8ELi8ELi4ELi16ELi32El14__hip_bfloat16LNS0_11ScoringFuncE0EEEvPKT5_PKbPfiPT4_PiiiibPKf
; %bb.0:
	s_load_b32 s14, s[0:1], 0x18
	v_bfe_u32 v1, v0, 10, 10
	v_and_b32_e32 v0, 0x3ff, v0
	s_lshl_b32 s2, s15, 7
	s_delay_alu instid0(VALU_DEP_2) | instskip(NEXT) | instid1(VALU_DEP_1)
	v_lshlrev_b32_e32 v1, 5, v1
	v_add3_u32 v16, v1, v0, s2
	s_mov_b32 s2, exec_lo
	s_waitcnt lgkmcnt(0)
	s_delay_alu instid0(VALU_DEP_1)
	v_cmpx_gt_i32_e64 s14, v16
	s_cbranch_execz .LBB175_15
; %bb.1:
	s_clause 0x1
	s_load_b128 s[4:7], s[0:1], 0x0
	s_load_b64 s[12:13], s[0:1], 0x10
	s_mov_b32 s8, -1
	s_mov_b32 s15, -1
	s_waitcnt lgkmcnt(0)
	s_cmp_eq_u64 s[6:7], 0
	s_cbranch_scc1 .LBB175_3
; %bb.2:
	v_ashrrev_i32_e32 v1, 31, v16
	v_add_co_u32 v0, vcc_lo, s6, v16
	s_delay_alu instid0(VALU_DEP_2) | instskip(SKIP_3) | instid1(VALU_DEP_1)
	v_add_co_ci_u32_e32 v1, vcc_lo, s7, v1, vcc_lo
	global_load_u8 v0, v[0:1], off
	s_waitcnt vmcnt(0)
	v_and_b32_e32 v0, 1, v0
	v_cmp_eq_u32_e32 vcc_lo, 1, v0
	s_xor_b32 s2, vcc_lo, -1
	s_delay_alu instid0(SALU_CYCLE_1)
	s_or_not1_b32 s15, s2, exec_lo
.LBB175_3:
	v_lshlrev_b32_e32 v0, 3, v16
	s_load_b64 s[2:3], s[0:1], 0x40
	s_delay_alu instid0(VALU_DEP_1) | instskip(NEXT) | instid1(VALU_DEP_1)
	v_ashrrev_i32_e32 v1, 31, v0
	v_lshlrev_b64 v[0:1], 1, v[0:1]
	s_delay_alu instid0(VALU_DEP_1) | instskip(NEXT) | instid1(VALU_DEP_2)
	v_add_co_u32 v0, vcc_lo, s4, v0
	v_add_co_ci_u32_e32 v1, vcc_lo, s5, v1, vcc_lo
	s_waitcnt lgkmcnt(0)
	s_cmp_eq_u64 s[2:3], 0
	global_load_b128 v[0:3], v[0:1], off
	s_waitcnt vmcnt(0)
	v_lshlrev_b32_e32 v7, 16, v1
	v_and_b32_e32 v4, 0xffff0000, v0
	v_and_b32_e32 v1, 0xffff0000, v1
	v_lshlrev_b32_e32 v0, 16, v0
	v_lshlrev_b32_e32 v8, 16, v3
	v_and_b32_e32 v3, 0xffff0000, v3
	v_max_f32_e32 v5, v4, v4
	s_delay_alu instid0(VALU_DEP_4) | instskip(NEXT) | instid1(VALU_DEP_1)
	v_max_f32_e32 v6, v0, v0
	v_dual_max_f32 v5, v6, v5 :: v_dual_lshlrev_b32 v6, 16, v2
	v_and_b32_e32 v2, 0xffff0000, v2
	s_delay_alu instid0(VALU_DEP_2) | instskip(NEXT) | instid1(VALU_DEP_1)
	v_max3_f32 v5, v5, v7, v1
	v_max3_f32 v5, v5, v6, v2
	s_delay_alu instid0(VALU_DEP_1) | instskip(NEXT) | instid1(VALU_DEP_1)
	v_max3_f32 v5, v5, v8, v3
	v_sub_f32_e32 v3, v3, v5
	v_sub_f32_e32 v6, v6, v5
	;; [unrolled: 1-line block ×3, first 2 shown]
	s_delay_alu instid0(VALU_DEP_3) | instskip(NEXT) | instid1(VALU_DEP_3)
	v_dual_sub_f32 v8, v8, v5 :: v_dual_mul_f32 v15, 0x3fb8aa3b, v3
	v_dual_mul_f32 v12, 0x3fb8aa3b, v6 :: v_dual_sub_f32 v7, v7, v5
	s_delay_alu instid0(VALU_DEP_3) | instskip(NEXT) | instid1(VALU_DEP_3)
	v_dual_sub_f32 v4, v4, v5 :: v_dual_mul_f32 v13, 0x3fb8aa3b, v2
	v_rndne_f32_e32 v32, v15
	s_delay_alu instid0(VALU_DEP_3) | instskip(NEXT) | instid1(VALU_DEP_4)
	v_fma_f32 v25, 0x3fb8aa3b, v6, -v12
	v_mul_f32_e32 v10, 0x3fb8aa3b, v7
	v_rndne_f32_e32 v26, v12
	v_rndne_f32_e32 v28, v13
	v_fma_f32 v31, 0x3fb8aa3b, v3, -v15
	v_mul_f32_e32 v9, 0x3fb8aa3b, v4
	v_rndne_f32_e32 v22, v10
	v_fma_f32 v21, 0x3fb8aa3b, v7, -v10
	v_sub_f32_e32 v12, v12, v26
	v_cvt_i32_f32_e32 v26, v26
	v_fma_f32 v19, 0x3fb8aa3b, v4, -v9
	v_dual_sub_f32 v10, v10, v22 :: v_dual_sub_f32 v1, v1, v5
	v_sub_f32_e32 v0, v0, v5
	v_rndne_f32_e32 v20, v9
	s_delay_alu instid0(VALU_DEP_4)
	v_fmac_f32_e32 v19, 0x32a5705f, v4
	v_cvt_i32_f32_e32 v22, v22
	v_mul_f32_e32 v11, 0x3fb8aa3b, v1
	v_mul_f32_e32 v5, 0x3fb8aa3b, v0
	v_cmp_ngt_f32_e32 vcc_lo, 0xc2ce8ed0, v0
	v_fmac_f32_e32 v31, 0x32a5705f, v3
	s_delay_alu instid0(VALU_DEP_4) | instskip(NEXT) | instid1(VALU_DEP_4)
	v_rndne_f32_e32 v24, v11
	v_fma_f32 v17, 0x3fb8aa3b, v0, -v5
	v_rndne_f32_e32 v18, v5
	v_fma_f32 v23, 0x3fb8aa3b, v1, -v11
	s_delay_alu instid0(VALU_DEP_3) | instskip(NEXT) | instid1(VALU_DEP_3)
	v_fmac_f32_e32 v17, 0x32a5705f, v0
	v_dual_sub_f32 v5, v5, v18 :: v_dual_mul_f32 v14, 0x3fb8aa3b, v8
	v_cvt_i32_f32_e32 v18, v18
	v_fma_f32 v27, 0x3fb8aa3b, v2, -v13
	s_delay_alu instid0(VALU_DEP_3) | instskip(NEXT) | instid1(VALU_DEP_4)
	v_add_f32_e32 v5, v5, v17
	v_fma_f32 v29, 0x3fb8aa3b, v8, -v14
	v_rndne_f32_e32 v30, v14
	v_sub_f32_e32 v9, v9, v20
	v_cvt_i32_f32_e32 v20, v20
	v_exp_f32_e32 v5, v5
	s_delay_alu instid0(VALU_DEP_3)
	v_dual_fmac_f32 v29, 0x32a5705f, v8 :: v_dual_sub_f32 v14, v14, v30
	v_fmac_f32_e32 v25, 0x32a5705f, v6
	v_add_f32_e32 v9, v9, v19
	v_cvt_i32_f32_e32 v17, v30
	v_cvt_i32_f32_e32 v19, v32
	v_dual_add_f32 v14, v14, v29 :: v_dual_fmac_f32 v21, 0x32a5705f, v7
	v_dual_add_f32 v12, v12, v25 :: v_dual_sub_f32 v11, v11, v24
	v_exp_f32_e32 v9, v9
	s_delay_alu instid0(TRANS32_DEP_2) | instskip(NEXT) | instid1(VALU_DEP_3)
	v_ldexp_f32 v5, v5, v18
	v_add_f32_e32 v10, v10, v21
	v_cvt_i32_f32_e32 v24, v24
	v_exp_f32_e32 v12, v12
	v_exp_f32_e32 v14, v14
	v_cndmask_b32_e32 v5, 0, v5, vcc_lo
	v_exp_f32_e32 v10, v10
	v_cmp_ngt_f32_e32 vcc_lo, 0xc2ce8ed0, v4
	v_ldexp_f32 v9, v9, v20
	s_delay_alu instid0(TRANS32_DEP_3) | instskip(NEXT) | instid1(VALU_DEP_2)
	v_ldexp_f32 v12, v12, v26
	v_cndmask_b32_e32 v9, 0, v9, vcc_lo
	v_cmp_ngt_f32_e32 vcc_lo, 0xc2ce8ed0, v7
	s_waitcnt_depctr 0xfff
	v_ldexp_f32 v10, v10, v22
	v_fmac_f32_e32 v23, 0x32a5705f, v1
	v_ldexp_f32 v14, v14, v17
	s_delay_alu instid0(VALU_DEP_2) | instskip(SKIP_3) | instid1(VALU_DEP_4)
	v_dual_cndmask_b32 v10, 0, v10 :: v_dual_add_f32 v11, v11, v23
	v_cmp_nlt_f32_e32 vcc_lo, 0x42b17218, v0
	v_sub_f32_e32 v13, v13, v28
	v_cvt_i32_f32_e32 v28, v28
	v_exp_f32_e32 v11, v11
	v_cndmask_b32_e32 v0, 0x7f800000, v5, vcc_lo
	v_cmp_nlt_f32_e32 vcc_lo, 0x42b17218, v4
	v_dual_sub_f32 v15, v15, v32 :: v_dual_cndmask_b32 v4, 0x7f800000, v9
	v_cmp_ngt_f32_e32 vcc_lo, 0xc2ce8ed0, v1
	s_delay_alu instid0(VALU_DEP_2) | instskip(SKIP_4) | instid1(VALU_DEP_2)
	v_add_f32_e32 v15, v15, v31
	s_waitcnt_depctr 0xfff
	v_ldexp_f32 v11, v11, v24
	v_add_f32_e32 v9, v0, v4
	v_exp_f32_e32 v15, v15
	v_cndmask_b32_e32 v5, 0, v11, vcc_lo
	v_cmp_nlt_f32_e32 vcc_lo, 0x42b17218, v7
	v_cndmask_b32_e32 v7, 0x7f800000, v10, vcc_lo
	v_cmp_ngt_f32_e32 vcc_lo, 0xc2ce8ed0, v6
	v_fmac_f32_e32 v27, 0x32a5705f, v2
	s_waitcnt_depctr 0xfff
	v_ldexp_f32 v15, v15, v19
	v_dual_cndmask_b32 v10, 0, v12 :: v_dual_add_f32 v13, v13, v27
	v_cmp_nlt_f32_e32 vcc_lo, 0x42b17218, v1
	s_delay_alu instid0(VALU_DEP_2) | instskip(SKIP_3) | instid1(VALU_DEP_1)
	v_exp_f32_e32 v13, v13
	v_cndmask_b32_e32 v1, 0x7f800000, v5, vcc_lo
	v_cmp_ngt_f32_e32 vcc_lo, 0xc2ce8ed0, v2
	v_add_f32_e32 v5, v9, v7
	v_add_f32_e32 v5, v5, v1
	s_waitcnt_depctr 0xfff
	v_ldexp_f32 v13, v13, v28
	s_delay_alu instid0(VALU_DEP_1) | instskip(SKIP_3) | instid1(VALU_DEP_2)
	v_cndmask_b32_e32 v9, 0, v13, vcc_lo
	v_cmp_nlt_f32_e32 vcc_lo, 0x42b17218, v6
	v_cndmask_b32_e32 v6, 0x7f800000, v10, vcc_lo
	v_cmp_ngt_f32_e32 vcc_lo, 0xc2ce8ed0, v8
	v_add_f32_e32 v5, v5, v6
	v_cndmask_b32_e32 v10, 0, v14, vcc_lo
	v_cmp_nlt_f32_e32 vcc_lo, 0x42b17218, v2
	v_cndmask_b32_e32 v2, 0x7f800000, v9, vcc_lo
	v_cmp_ngt_f32_e32 vcc_lo, 0xc2ce8ed0, v3
	s_delay_alu instid0(VALU_DEP_2) | instskip(SKIP_4) | instid1(VALU_DEP_2)
	v_add_f32_e32 v5, v5, v2
	v_cndmask_b32_e32 v9, 0, v15, vcc_lo
	v_cmp_nlt_f32_e32 vcc_lo, 0x42b17218, v8
	v_cndmask_b32_e32 v8, 0x7f800000, v10, vcc_lo
	v_cmp_nlt_f32_e32 vcc_lo, 0x42b17218, v3
	v_add_f32_e32 v5, v5, v8
	v_cndmask_b32_e32 v3, 0x7f800000, v9, vcc_lo
	s_delay_alu instid0(VALU_DEP_1) | instskip(NEXT) | instid1(VALU_DEP_1)
	v_add_f32_e32 v5, v5, v3
	v_div_scale_f32 v9, null, v5, v5, 1.0
	v_div_scale_f32 v12, vcc_lo, 1.0, v5, 1.0
	s_delay_alu instid0(VALU_DEP_2) | instskip(SKIP_2) | instid1(VALU_DEP_1)
	v_rcp_f32_e32 v10, v9
	s_waitcnt_depctr 0xfff
	v_fma_f32 v11, -v9, v10, 1.0
	v_fmac_f32_e32 v10, v11, v10
	s_delay_alu instid0(VALU_DEP_1) | instskip(NEXT) | instid1(VALU_DEP_1)
	v_mul_f32_e32 v11, v12, v10
	v_fma_f32 v13, -v9, v11, v12
	s_delay_alu instid0(VALU_DEP_1) | instskip(NEXT) | instid1(VALU_DEP_1)
	v_fmac_f32_e32 v11, v13, v10
	v_fma_f32 v9, -v9, v11, v12
	s_delay_alu instid0(VALU_DEP_1) | instskip(NEXT) | instid1(VALU_DEP_1)
	v_div_fmas_f32 v9, v9, v10, v11
	v_div_fixup_f32 v5, v9, v5, 1.0
	s_delay_alu instid0(VALU_DEP_1)
	v_mul_f32_e32 v0, v5, v0
	v_mul_f32_e32 v4, v5, v4
	;; [unrolled: 1-line block ×5, first 2 shown]
	v_cmp_class_f32_e64 vcc_lo, v0, 0x1f8
	v_mul_f32_e32 v9, v5, v1
	v_mul_f32_e32 v6, v5, v6
	v_dual_mul_f32 v11, v5, v3 :: v_dual_cndmask_b32 v0, 0, v0
	v_cmp_class_f32_e64 vcc_lo, v4, 0x1f8
	v_cndmask_b32_e32 v1, 0, v4, vcc_lo
	v_cmp_class_f32_e64 vcc_lo, v7, 0x1f8
	v_cndmask_b32_e32 v2, 0, v7, vcc_lo
	;; [unrolled: 2-line block ×7, first 2 shown]
	s_cbranch_scc1 .LBB175_10
; %bb.4:
	s_load_b256 s[4:11], s[2:3], 0x0
	s_waitcnt lgkmcnt(0)
	v_dual_add_f32 v8, s4, v0 :: v_dual_add_f32 v9, s5, v1
	v_dual_add_f32 v10, s6, v2 :: v_dual_add_f32 v11, s7, v3
	;; [unrolled: 1-line block ×4, first 2 shown]
	s_cbranch_execnz .LBB175_6
.LBB175_5:
	v_dual_mov_b32 v15, v7 :: v_dual_mov_b32 v14, v6
	v_dual_mov_b32 v13, v5 :: v_dual_mov_b32 v12, v4
	v_dual_mov_b32 v11, v3 :: v_dual_mov_b32 v10, v2
	v_dual_mov_b32 v9, v1 :: v_dual_mov_b32 v8, v0
.LBB175_6:
	s_load_b128 s[4:7], s[0:1], 0x30
	s_waitcnt lgkmcnt(0)
	s_bitcmp1_b32 s7, 0
	s_mov_b32 s7, 0
	s_cselect_b32 vcc_lo, -1, 0
	s_cmp_gt_i32 s4, 0
	s_cselect_b32 s3, -1, 0
	s_cmp_lt_i32 s4, 1
	s_cbranch_scc1 .LBB175_11
; %bb.7:
	s_load_b128 s[8:11], s[0:1], 0x20
	v_mul_lo_u32 v18, v16, s4
	v_mov_b32_e32 v17, 0
	v_mov_b32_e32 v19, v16
.LBB175_8:                              ; =>This Inner Loop Header: Depth=1
	s_delay_alu instid0(VALU_DEP_1) | instskip(NEXT) | instid1(VALU_DEP_1)
	v_cmp_gt_f32_e64 s0, v9, v8
	v_cndmask_b32_e64 v20, v8, v9, s0
	v_cndmask_b32_e64 v21, v0, v1, s0
	v_cndmask_b32_e64 v22, 0, 1, s0
	s_delay_alu instid0(VALU_DEP_3) | instskip(NEXT) | instid1(VALU_DEP_1)
	v_cmp_gt_f32_e64 s1, v10, v20
	v_cndmask_b32_e64 v20, v20, v10, s1
	s_delay_alu instid0(VALU_DEP_4) | instskip(NEXT) | instid1(VALU_DEP_4)
	v_cndmask_b32_e64 v21, v21, v2, s1
	v_cndmask_b32_e64 v22, v22, 2, s1
	s_delay_alu instid0(VALU_DEP_3) | instskip(NEXT) | instid1(VALU_DEP_1)
	v_cmp_gt_f32_e64 s0, v11, v20
	v_cndmask_b32_e64 v20, v20, v11, s0
	s_delay_alu instid0(VALU_DEP_4) | instskip(NEXT) | instid1(VALU_DEP_4)
	v_cndmask_b32_e64 v21, v21, v3, s0
	v_cndmask_b32_e64 v22, v22, 3, s0
	s_delay_alu instid0(VALU_DEP_3) | instskip(NEXT) | instid1(VALU_DEP_1)
	v_cmp_gt_f32_e64 s1, v12, v20
	v_cndmask_b32_e64 v20, v20, v12, s1
	s_delay_alu instid0(VALU_DEP_4) | instskip(NEXT) | instid1(VALU_DEP_4)
	v_cndmask_b32_e64 v21, v21, v4, s1
	v_cndmask_b32_e64 v22, v22, 4, s1
	s_delay_alu instid0(VALU_DEP_3) | instskip(NEXT) | instid1(VALU_DEP_1)
	v_cmp_gt_f32_e64 s0, v13, v20
	v_cndmask_b32_e64 v20, v20, v13, s0
	s_delay_alu instid0(VALU_DEP_4) | instskip(NEXT) | instid1(VALU_DEP_4)
	v_cndmask_b32_e64 v21, v21, v5, s0
	v_cndmask_b32_e64 v22, v22, 5, s0
	s_delay_alu instid0(VALU_DEP_3) | instskip(NEXT) | instid1(VALU_DEP_1)
	v_cmp_gt_f32_e64 s1, v14, v20
	v_cndmask_b32_e64 v23, v20, v14, s1
	v_add_nc_u32_e32 v20, s7, v18
	v_cndmask_b32_e64 v24, v21, v6, s1
	v_cndmask_b32_e64 v22, v22, 6, s1
	s_add_i32 s7, s7, 1
	v_cmp_gt_f32_e64 s0, v15, v23
	v_ashrrev_i32_e32 v21, 31, v20
	s_delay_alu instid0(VALU_DEP_2) | instskip(NEXT) | instid1(VALU_DEP_2)
	v_cndmask_b32_e64 v29, v22, 7, s0
	v_lshlrev_b64 v[22:23], 2, v[20:21]
	v_cndmask_b32_e64 v28, v24, v7, s0
	v_lshlrev_b64 v[20:21], 3, v[20:21]
	s_delay_alu instid0(VALU_DEP_4) | instskip(SKIP_2) | instid1(VALU_DEP_1)
	v_subrev_nc_u32_e32 v26, s5, v29
	v_cmp_gt_i32_e64 s1, s6, v29
	v_add_co_u32 v24, s0, s12, v22
	v_add_co_ci_u32_e64 v25, s0, s13, v23, s0
	v_cmp_le_i32_e64 s0, s5, v29
	v_ashrrev_i32_e32 v27, 31, v26
	s_waitcnt lgkmcnt(0)
	v_add_co_u32 v22, s2, s10, v22
	s_delay_alu instid0(VALU_DEP_1)
	v_add_co_ci_u32_e64 v23, s2, s11, v23, s2
	s_and_b32 s0, s0, s1
	v_add_f32_e32 v30, v17, v28
	s_and_b32 s0, s15, s0
	global_store_b32 v[22:23], v19, off
	v_add_nc_u32_e32 v19, s14, v19
	v_cndmask_b32_e64 v27, 0, v27, s0
	v_cndmask_b32_e64 v26, 8, v26, s0
	v_add_co_u32 v20, s0, s8, v20
	s_delay_alu instid0(VALU_DEP_1)
	v_add_co_ci_u32_e64 v21, s0, s9, v21, s0
	v_cmp_ne_u32_e64 s0, 0, v29
	v_cndmask_b32_e32 v17, v17, v30, vcc_lo
	s_cmp_lt_i32 s7, s4
	global_store_b32 v[24:25], v28, off
	global_store_b64 v[20:21], v[26:27], off
	v_cndmask_b32_e64 v22, 0xc61c4000, v8, s0
	v_cmp_ne_u32_e64 s0, 1, v29
	s_delay_alu instid0(VALU_DEP_1) | instskip(SKIP_1) | instid1(VALU_DEP_1)
	v_cndmask_b32_e64 v23, 0xc61c4000, v9, s0
	v_cmp_ne_u32_e64 s0, 2, v29
	v_cndmask_b32_e64 v30, 0xc61c4000, v10, s0
	v_cmp_ne_u32_e64 s0, 3, v29
	s_delay_alu instid0(VALU_DEP_1) | instskip(SKIP_1) | instid1(VALU_DEP_1)
	v_cndmask_b32_e64 v31, 0xc61c4000, v11, s0
	v_cmp_ne_u32_e64 s0, 5, v29
	;; [unrolled: 5-line block ×3, first 2 shown]
	v_cndmask_b32_e64 v34, 0xc61c4000, v14, s0
	v_cmp_ne_u32_e64 s0, 4, v29
	s_delay_alu instid0(VALU_DEP_1)
	v_cndmask_b32_e64 v29, 0xc61c4000, v12, s0
	s_cselect_b32 s0, -1, 0
	s_cmp_eq_u32 s4, s7
	v_cndmask_b32_e64 v15, v15, v33, s0
	v_cndmask_b32_e64 v14, v14, v34, s0
	;; [unrolled: 1-line block ×8, first 2 shown]
	s_cbranch_scc0 .LBB175_8
; %bb.9:
	s_and_b32 vcc_lo, exec_lo, vcc_lo
	s_cbranch_vccnz .LBB175_12
	s_branch .LBB175_15
.LBB175_10:
                                        ; implicit-def: $vgpr8_vgpr9_vgpr10_vgpr11_vgpr12_vgpr13_vgpr14_vgpr15
	s_and_not1_b32 vcc_lo, exec_lo, s8
	s_cbranch_vccz .LBB175_5
	s_branch .LBB175_6
.LBB175_11:
	v_mov_b32_e32 v17, 0
	s_and_b32 vcc_lo, exec_lo, vcc_lo
	s_cbranch_vccz .LBB175_15
.LBB175_12:
	s_and_not1_b32 vcc_lo, exec_lo, s3
	s_cbranch_vccnz .LBB175_15
; %bb.13:
	v_mul_lo_u32 v0, v16, s4
	v_cmp_lt_f32_e32 vcc_lo, 0, v17
	v_cndmask_b32_e32 v2, 1.0, v17, vcc_lo
	s_delay_alu instid0(VALU_DEP_3) | instskip(NEXT) | instid1(VALU_DEP_1)
	v_ashrrev_i32_e32 v1, 31, v0
	v_lshlrev_b64 v[0:1], 2, v[0:1]
	s_delay_alu instid0(VALU_DEP_1) | instskip(NEXT) | instid1(VALU_DEP_2)
	v_add_co_u32 v0, vcc_lo, s12, v0
	v_add_co_ci_u32_e32 v1, vcc_lo, s13, v1, vcc_lo
	.p2align	6
.LBB175_14:                             ; =>This Inner Loop Header: Depth=1
	global_load_b32 v3, v[0:1], off
	s_add_i32 s4, s4, -1
	s_delay_alu instid0(SALU_CYCLE_1) | instskip(SKIP_3) | instid1(VALU_DEP_2)
	s_cmp_lg_u32 s4, 0
	s_waitcnt vmcnt(0)
	v_div_scale_f32 v4, null, v2, v2, v3
	v_div_scale_f32 v7, vcc_lo, v3, v2, v3
	v_rcp_f32_e32 v5, v4
	s_waitcnt_depctr 0xfff
	v_fma_f32 v6, -v4, v5, 1.0
	s_delay_alu instid0(VALU_DEP_1) | instskip(NEXT) | instid1(VALU_DEP_1)
	v_fmac_f32_e32 v5, v6, v5
	v_mul_f32_e32 v6, v7, v5
	s_delay_alu instid0(VALU_DEP_1) | instskip(NEXT) | instid1(VALU_DEP_1)
	v_fma_f32 v8, -v4, v6, v7
	v_fmac_f32_e32 v6, v8, v5
	s_delay_alu instid0(VALU_DEP_1) | instskip(NEXT) | instid1(VALU_DEP_1)
	v_fma_f32 v4, -v4, v6, v7
	v_div_fmas_f32 v4, v4, v5, v6
	s_delay_alu instid0(VALU_DEP_1)
	v_div_fixup_f32 v3, v4, v2, v3
	global_store_b32 v[0:1], v3, off
	v_add_co_u32 v0, vcc_lo, v0, 4
	v_add_co_ci_u32_e32 v1, vcc_lo, 0, v1, vcc_lo
	s_cbranch_scc1 .LBB175_14
.LBB175_15:
	s_nop 0
	s_sendmsg sendmsg(MSG_DEALLOC_VGPRS)
	s_endpgm
	.section	.rodata,"a",@progbits
	.p2align	6, 0x0
	.amdhsa_kernel _ZN4vllm3moe10topkGatingILi8ELi8ELi4ELi16ELi32El14__hip_bfloat16LNS0_11ScoringFuncE0EEEvPKT5_PKbPfiPT4_PiiiibPKf
		.amdhsa_group_segment_fixed_size 0
		.amdhsa_private_segment_fixed_size 0
		.amdhsa_kernarg_size 72
		.amdhsa_user_sgpr_count 15
		.amdhsa_user_sgpr_dispatch_ptr 0
		.amdhsa_user_sgpr_queue_ptr 0
		.amdhsa_user_sgpr_kernarg_segment_ptr 1
		.amdhsa_user_sgpr_dispatch_id 0
		.amdhsa_user_sgpr_private_segment_size 0
		.amdhsa_wavefront_size32 1
		.amdhsa_uses_dynamic_stack 0
		.amdhsa_enable_private_segment 0
		.amdhsa_system_sgpr_workgroup_id_x 1
		.amdhsa_system_sgpr_workgroup_id_y 0
		.amdhsa_system_sgpr_workgroup_id_z 0
		.amdhsa_system_sgpr_workgroup_info 0
		.amdhsa_system_vgpr_workitem_id 1
		.amdhsa_next_free_vgpr 35
		.amdhsa_next_free_sgpr 16
		.amdhsa_reserve_vcc 1
		.amdhsa_float_round_mode_32 0
		.amdhsa_float_round_mode_16_64 0
		.amdhsa_float_denorm_mode_32 3
		.amdhsa_float_denorm_mode_16_64 3
		.amdhsa_dx10_clamp 1
		.amdhsa_ieee_mode 1
		.amdhsa_fp16_overflow 0
		.amdhsa_workgroup_processor_mode 1
		.amdhsa_memory_ordered 1
		.amdhsa_forward_progress 0
		.amdhsa_shared_vgpr_count 0
		.amdhsa_exception_fp_ieee_invalid_op 0
		.amdhsa_exception_fp_denorm_src 0
		.amdhsa_exception_fp_ieee_div_zero 0
		.amdhsa_exception_fp_ieee_overflow 0
		.amdhsa_exception_fp_ieee_underflow 0
		.amdhsa_exception_fp_ieee_inexact 0
		.amdhsa_exception_int_div_zero 0
	.end_amdhsa_kernel
	.section	.text._ZN4vllm3moe10topkGatingILi8ELi8ELi4ELi16ELi32El14__hip_bfloat16LNS0_11ScoringFuncE0EEEvPKT5_PKbPfiPT4_PiiiibPKf,"axG",@progbits,_ZN4vllm3moe10topkGatingILi8ELi8ELi4ELi16ELi32El14__hip_bfloat16LNS0_11ScoringFuncE0EEEvPKT5_PKbPfiPT4_PiiiibPKf,comdat
.Lfunc_end175:
	.size	_ZN4vllm3moe10topkGatingILi8ELi8ELi4ELi16ELi32El14__hip_bfloat16LNS0_11ScoringFuncE0EEEvPKT5_PKbPfiPT4_PiiiibPKf, .Lfunc_end175-_ZN4vllm3moe10topkGatingILi8ELi8ELi4ELi16ELi32El14__hip_bfloat16LNS0_11ScoringFuncE0EEEvPKT5_PKbPfiPT4_PiiiibPKf
                                        ; -- End function
	.section	.AMDGPU.csdata,"",@progbits
; Kernel info:
; codeLenInByte = 2472
; NumSgprs: 18
; NumVgprs: 35
; ScratchSize: 0
; MemoryBound: 0
; FloatMode: 240
; IeeeMode: 1
; LDSByteSize: 0 bytes/workgroup (compile time only)
; SGPRBlocks: 2
; VGPRBlocks: 4
; NumSGPRsForWavesPerEU: 18
; NumVGPRsForWavesPerEU: 35
; Occupancy: 16
; WaveLimiterHint : 0
; COMPUTE_PGM_RSRC2:SCRATCH_EN: 0
; COMPUTE_PGM_RSRC2:USER_SGPR: 15
; COMPUTE_PGM_RSRC2:TRAP_HANDLER: 0
; COMPUTE_PGM_RSRC2:TGID_X_EN: 1
; COMPUTE_PGM_RSRC2:TGID_Y_EN: 0
; COMPUTE_PGM_RSRC2:TGID_Z_EN: 0
; COMPUTE_PGM_RSRC2:TIDIG_COMP_CNT: 1
	.section	.text._ZN4vllm3moe10topkGatingILi8ELi16ELi4ELi16ELi64El14__hip_bfloat16LNS0_11ScoringFuncE0EEEvPKT5_PKbPfiPT4_PiiiibPKf,"axG",@progbits,_ZN4vllm3moe10topkGatingILi8ELi16ELi4ELi16ELi64El14__hip_bfloat16LNS0_11ScoringFuncE0EEEvPKT5_PKbPfiPT4_PiiiibPKf,comdat
	.protected	_ZN4vllm3moe10topkGatingILi8ELi16ELi4ELi16ELi64El14__hip_bfloat16LNS0_11ScoringFuncE0EEEvPKT5_PKbPfiPT4_PiiiibPKf ; -- Begin function _ZN4vllm3moe10topkGatingILi8ELi16ELi4ELi16ELi64El14__hip_bfloat16LNS0_11ScoringFuncE0EEEvPKT5_PKbPfiPT4_PiiiibPKf
	.globl	_ZN4vllm3moe10topkGatingILi8ELi16ELi4ELi16ELi64El14__hip_bfloat16LNS0_11ScoringFuncE0EEEvPKT5_PKbPfiPT4_PiiiibPKf
	.p2align	8
	.type	_ZN4vllm3moe10topkGatingILi8ELi16ELi4ELi16ELi64El14__hip_bfloat16LNS0_11ScoringFuncE0EEEvPKT5_PKbPfiPT4_PiiiibPKf,@function
_ZN4vllm3moe10topkGatingILi8ELi16ELi4ELi16ELi64El14__hip_bfloat16LNS0_11ScoringFuncE0EEEvPKT5_PKbPfiPT4_PiiiibPKf: ; @_ZN4vllm3moe10topkGatingILi8ELi16ELi4ELi16ELi64El14__hip_bfloat16LNS0_11ScoringFuncE0EEEvPKT5_PKbPfiPT4_PiiiibPKf
; %bb.0:
	s_load_b32 s14, s[0:1], 0x18
	v_bfe_u32 v1, v0, 10, 10
	v_and_b32_e32 v0, 0x3ff, v0
	s_lshl_b32 s2, s15, 7
	s_delay_alu instid0(VALU_DEP_2) | instskip(NEXT) | instid1(VALU_DEP_2)
	v_lshlrev_b32_e32 v1, 5, v1
	v_lshrrev_b32_e32 v2, 1, v0
	s_delay_alu instid0(VALU_DEP_1) | instskip(SKIP_2) | instid1(VALU_DEP_1)
	v_add3_u32 v16, s2, v1, v2
	s_mov_b32 s2, exec_lo
	s_waitcnt lgkmcnt(0)
	v_cmpx_gt_i32_e64 s14, v16
	s_cbranch_execz .LBB176_25
; %bb.1:
	s_clause 0x1
	s_load_b128 s[4:7], s[0:1], 0x0
	s_load_b64 s[12:13], s[0:1], 0x10
	s_mov_b32 s8, -1
	s_mov_b32 s15, -1
	s_waitcnt lgkmcnt(0)
	s_cmp_eq_u64 s[6:7], 0
	s_cbranch_scc1 .LBB176_3
; %bb.2:
	v_ashrrev_i32_e32 v2, 31, v16
	v_add_co_u32 v1, vcc_lo, s6, v16
	s_delay_alu instid0(VALU_DEP_2) | instskip(SKIP_3) | instid1(VALU_DEP_1)
	v_add_co_ci_u32_e32 v2, vcc_lo, s7, v2, vcc_lo
	global_load_u8 v1, v[1:2], off
	s_waitcnt vmcnt(0)
	v_and_b32_e32 v1, 1, v1
	v_cmp_eq_u32_e32 vcc_lo, 1, v1
	s_xor_b32 s2, vcc_lo, -1
	s_delay_alu instid0(SALU_CYCLE_1)
	s_or_not1_b32 s15, s2, exec_lo
.LBB176_3:
	v_lshlrev_b32_e32 v1, 4, v16
	v_and_b32_e32 v17, 1, v0
	v_mbcnt_lo_u32_b32 v5, -1, 0
	s_load_b64 s[2:3], s[0:1], 0x40
	s_delay_alu instid0(VALU_DEP_3) | instskip(NEXT) | instid1(VALU_DEP_2)
	v_ashrrev_i32_e32 v2, 31, v1
	v_xor_b32_e32 v9, 1, v5
	v_and_b32_e32 v8, 30, v5
	s_delay_alu instid0(VALU_DEP_3) | instskip(SKIP_1) | instid1(VALU_DEP_2)
	v_lshlrev_b64 v[0:1], 1, v[1:2]
	v_lshlrev_b32_e32 v2, 4, v17
	v_add_co_u32 v0, vcc_lo, s4, v0
	s_delay_alu instid0(VALU_DEP_3) | instskip(NEXT) | instid1(VALU_DEP_2)
	v_add_co_ci_u32_e32 v1, vcc_lo, s5, v1, vcc_lo
	v_add_co_u32 v0, vcc_lo, v0, v2
	s_delay_alu instid0(VALU_DEP_2)
	v_add_co_ci_u32_e32 v1, vcc_lo, 0, v1, vcc_lo
	s_waitcnt lgkmcnt(0)
	s_cmp_eq_u64 s[2:3], 0
	global_load_b128 v[0:3], v[0:1], off
	s_waitcnt vmcnt(0)
	v_and_b32_e32 v4, 0xffff0000, v0
	v_lshlrev_b32_e32 v0, 16, v0
	v_lshlrev_b32_e32 v10, 16, v1
	s_delay_alu instid0(VALU_DEP_3) | instskip(NEXT) | instid1(VALU_DEP_3)
	v_dual_max_f32 v6, v4, v4 :: v_dual_and_b32 v1, 0xffff0000, v1
	v_max_f32_e32 v7, v0, v0
	s_delay_alu instid0(VALU_DEP_1) | instskip(SKIP_1) | instid1(VALU_DEP_2)
	v_dual_max_f32 v6, v7, v6 :: v_dual_add_nc_u32 v7, 2, v8
	v_lshlrev_b32_e32 v8, 16, v2
	v_max3_f32 v6, v6, v10, v1
	s_delay_alu instid0(VALU_DEP_3) | instskip(SKIP_4) | instid1(VALU_DEP_4)
	v_cmp_lt_i32_e32 vcc_lo, v9, v7
	v_cndmask_b32_e32 v5, v5, v9, vcc_lo
	v_lshlrev_b32_e32 v7, 16, v3
	v_and_b32_e32 v2, 0xffff0000, v2
	v_and_b32_e32 v3, 0xffff0000, v3
	v_lshlrev_b32_e32 v18, 2, v5
	s_delay_alu instid0(VALU_DEP_3) | instskip(NEXT) | instid1(VALU_DEP_1)
	v_max3_f32 v6, v6, v8, v2
	v_max3_f32 v5, v6, v7, v3
	ds_bpermute_b32 v6, v18, v5
	s_waitcnt lgkmcnt(0)
	v_max_f32_e32 v6, v6, v6
	s_delay_alu instid0(VALU_DEP_1) | instskip(NEXT) | instid1(VALU_DEP_1)
	v_max_f32_e32 v5, v5, v6
	v_sub_f32_e32 v4, v4, v5
	v_sub_f32_e32 v0, v0, v5
	;; [unrolled: 1-line block ×4, first 2 shown]
	s_delay_alu instid0(VALU_DEP_4) | instskip(SKIP_3) | instid1(VALU_DEP_4)
	v_dual_sub_f32 v2, v2, v5 :: v_dual_mul_f32 v9, 0x3fb8aa3b, v4
	v_sub_f32_e32 v6, v10, v5
	v_sub_f32_e32 v3, v3, v5
	v_cmp_ngt_f32_e32 vcc_lo, 0xc2ce8ed0, v0
	v_fma_f32 v21, 0x3fb8aa3b, v4, -v9
	s_delay_alu instid0(VALU_DEP_4) | instskip(NEXT) | instid1(VALU_DEP_4)
	v_mul_f32_e32 v10, 0x3fb8aa3b, v6
	v_dual_sub_f32 v8, v8, v5 :: v_dual_mul_f32 v15, 0x3fb8aa3b, v3
	v_mul_f32_e32 v5, 0x3fb8aa3b, v0
	v_mul_f32_e32 v11, 0x3fb8aa3b, v1
	v_rndne_f32_e32 v22, v9
	s_delay_alu instid0(VALU_DEP_4)
	v_mul_f32_e32 v12, 0x3fb8aa3b, v8
	v_fma_f32 v23, 0x3fb8aa3b, v6, -v10
	v_fma_f32 v19, 0x3fb8aa3b, v0, -v5
	v_rndne_f32_e32 v20, v5
	v_mul_f32_e32 v14, 0x3fb8aa3b, v7
	v_rndne_f32_e32 v24, v10
	v_rndne_f32_e32 v28, v12
	v_fmac_f32_e32 v19, 0x32a5705f, v0
	v_sub_f32_e32 v5, v5, v20
	v_fma_f32 v27, 0x3fb8aa3b, v8, -v12
	v_dual_sub_f32 v9, v9, v22 :: v_dual_sub_f32 v10, v10, v24
	v_dual_fmac_f32 v23, 0x32a5705f, v6 :: v_dual_sub_f32 v12, v12, v28
	v_fmac_f32_e32 v21, 0x32a5705f, v4
	v_add_f32_e32 v5, v5, v19
	v_cvt_i32_f32_e32 v20, v20
	s_delay_alu instid0(VALU_DEP_4)
	v_add_f32_e32 v10, v10, v23
	v_cvt_i32_f32_e32 v22, v22
	v_add_f32_e32 v9, v9, v21
	v_exp_f32_e32 v5, v5
	v_fma_f32 v25, 0x3fb8aa3b, v1, -v11
	v_exp_f32_e32 v10, v10
	v_fma_f32 v31, 0x3fb8aa3b, v7, -v14
	v_exp_f32_e32 v9, v9
	v_rndne_f32_e32 v32, v14
	v_cvt_i32_f32_e32 v24, v24
	v_mul_f32_e32 v13, 0x3fb8aa3b, v2
	v_rndne_f32_e32 v26, v11
	s_delay_alu instid0(VALU_DEP_4) | instskip(SKIP_1) | instid1(TRANS32_DEP_2)
	v_dual_fmac_f32 v25, 0x32a5705f, v1 :: v_dual_sub_f32 v14, v14, v32
	v_ldexp_f32 v5, v5, v20
	v_ldexp_f32 v10, v10, v24
	v_rndne_f32_e32 v30, v13
	s_delay_alu instid0(TRANS32_DEP_1)
	v_ldexp_f32 v9, v9, v22
	v_fma_f32 v29, 0x3fb8aa3b, v2, -v13
	v_cndmask_b32_e32 v5, 0, v5, vcc_lo
	v_cmp_ngt_f32_e32 vcc_lo, 0xc2ce8ed0, v4
	v_rndne_f32_e32 v34, v15
	v_fma_f32 v33, 0x3fb8aa3b, v3, -v15
	v_cvt_i32_f32_e32 v28, v28
	v_cvt_i32_f32_e32 v19, v32
	v_cndmask_b32_e32 v9, 0, v9, vcc_lo
	v_cmp_ngt_f32_e32 vcc_lo, 0xc2ce8ed0, v6
	v_fmac_f32_e32 v31, 0x32a5705f, v7
	v_cvt_i32_f32_e32 v21, v34
	v_dual_cndmask_b32 v10, 0, v10 :: v_dual_fmac_f32 v27, 0x32a5705f, v8
	s_delay_alu instid0(VALU_DEP_3) | instskip(SKIP_1) | instid1(VALU_DEP_3)
	v_dual_add_f32 v14, v14, v31 :: v_dual_sub_f32 v11, v11, v26
	v_cmp_nlt_f32_e32 vcc_lo, 0x42b17218, v0
	v_dual_sub_f32 v13, v13, v30 :: v_dual_add_f32 v12, v12, v27
	v_cvt_i32_f32_e32 v26, v26
	v_cvt_i32_f32_e32 v30, v30
	v_cndmask_b32_e32 v0, 0x7f800000, v5, vcc_lo
	v_add_f32_e32 v11, v11, v25
	v_cmp_nlt_f32_e32 vcc_lo, 0x42b17218, v4
	v_sub_f32_e32 v15, v15, v34
	v_exp_f32_e32 v12, v12
	v_exp_f32_e32 v14, v14
	;; [unrolled: 1-line block ×3, first 2 shown]
	v_cndmask_b32_e32 v4, 0x7f800000, v9, vcc_lo
	v_cmp_ngt_f32_e32 vcc_lo, 0xc2ce8ed0, v1
	s_delay_alu instid0(VALU_DEP_2) | instskip(NEXT) | instid1(TRANS32_DEP_3)
	v_add_f32_e32 v9, v0, v4
	v_ldexp_f32 v12, v12, v28
	s_waitcnt_depctr 0xfff
	v_ldexp_f32 v14, v14, v19
	v_ldexp_f32 v11, v11, v26
	v_lshlrev_b32_e32 v19, 3, v17
	s_delay_alu instid0(VALU_DEP_2) | instskip(SKIP_4) | instid1(VALU_DEP_1)
	v_cndmask_b32_e32 v5, 0, v11, vcc_lo
	v_cmp_nlt_f32_e32 vcc_lo, 0x42b17218, v6
	v_cndmask_b32_e32 v6, 0x7f800000, v10, vcc_lo
	v_cmp_ngt_f32_e32 vcc_lo, 0xc2ce8ed0, v8
	v_dual_fmac_f32 v29, 0x32a5705f, v2 :: v_dual_cndmask_b32 v10, 0, v12
	v_add_f32_e32 v13, v13, v29
	v_cmp_nlt_f32_e32 vcc_lo, 0x42b17218, v1
	s_delay_alu instid0(VALU_DEP_2)
	v_exp_f32_e32 v13, v13
	v_cndmask_b32_e32 v1, 0x7f800000, v5, vcc_lo
	v_cmp_ngt_f32_e32 vcc_lo, 0xc2ce8ed0, v2
	v_add_f32_e32 v5, v9, v6
	s_waitcnt_depctr 0xfff
	v_ldexp_f32 v13, v13, v30
	s_delay_alu instid0(VALU_DEP_1) | instskip(SKIP_4) | instid1(VALU_DEP_1)
	v_cndmask_b32_e32 v9, 0, v13, vcc_lo
	v_cmp_nlt_f32_e32 vcc_lo, 0x42b17218, v8
	v_cndmask_b32_e32 v8, 0x7f800000, v10, vcc_lo
	v_cmp_ngt_f32_e32 vcc_lo, 0xc2ce8ed0, v7
	v_dual_fmac_f32 v33, 0x32a5705f, v3 :: v_dual_cndmask_b32 v10, 0, v14
	v_add_f32_e32 v15, v15, v33
	v_cmp_nlt_f32_e32 vcc_lo, 0x42b17218, v2
	s_delay_alu instid0(VALU_DEP_2) | instskip(SKIP_3) | instid1(VALU_DEP_2)
	v_exp_f32_e32 v15, v15
	v_cndmask_b32_e32 v2, 0x7f800000, v9, vcc_lo
	v_add_f32_e32 v5, v5, v1
	v_cmp_ngt_f32_e32 vcc_lo, 0xc2ce8ed0, v3
	v_add_f32_e32 v5, v5, v8
	s_waitcnt_depctr 0xfff
	v_ldexp_f32 v15, v15, v21
	v_add_f32_e32 v5, v5, v2
	s_delay_alu instid0(VALU_DEP_2) | instskip(SKIP_3) | instid1(VALU_DEP_2)
	v_cndmask_b32_e32 v9, 0, v15, vcc_lo
	v_cmp_nlt_f32_e32 vcc_lo, 0x42b17218, v7
	v_cndmask_b32_e32 v7, 0x7f800000, v10, vcc_lo
	v_cmp_nlt_f32_e32 vcc_lo, 0x42b17218, v3
	v_add_f32_e32 v5, v5, v7
	v_cndmask_b32_e32 v3, 0x7f800000, v9, vcc_lo
	s_delay_alu instid0(VALU_DEP_1) | instskip(SKIP_3) | instid1(VALU_DEP_1)
	v_add_f32_e32 v5, v5, v3
	ds_bpermute_b32 v9, v18, v5
	s_waitcnt lgkmcnt(0)
	v_add_f32_e32 v5, v5, v9
	v_div_scale_f32 v9, null, v5, v5, 1.0
	v_div_scale_f32 v12, vcc_lo, 1.0, v5, 1.0
	s_delay_alu instid0(VALU_DEP_2) | instskip(SKIP_2) | instid1(VALU_DEP_1)
	v_rcp_f32_e32 v10, v9
	s_waitcnt_depctr 0xfff
	v_fma_f32 v11, -v9, v10, 1.0
	v_fmac_f32_e32 v10, v11, v10
	s_delay_alu instid0(VALU_DEP_1) | instskip(NEXT) | instid1(VALU_DEP_1)
	v_mul_f32_e32 v11, v12, v10
	v_fma_f32 v13, -v9, v11, v12
	s_delay_alu instid0(VALU_DEP_1) | instskip(NEXT) | instid1(VALU_DEP_1)
	v_fmac_f32_e32 v11, v13, v10
	v_fma_f32 v9, -v9, v11, v12
	s_delay_alu instid0(VALU_DEP_1) | instskip(NEXT) | instid1(VALU_DEP_1)
	v_div_fmas_f32 v9, v9, v10, v11
	v_div_fixup_f32 v5, v9, v5, 1.0
	s_delay_alu instid0(VALU_DEP_1)
	v_mul_f32_e32 v0, v5, v0
	v_mul_f32_e32 v4, v5, v4
	;; [unrolled: 1-line block ×5, first 2 shown]
	v_cmp_class_f32_e64 vcc_lo, v0, 0x1f8
	v_mul_f32_e32 v10, v5, v2
	v_mul_f32_e32 v11, v5, v3
	v_dual_mul_f32 v7, v5, v7 :: v_dual_cndmask_b32 v0, 0, v0
	v_cmp_class_f32_e64 vcc_lo, v4, 0x1f8
	v_cndmask_b32_e32 v1, 0, v4, vcc_lo
	v_cmp_class_f32_e64 vcc_lo, v6, 0x1f8
	v_cndmask_b32_e32 v2, 0, v6, vcc_lo
	;; [unrolled: 2-line block ×7, first 2 shown]
	s_cbranch_scc1 .LBB176_19
; %bb.4:
	v_lshlrev_b32_e32 v12, 2, v19
	s_clause 0x1
	global_load_b128 v[8:11], v12, s[2:3]
	global_load_b128 v[12:15], v12, s[2:3] offset:16
	s_waitcnt vmcnt(1)
	v_dual_add_f32 v9, v9, v1 :: v_dual_add_f32 v8, v8, v0
	v_dual_add_f32 v11, v11, v3 :: v_dual_add_f32 v10, v10, v2
	s_waitcnt vmcnt(0)
	v_dual_add_f32 v13, v13, v5 :: v_dual_add_f32 v12, v12, v4
	v_dual_add_f32 v15, v15, v7 :: v_dual_add_f32 v14, v14, v6
	s_cbranch_execnz .LBB176_6
.LBB176_5:
	v_dual_mov_b32 v15, v7 :: v_dual_mov_b32 v14, v6
	v_dual_mov_b32 v13, v5 :: v_dual_mov_b32 v12, v4
	;; [unrolled: 1-line block ×4, first 2 shown]
.LBB176_6:
	s_load_b128 s[4:7], s[0:1], 0x30
	v_cmp_eq_u32_e64 s2, 0, v17
	s_waitcnt lgkmcnt(0)
	s_bitcmp1_b32 s7, 0
	s_mov_b32 s7, 0
	s_cselect_b32 vcc_lo, -1, 0
	s_cmp_gt_i32 s4, 0
	s_cselect_b32 s3, -1, 0
	s_cmp_lt_i32 s4, 1
	s_cbranch_scc1 .LBB176_20
; %bb.7:
	s_load_b128 s[8:11], s[0:1], 0x20
	v_mul_lo_u32 v21, v16, s4
	v_mov_b32_e32 v20, 0
	v_mov_b32_e32 v22, v16
	s_branch .LBB176_10
.LBB176_8:                              ;   in Loop: Header=BB176_10 Depth=1
	s_or_b32 exec_lo, exec_lo, s1
.LBB176_9:                              ;   in Loop: Header=BB176_10 Depth=1
	v_add_nc_u32_e32 v22, s14, v22
	s_cmp_eq_u32 s4, s7
	s_cbranch_scc1 .LBB176_21
.LBB176_10:                             ; =>This Inner Loop Header: Depth=1
	v_cmp_gt_f32_e64 s0, v9, v8
	s_mov_b32 s17, exec_lo
	s_delay_alu instid0(VALU_DEP_1) | instskip(SKIP_2) | instid1(VALU_DEP_3)
	v_cndmask_b32_e64 v23, v8, v9, s0
	v_cndmask_b32_e64 v24, 0, 1, s0
	v_cndmask_b32_e64 v25, v0, v1, s0
	v_cmp_gt_f32_e64 s1, v10, v23
	s_delay_alu instid0(VALU_DEP_1) | instskip(NEXT) | instid1(VALU_DEP_4)
	v_cndmask_b32_e64 v23, v23, v10, s1
	v_cndmask_b32_e64 v24, v24, 2, s1
	s_delay_alu instid0(VALU_DEP_4) | instskip(NEXT) | instid1(VALU_DEP_3)
	v_cndmask_b32_e64 v25, v25, v2, s1
	v_cmp_gt_f32_e64 s0, v11, v23
	s_delay_alu instid0(VALU_DEP_1) | instskip(NEXT) | instid1(VALU_DEP_4)
	v_cndmask_b32_e64 v23, v23, v11, s0
	v_cndmask_b32_e64 v24, v24, 3, s0
	s_delay_alu instid0(VALU_DEP_4) | instskip(NEXT) | instid1(VALU_DEP_3)
	v_cndmask_b32_e64 v25, v25, v3, s0
	;; [unrolled: 6-line block ×5, first 2 shown]
	v_cmp_gt_f32_e64 s0, v15, v23
	s_delay_alu instid0(VALU_DEP_1) | instskip(NEXT) | instid1(VALU_DEP_4)
	v_cndmask_b32_e64 v27, v23, v15, s0
	v_cndmask_b32_e64 v23, v24, 7, s0
	s_delay_alu instid0(VALU_DEP_4)
	v_cndmask_b32_e64 v24, v25, v7, s0
	ds_bpermute_b32 v28, v18, v27
	v_or_b32_e32 v23, v19, v23
	ds_bpermute_b32 v26, v18, v24
	ds_bpermute_b32 v25, v18, v23
	s_waitcnt lgkmcnt(0)
	v_cmp_lt_f32_e64 s16, v27, v28
	v_cmpx_nlt_f32_e32 v27, v28
	s_cbranch_execnz .LBB176_14
; %bb.11:                               ;   in Loop: Header=BB176_10 Depth=1
	s_or_b32 exec_lo, exec_lo, s17
	s_delay_alu instid0(VALU_DEP_2)
	s_and_saveexec_b32 s0, s16
	s_cbranch_execnz .LBB176_15
.LBB176_12:                             ;   in Loop: Header=BB176_10 Depth=1
	s_or_b32 exec_lo, exec_lo, s0
	s_and_saveexec_b32 s16, s2
	s_cbranch_execnz .LBB176_16
.LBB176_13:                             ;   in Loop: Header=BB176_10 Depth=1
	s_or_b32 exec_lo, exec_lo, s16
	s_add_i32 s7, s7, 1
	s_delay_alu instid0(SALU_CYCLE_1)
	s_cmp_ge_i32 s7, s4
	s_cbranch_scc1 .LBB176_9
	s_branch .LBB176_17
.LBB176_14:                             ;   in Loop: Header=BB176_10 Depth=1
	v_cmp_eq_f32_e64 s0, v27, v28
	v_cmp_lt_i32_e64 s1, v25, v23
	s_delay_alu instid0(VALU_DEP_1) | instskip(SKIP_2) | instid1(SALU_CYCLE_1)
	s_and_b32 s0, s0, s1
	s_and_not1_b32 s1, s16, exec_lo
	s_and_b32 s0, s0, exec_lo
	s_or_b32 s16, s1, s0
	s_or_b32 exec_lo, exec_lo, s17
	s_and_saveexec_b32 s0, s16
	s_cbranch_execz .LBB176_12
.LBB176_15:                             ;   in Loop: Header=BB176_10 Depth=1
	v_dual_mov_b32 v24, v26 :: v_dual_mov_b32 v23, v25
	s_or_b32 exec_lo, exec_lo, s0
	s_and_saveexec_b32 s16, s2
	s_cbranch_execz .LBB176_13
.LBB176_16:                             ;   in Loop: Header=BB176_10 Depth=1
	v_add_nc_u32_e32 v25, s7, v21
	v_subrev_nc_u32_e32 v29, s5, v23
	v_cmp_le_i32_e64 s0, s5, v23
	v_cmp_gt_i32_e64 s1, s6, v23
	v_add_f32_e32 v33, v20, v24
	v_ashrrev_i32_e32 v26, 31, v25
	v_ashrrev_i32_e32 v30, 31, v29
	s_delay_alu instid0(VALU_DEP_4) | instskip(NEXT) | instid1(VALU_DEP_3)
	s_and_b32 s0, s0, s1
	v_cndmask_b32_e32 v20, v20, v33, vcc_lo
	s_delay_alu instid0(VALU_DEP_3) | instskip(SKIP_2) | instid1(SALU_CYCLE_1)
	v_lshlrev_b64 v[27:28], 2, v[25:26]
	v_lshlrev_b64 v[25:26], 3, v[25:26]
	s_and_b32 s0, s15, s0
	v_cndmask_b32_e64 v30, 0, v30, s0
	v_cndmask_b32_e64 v29, 16, v29, s0
	s_delay_alu instid0(VALU_DEP_4) | instskip(NEXT) | instid1(VALU_DEP_1)
	v_add_co_u32 v31, s0, s12, v27
	v_add_co_ci_u32_e64 v32, s0, s13, v28, s0
	v_add_co_u32 v25, s0, s8, v25
	s_delay_alu instid0(VALU_DEP_1) | instskip(SKIP_1) | instid1(VALU_DEP_1)
	v_add_co_ci_u32_e64 v26, s0, s9, v26, s0
	v_add_co_u32 v27, s0, s10, v27
	v_add_co_ci_u32_e64 v28, s0, s11, v28, s0
	global_store_b32 v[31:32], v24, off
	global_store_b64 v[25:26], v[29:30], off
	global_store_b32 v[27:28], v22, off
	s_or_b32 exec_lo, exec_lo, s16
	s_add_i32 s7, s7, 1
	s_delay_alu instid0(SALU_CYCLE_1)
	s_cmp_ge_i32 s7, s4
	s_cbranch_scc1 .LBB176_9
.LBB176_17:                             ;   in Loop: Header=BB176_10 Depth=1
	v_ashrrev_i32_e32 v25, 31, v23
	s_mov_b32 s1, exec_lo
	s_delay_alu instid0(VALU_DEP_1) | instskip(NEXT) | instid1(VALU_DEP_1)
	v_lshrrev_b32_e32 v24, 29, v25
	v_add_nc_u32_e32 v26, v23, v24
	s_delay_alu instid0(VALU_DEP_1) | instskip(SKIP_1) | instid1(VALU_DEP_1)
	v_ashrrev_i32_e32 v24, 3, v26
	v_lshrrev_b32_e32 v26, 31, v26
	v_add_nc_u32_e32 v26, v24, v26
	s_delay_alu instid0(VALU_DEP_1) | instskip(NEXT) | instid1(VALU_DEP_1)
	v_and_b32_e32 v26, -2, v26
	v_sub_nc_u32_e32 v26, v24, v26
	s_delay_alu instid0(VALU_DEP_1)
	v_cmpx_eq_u32_e64 v17, v26
	s_cbranch_execz .LBB176_8
; %bb.18:                               ;   in Loop: Header=BB176_10 Depth=1
	v_lshrrev_b32_e32 v25, 28, v25
	v_lshlrev_b32_e32 v24, 3, v24
	s_delay_alu instid0(VALU_DEP_2) | instskip(NEXT) | instid1(VALU_DEP_2)
	v_add_nc_u32_e32 v25, v23, v25
	v_sub_nc_u32_e32 v23, v23, v24
	s_delay_alu instid0(VALU_DEP_2) | instskip(NEXT) | instid1(VALU_DEP_1)
	v_ashrrev_i32_e32 v24, 4, v25
	v_lshl_add_u32 v23, v24, 3, v23
	s_delay_alu instid0(VALU_DEP_1) | instskip(NEXT) | instid1(VALU_DEP_1)
	v_cmp_ne_u32_e64 s0, 7, v23
	v_cndmask_b32_e64 v15, 0xc61c4000, v15, s0
	v_cmp_ne_u32_e64 s0, 6, v23
	s_delay_alu instid0(VALU_DEP_1) | instskip(SKIP_1) | instid1(VALU_DEP_1)
	v_cndmask_b32_e64 v14, 0xc61c4000, v14, s0
	v_cmp_ne_u32_e64 s0, 5, v23
	v_cndmask_b32_e64 v13, 0xc61c4000, v13, s0
	v_cmp_ne_u32_e64 s0, 4, v23
	s_delay_alu instid0(VALU_DEP_1) | instskip(SKIP_1) | instid1(VALU_DEP_1)
	v_cndmask_b32_e64 v12, 0xc61c4000, v12, s0
	;; [unrolled: 5-line block ×3, first 2 shown]
	v_cmp_ne_u32_e64 s0, 1, v23
	v_cndmask_b32_e64 v9, 0xc61c4000, v9, s0
	v_cmp_ne_u32_e64 s0, 0, v23
	s_delay_alu instid0(VALU_DEP_1)
	v_cndmask_b32_e64 v8, 0xc61c4000, v8, s0
	s_branch .LBB176_8
.LBB176_19:
                                        ; implicit-def: $vgpr8_vgpr9_vgpr10_vgpr11_vgpr12_vgpr13_vgpr14_vgpr15
	s_and_not1_b32 vcc_lo, exec_lo, s8
	s_cbranch_vccz .LBB176_5
	s_branch .LBB176_6
.LBB176_20:
	v_mov_b32_e32 v20, 0
.LBB176_21:
	v_cmp_eq_u32_e64 s0, 0, v17
	s_delay_alu instid0(VALU_DEP_1) | instskip(NEXT) | instid1(SALU_CYCLE_1)
	s_and_b32 s0, s0, vcc_lo
	s_and_b32 exec_lo, exec_lo, s0
	s_cbranch_execz .LBB176_25
; %bb.22:
	s_and_not1_b32 vcc_lo, exec_lo, s3
	s_cbranch_vccnz .LBB176_25
; %bb.23:
	v_mul_lo_u32 v0, v16, s4
	v_cmp_lt_f32_e32 vcc_lo, 0, v20
	v_cndmask_b32_e32 v2, 1.0, v20, vcc_lo
	s_delay_alu instid0(VALU_DEP_3) | instskip(NEXT) | instid1(VALU_DEP_1)
	v_ashrrev_i32_e32 v1, 31, v0
	v_lshlrev_b64 v[0:1], 2, v[0:1]
	s_delay_alu instid0(VALU_DEP_1) | instskip(NEXT) | instid1(VALU_DEP_2)
	v_add_co_u32 v0, vcc_lo, s12, v0
	v_add_co_ci_u32_e32 v1, vcc_lo, s13, v1, vcc_lo
	.p2align	6
.LBB176_24:                             ; =>This Inner Loop Header: Depth=1
	global_load_b32 v3, v[0:1], off
	s_add_i32 s4, s4, -1
	s_delay_alu instid0(SALU_CYCLE_1) | instskip(SKIP_3) | instid1(VALU_DEP_2)
	s_cmp_lg_u32 s4, 0
	s_waitcnt vmcnt(0)
	v_div_scale_f32 v4, null, v2, v2, v3
	v_div_scale_f32 v7, vcc_lo, v3, v2, v3
	v_rcp_f32_e32 v5, v4
	s_waitcnt_depctr 0xfff
	v_fma_f32 v6, -v4, v5, 1.0
	s_delay_alu instid0(VALU_DEP_1) | instskip(NEXT) | instid1(VALU_DEP_1)
	v_fmac_f32_e32 v5, v6, v5
	v_mul_f32_e32 v6, v7, v5
	s_delay_alu instid0(VALU_DEP_1) | instskip(NEXT) | instid1(VALU_DEP_1)
	v_fma_f32 v8, -v4, v6, v7
	v_fmac_f32_e32 v6, v8, v5
	s_delay_alu instid0(VALU_DEP_1) | instskip(NEXT) | instid1(VALU_DEP_1)
	v_fma_f32 v4, -v4, v6, v7
	v_div_fmas_f32 v4, v4, v5, v6
	s_delay_alu instid0(VALU_DEP_1)
	v_div_fixup_f32 v3, v4, v2, v3
	global_store_b32 v[0:1], v3, off
	v_add_co_u32 v0, vcc_lo, v0, 4
	v_add_co_ci_u32_e32 v1, vcc_lo, 0, v1, vcc_lo
	s_cbranch_scc1 .LBB176_24
.LBB176_25:
	s_nop 0
	s_sendmsg sendmsg(MSG_DEALLOC_VGPRS)
	s_endpgm
	.section	.rodata,"a",@progbits
	.p2align	6, 0x0
	.amdhsa_kernel _ZN4vllm3moe10topkGatingILi8ELi16ELi4ELi16ELi64El14__hip_bfloat16LNS0_11ScoringFuncE0EEEvPKT5_PKbPfiPT4_PiiiibPKf
		.amdhsa_group_segment_fixed_size 0
		.amdhsa_private_segment_fixed_size 0
		.amdhsa_kernarg_size 72
		.amdhsa_user_sgpr_count 15
		.amdhsa_user_sgpr_dispatch_ptr 0
		.amdhsa_user_sgpr_queue_ptr 0
		.amdhsa_user_sgpr_kernarg_segment_ptr 1
		.amdhsa_user_sgpr_dispatch_id 0
		.amdhsa_user_sgpr_private_segment_size 0
		.amdhsa_wavefront_size32 1
		.amdhsa_uses_dynamic_stack 0
		.amdhsa_enable_private_segment 0
		.amdhsa_system_sgpr_workgroup_id_x 1
		.amdhsa_system_sgpr_workgroup_id_y 0
		.amdhsa_system_sgpr_workgroup_id_z 0
		.amdhsa_system_sgpr_workgroup_info 0
		.amdhsa_system_vgpr_workitem_id 1
		.amdhsa_next_free_vgpr 35
		.amdhsa_next_free_sgpr 18
		.amdhsa_reserve_vcc 1
		.amdhsa_float_round_mode_32 0
		.amdhsa_float_round_mode_16_64 0
		.amdhsa_float_denorm_mode_32 3
		.amdhsa_float_denorm_mode_16_64 3
		.amdhsa_dx10_clamp 1
		.amdhsa_ieee_mode 1
		.amdhsa_fp16_overflow 0
		.amdhsa_workgroup_processor_mode 1
		.amdhsa_memory_ordered 1
		.amdhsa_forward_progress 0
		.amdhsa_shared_vgpr_count 0
		.amdhsa_exception_fp_ieee_invalid_op 0
		.amdhsa_exception_fp_denorm_src 0
		.amdhsa_exception_fp_ieee_div_zero 0
		.amdhsa_exception_fp_ieee_overflow 0
		.amdhsa_exception_fp_ieee_underflow 0
		.amdhsa_exception_fp_ieee_inexact 0
		.amdhsa_exception_int_div_zero 0
	.end_amdhsa_kernel
	.section	.text._ZN4vllm3moe10topkGatingILi8ELi16ELi4ELi16ELi64El14__hip_bfloat16LNS0_11ScoringFuncE0EEEvPKT5_PKbPfiPT4_PiiiibPKf,"axG",@progbits,_ZN4vllm3moe10topkGatingILi8ELi16ELi4ELi16ELi64El14__hip_bfloat16LNS0_11ScoringFuncE0EEEvPKT5_PKbPfiPT4_PiiiibPKf,comdat
.Lfunc_end176:
	.size	_ZN4vllm3moe10topkGatingILi8ELi16ELi4ELi16ELi64El14__hip_bfloat16LNS0_11ScoringFuncE0EEEvPKT5_PKbPfiPT4_PiiiibPKf, .Lfunc_end176-_ZN4vllm3moe10topkGatingILi8ELi16ELi4ELi16ELi64El14__hip_bfloat16LNS0_11ScoringFuncE0EEEvPKT5_PKbPfiPT4_PiiiibPKf
                                        ; -- End function
	.section	.AMDGPU.csdata,"",@progbits
; Kernel info:
; codeLenInByte = 2852
; NumSgprs: 20
; NumVgprs: 35
; ScratchSize: 0
; MemoryBound: 0
; FloatMode: 240
; IeeeMode: 1
; LDSByteSize: 0 bytes/workgroup (compile time only)
; SGPRBlocks: 2
; VGPRBlocks: 4
; NumSGPRsForWavesPerEU: 20
; NumVGPRsForWavesPerEU: 35
; Occupancy: 16
; WaveLimiterHint : 0
; COMPUTE_PGM_RSRC2:SCRATCH_EN: 0
; COMPUTE_PGM_RSRC2:USER_SGPR: 15
; COMPUTE_PGM_RSRC2:TRAP_HANDLER: 0
; COMPUTE_PGM_RSRC2:TGID_X_EN: 1
; COMPUTE_PGM_RSRC2:TGID_Y_EN: 0
; COMPUTE_PGM_RSRC2:TGID_Z_EN: 0
; COMPUTE_PGM_RSRC2:TIDIG_COMP_CNT: 1
	.section	.text._ZN4vllm3moe10topkGatingILi8ELi16ELi4ELi16ELi32El14__hip_bfloat16LNS0_11ScoringFuncE0EEEvPKT5_PKbPfiPT4_PiiiibPKf,"axG",@progbits,_ZN4vllm3moe10topkGatingILi8ELi16ELi4ELi16ELi32El14__hip_bfloat16LNS0_11ScoringFuncE0EEEvPKT5_PKbPfiPT4_PiiiibPKf,comdat
	.protected	_ZN4vllm3moe10topkGatingILi8ELi16ELi4ELi16ELi32El14__hip_bfloat16LNS0_11ScoringFuncE0EEEvPKT5_PKbPfiPT4_PiiiibPKf ; -- Begin function _ZN4vllm3moe10topkGatingILi8ELi16ELi4ELi16ELi32El14__hip_bfloat16LNS0_11ScoringFuncE0EEEvPKT5_PKbPfiPT4_PiiiibPKf
	.globl	_ZN4vllm3moe10topkGatingILi8ELi16ELi4ELi16ELi32El14__hip_bfloat16LNS0_11ScoringFuncE0EEEvPKT5_PKbPfiPT4_PiiiibPKf
	.p2align	8
	.type	_ZN4vllm3moe10topkGatingILi8ELi16ELi4ELi16ELi32El14__hip_bfloat16LNS0_11ScoringFuncE0EEEvPKT5_PKbPfiPT4_PiiiibPKf,@function
_ZN4vllm3moe10topkGatingILi8ELi16ELi4ELi16ELi32El14__hip_bfloat16LNS0_11ScoringFuncE0EEEvPKT5_PKbPfiPT4_PiiiibPKf: ; @_ZN4vllm3moe10topkGatingILi8ELi16ELi4ELi16ELi32El14__hip_bfloat16LNS0_11ScoringFuncE0EEEvPKT5_PKbPfiPT4_PiiiibPKf
; %bb.0:
	s_load_b32 s14, s[0:1], 0x18
	v_bfe_u32 v1, v0, 10, 10
	v_and_b32_e32 v0, 0x3ff, v0
	s_lshl_b32 s2, s15, 6
	s_delay_alu instid0(VALU_DEP_2) | instskip(NEXT) | instid1(VALU_DEP_2)
	v_lshlrev_b32_e32 v1, 4, v1
	v_lshrrev_b32_e32 v2, 1, v0
	s_delay_alu instid0(VALU_DEP_1) | instskip(SKIP_2) | instid1(VALU_DEP_1)
	v_add3_u32 v16, s2, v1, v2
	s_mov_b32 s2, exec_lo
	s_waitcnt lgkmcnt(0)
	v_cmpx_gt_i32_e64 s14, v16
	s_cbranch_execz .LBB177_25
; %bb.1:
	s_clause 0x1
	s_load_b128 s[4:7], s[0:1], 0x0
	s_load_b64 s[12:13], s[0:1], 0x10
	s_mov_b32 s8, -1
	s_mov_b32 s15, -1
	s_waitcnt lgkmcnt(0)
	s_cmp_eq_u64 s[6:7], 0
	s_cbranch_scc1 .LBB177_3
; %bb.2:
	v_ashrrev_i32_e32 v2, 31, v16
	v_add_co_u32 v1, vcc_lo, s6, v16
	s_delay_alu instid0(VALU_DEP_2) | instskip(SKIP_3) | instid1(VALU_DEP_1)
	v_add_co_ci_u32_e32 v2, vcc_lo, s7, v2, vcc_lo
	global_load_u8 v1, v[1:2], off
	s_waitcnt vmcnt(0)
	v_and_b32_e32 v1, 1, v1
	v_cmp_eq_u32_e32 vcc_lo, 1, v1
	s_xor_b32 s2, vcc_lo, -1
	s_delay_alu instid0(SALU_CYCLE_1)
	s_or_not1_b32 s15, s2, exec_lo
.LBB177_3:
	v_lshlrev_b32_e32 v1, 4, v16
	v_and_b32_e32 v17, 1, v0
	v_mbcnt_lo_u32_b32 v5, -1, 0
	s_load_b64 s[2:3], s[0:1], 0x40
	s_delay_alu instid0(VALU_DEP_3) | instskip(NEXT) | instid1(VALU_DEP_2)
	v_ashrrev_i32_e32 v2, 31, v1
	v_xor_b32_e32 v9, 1, v5
	v_and_b32_e32 v8, 30, v5
	s_delay_alu instid0(VALU_DEP_3) | instskip(SKIP_1) | instid1(VALU_DEP_2)
	v_lshlrev_b64 v[0:1], 1, v[1:2]
	v_lshlrev_b32_e32 v2, 4, v17
	v_add_co_u32 v0, vcc_lo, s4, v0
	s_delay_alu instid0(VALU_DEP_3) | instskip(NEXT) | instid1(VALU_DEP_2)
	v_add_co_ci_u32_e32 v1, vcc_lo, s5, v1, vcc_lo
	v_add_co_u32 v0, vcc_lo, v0, v2
	s_delay_alu instid0(VALU_DEP_2)
	v_add_co_ci_u32_e32 v1, vcc_lo, 0, v1, vcc_lo
	s_waitcnt lgkmcnt(0)
	s_cmp_eq_u64 s[2:3], 0
	global_load_b128 v[0:3], v[0:1], off
	s_waitcnt vmcnt(0)
	v_and_b32_e32 v4, 0xffff0000, v0
	v_lshlrev_b32_e32 v0, 16, v0
	v_lshlrev_b32_e32 v10, 16, v1
	s_delay_alu instid0(VALU_DEP_3) | instskip(NEXT) | instid1(VALU_DEP_3)
	v_dual_max_f32 v6, v4, v4 :: v_dual_and_b32 v1, 0xffff0000, v1
	v_max_f32_e32 v7, v0, v0
	s_delay_alu instid0(VALU_DEP_1) | instskip(SKIP_1) | instid1(VALU_DEP_2)
	v_dual_max_f32 v6, v7, v6 :: v_dual_add_nc_u32 v7, 2, v8
	v_lshlrev_b32_e32 v8, 16, v2
	v_max3_f32 v6, v6, v10, v1
	s_delay_alu instid0(VALU_DEP_3) | instskip(SKIP_4) | instid1(VALU_DEP_4)
	v_cmp_lt_i32_e32 vcc_lo, v9, v7
	v_cndmask_b32_e32 v5, v5, v9, vcc_lo
	v_lshlrev_b32_e32 v7, 16, v3
	v_and_b32_e32 v2, 0xffff0000, v2
	v_and_b32_e32 v3, 0xffff0000, v3
	v_lshlrev_b32_e32 v18, 2, v5
	s_delay_alu instid0(VALU_DEP_3) | instskip(NEXT) | instid1(VALU_DEP_1)
	v_max3_f32 v6, v6, v8, v2
	v_max3_f32 v5, v6, v7, v3
	ds_bpermute_b32 v6, v18, v5
	s_waitcnt lgkmcnt(0)
	v_max_f32_e32 v6, v6, v6
	s_delay_alu instid0(VALU_DEP_1) | instskip(NEXT) | instid1(VALU_DEP_1)
	v_max_f32_e32 v5, v5, v6
	v_sub_f32_e32 v4, v4, v5
	v_sub_f32_e32 v0, v0, v5
	;; [unrolled: 1-line block ×4, first 2 shown]
	s_delay_alu instid0(VALU_DEP_4) | instskip(SKIP_3) | instid1(VALU_DEP_4)
	v_dual_sub_f32 v2, v2, v5 :: v_dual_mul_f32 v9, 0x3fb8aa3b, v4
	v_sub_f32_e32 v6, v10, v5
	v_sub_f32_e32 v3, v3, v5
	v_cmp_ngt_f32_e32 vcc_lo, 0xc2ce8ed0, v0
	v_fma_f32 v21, 0x3fb8aa3b, v4, -v9
	s_delay_alu instid0(VALU_DEP_4) | instskip(NEXT) | instid1(VALU_DEP_4)
	v_mul_f32_e32 v10, 0x3fb8aa3b, v6
	v_dual_sub_f32 v8, v8, v5 :: v_dual_mul_f32 v15, 0x3fb8aa3b, v3
	v_mul_f32_e32 v5, 0x3fb8aa3b, v0
	v_mul_f32_e32 v11, 0x3fb8aa3b, v1
	v_rndne_f32_e32 v22, v9
	s_delay_alu instid0(VALU_DEP_4)
	v_mul_f32_e32 v12, 0x3fb8aa3b, v8
	v_fma_f32 v23, 0x3fb8aa3b, v6, -v10
	v_fma_f32 v19, 0x3fb8aa3b, v0, -v5
	v_rndne_f32_e32 v20, v5
	v_mul_f32_e32 v14, 0x3fb8aa3b, v7
	v_rndne_f32_e32 v24, v10
	v_rndne_f32_e32 v28, v12
	v_fmac_f32_e32 v19, 0x32a5705f, v0
	v_sub_f32_e32 v5, v5, v20
	v_fma_f32 v27, 0x3fb8aa3b, v8, -v12
	v_dual_sub_f32 v9, v9, v22 :: v_dual_sub_f32 v10, v10, v24
	v_dual_fmac_f32 v23, 0x32a5705f, v6 :: v_dual_sub_f32 v12, v12, v28
	v_fmac_f32_e32 v21, 0x32a5705f, v4
	v_add_f32_e32 v5, v5, v19
	v_cvt_i32_f32_e32 v20, v20
	s_delay_alu instid0(VALU_DEP_4)
	v_add_f32_e32 v10, v10, v23
	v_cvt_i32_f32_e32 v22, v22
	v_add_f32_e32 v9, v9, v21
	v_exp_f32_e32 v5, v5
	v_fma_f32 v25, 0x3fb8aa3b, v1, -v11
	v_exp_f32_e32 v10, v10
	v_fma_f32 v31, 0x3fb8aa3b, v7, -v14
	v_exp_f32_e32 v9, v9
	v_rndne_f32_e32 v32, v14
	v_cvt_i32_f32_e32 v24, v24
	v_mul_f32_e32 v13, 0x3fb8aa3b, v2
	v_rndne_f32_e32 v26, v11
	s_delay_alu instid0(VALU_DEP_4) | instskip(SKIP_1) | instid1(TRANS32_DEP_2)
	v_dual_fmac_f32 v25, 0x32a5705f, v1 :: v_dual_sub_f32 v14, v14, v32
	v_ldexp_f32 v5, v5, v20
	v_ldexp_f32 v10, v10, v24
	v_rndne_f32_e32 v30, v13
	s_delay_alu instid0(TRANS32_DEP_1)
	v_ldexp_f32 v9, v9, v22
	v_fma_f32 v29, 0x3fb8aa3b, v2, -v13
	v_cndmask_b32_e32 v5, 0, v5, vcc_lo
	v_cmp_ngt_f32_e32 vcc_lo, 0xc2ce8ed0, v4
	v_rndne_f32_e32 v34, v15
	v_fma_f32 v33, 0x3fb8aa3b, v3, -v15
	v_cvt_i32_f32_e32 v28, v28
	v_cvt_i32_f32_e32 v19, v32
	v_cndmask_b32_e32 v9, 0, v9, vcc_lo
	v_cmp_ngt_f32_e32 vcc_lo, 0xc2ce8ed0, v6
	v_fmac_f32_e32 v31, 0x32a5705f, v7
	v_cvt_i32_f32_e32 v21, v34
	v_dual_cndmask_b32 v10, 0, v10 :: v_dual_fmac_f32 v27, 0x32a5705f, v8
	s_delay_alu instid0(VALU_DEP_3) | instskip(SKIP_1) | instid1(VALU_DEP_3)
	v_dual_add_f32 v14, v14, v31 :: v_dual_sub_f32 v11, v11, v26
	v_cmp_nlt_f32_e32 vcc_lo, 0x42b17218, v0
	v_dual_sub_f32 v13, v13, v30 :: v_dual_add_f32 v12, v12, v27
	v_cvt_i32_f32_e32 v26, v26
	v_cvt_i32_f32_e32 v30, v30
	v_cndmask_b32_e32 v0, 0x7f800000, v5, vcc_lo
	v_add_f32_e32 v11, v11, v25
	v_cmp_nlt_f32_e32 vcc_lo, 0x42b17218, v4
	v_sub_f32_e32 v15, v15, v34
	v_exp_f32_e32 v12, v12
	v_exp_f32_e32 v14, v14
	;; [unrolled: 1-line block ×3, first 2 shown]
	v_cndmask_b32_e32 v4, 0x7f800000, v9, vcc_lo
	v_cmp_ngt_f32_e32 vcc_lo, 0xc2ce8ed0, v1
	s_delay_alu instid0(VALU_DEP_2) | instskip(NEXT) | instid1(TRANS32_DEP_3)
	v_add_f32_e32 v9, v0, v4
	v_ldexp_f32 v12, v12, v28
	s_waitcnt_depctr 0xfff
	v_ldexp_f32 v14, v14, v19
	v_ldexp_f32 v11, v11, v26
	v_lshlrev_b32_e32 v19, 3, v17
	s_delay_alu instid0(VALU_DEP_2) | instskip(SKIP_4) | instid1(VALU_DEP_1)
	v_cndmask_b32_e32 v5, 0, v11, vcc_lo
	v_cmp_nlt_f32_e32 vcc_lo, 0x42b17218, v6
	v_cndmask_b32_e32 v6, 0x7f800000, v10, vcc_lo
	v_cmp_ngt_f32_e32 vcc_lo, 0xc2ce8ed0, v8
	v_dual_fmac_f32 v29, 0x32a5705f, v2 :: v_dual_cndmask_b32 v10, 0, v12
	v_add_f32_e32 v13, v13, v29
	v_cmp_nlt_f32_e32 vcc_lo, 0x42b17218, v1
	s_delay_alu instid0(VALU_DEP_2)
	v_exp_f32_e32 v13, v13
	v_cndmask_b32_e32 v1, 0x7f800000, v5, vcc_lo
	v_cmp_ngt_f32_e32 vcc_lo, 0xc2ce8ed0, v2
	v_add_f32_e32 v5, v9, v6
	s_waitcnt_depctr 0xfff
	v_ldexp_f32 v13, v13, v30
	s_delay_alu instid0(VALU_DEP_1) | instskip(SKIP_4) | instid1(VALU_DEP_1)
	v_cndmask_b32_e32 v9, 0, v13, vcc_lo
	v_cmp_nlt_f32_e32 vcc_lo, 0x42b17218, v8
	v_cndmask_b32_e32 v8, 0x7f800000, v10, vcc_lo
	v_cmp_ngt_f32_e32 vcc_lo, 0xc2ce8ed0, v7
	v_dual_fmac_f32 v33, 0x32a5705f, v3 :: v_dual_cndmask_b32 v10, 0, v14
	v_add_f32_e32 v15, v15, v33
	v_cmp_nlt_f32_e32 vcc_lo, 0x42b17218, v2
	s_delay_alu instid0(VALU_DEP_2) | instskip(SKIP_3) | instid1(VALU_DEP_2)
	v_exp_f32_e32 v15, v15
	v_cndmask_b32_e32 v2, 0x7f800000, v9, vcc_lo
	v_add_f32_e32 v5, v5, v1
	v_cmp_ngt_f32_e32 vcc_lo, 0xc2ce8ed0, v3
	v_add_f32_e32 v5, v5, v8
	s_waitcnt_depctr 0xfff
	v_ldexp_f32 v15, v15, v21
	v_add_f32_e32 v5, v5, v2
	s_delay_alu instid0(VALU_DEP_2) | instskip(SKIP_3) | instid1(VALU_DEP_2)
	v_cndmask_b32_e32 v9, 0, v15, vcc_lo
	v_cmp_nlt_f32_e32 vcc_lo, 0x42b17218, v7
	v_cndmask_b32_e32 v7, 0x7f800000, v10, vcc_lo
	v_cmp_nlt_f32_e32 vcc_lo, 0x42b17218, v3
	v_add_f32_e32 v5, v5, v7
	v_cndmask_b32_e32 v3, 0x7f800000, v9, vcc_lo
	s_delay_alu instid0(VALU_DEP_1) | instskip(SKIP_3) | instid1(VALU_DEP_1)
	v_add_f32_e32 v5, v5, v3
	ds_bpermute_b32 v9, v18, v5
	s_waitcnt lgkmcnt(0)
	v_add_f32_e32 v5, v5, v9
	v_div_scale_f32 v9, null, v5, v5, 1.0
	v_div_scale_f32 v12, vcc_lo, 1.0, v5, 1.0
	s_delay_alu instid0(VALU_DEP_2) | instskip(SKIP_2) | instid1(VALU_DEP_1)
	v_rcp_f32_e32 v10, v9
	s_waitcnt_depctr 0xfff
	v_fma_f32 v11, -v9, v10, 1.0
	v_fmac_f32_e32 v10, v11, v10
	s_delay_alu instid0(VALU_DEP_1) | instskip(NEXT) | instid1(VALU_DEP_1)
	v_mul_f32_e32 v11, v12, v10
	v_fma_f32 v13, -v9, v11, v12
	s_delay_alu instid0(VALU_DEP_1) | instskip(NEXT) | instid1(VALU_DEP_1)
	v_fmac_f32_e32 v11, v13, v10
	v_fma_f32 v9, -v9, v11, v12
	s_delay_alu instid0(VALU_DEP_1) | instskip(NEXT) | instid1(VALU_DEP_1)
	v_div_fmas_f32 v9, v9, v10, v11
	v_div_fixup_f32 v5, v9, v5, 1.0
	s_delay_alu instid0(VALU_DEP_1)
	v_mul_f32_e32 v0, v5, v0
	v_mul_f32_e32 v4, v5, v4
	;; [unrolled: 1-line block ×5, first 2 shown]
	v_cmp_class_f32_e64 vcc_lo, v0, 0x1f8
	v_mul_f32_e32 v10, v5, v2
	v_mul_f32_e32 v11, v5, v3
	v_dual_mul_f32 v7, v5, v7 :: v_dual_cndmask_b32 v0, 0, v0
	v_cmp_class_f32_e64 vcc_lo, v4, 0x1f8
	v_cndmask_b32_e32 v1, 0, v4, vcc_lo
	v_cmp_class_f32_e64 vcc_lo, v6, 0x1f8
	v_cndmask_b32_e32 v2, 0, v6, vcc_lo
	;; [unrolled: 2-line block ×7, first 2 shown]
	s_cbranch_scc1 .LBB177_19
; %bb.4:
	v_lshlrev_b32_e32 v12, 2, v19
	s_clause 0x1
	global_load_b128 v[8:11], v12, s[2:3]
	global_load_b128 v[12:15], v12, s[2:3] offset:16
	s_waitcnt vmcnt(1)
	v_dual_add_f32 v9, v9, v1 :: v_dual_add_f32 v8, v8, v0
	v_dual_add_f32 v11, v11, v3 :: v_dual_add_f32 v10, v10, v2
	s_waitcnt vmcnt(0)
	v_dual_add_f32 v13, v13, v5 :: v_dual_add_f32 v12, v12, v4
	v_dual_add_f32 v15, v15, v7 :: v_dual_add_f32 v14, v14, v6
	s_cbranch_execnz .LBB177_6
.LBB177_5:
	v_dual_mov_b32 v15, v7 :: v_dual_mov_b32 v14, v6
	v_dual_mov_b32 v13, v5 :: v_dual_mov_b32 v12, v4
	;; [unrolled: 1-line block ×4, first 2 shown]
.LBB177_6:
	s_load_b128 s[4:7], s[0:1], 0x30
	v_cmp_eq_u32_e64 s2, 0, v17
	s_waitcnt lgkmcnt(0)
	s_bitcmp1_b32 s7, 0
	s_mov_b32 s7, 0
	s_cselect_b32 vcc_lo, -1, 0
	s_cmp_gt_i32 s4, 0
	s_cselect_b32 s3, -1, 0
	s_cmp_lt_i32 s4, 1
	s_cbranch_scc1 .LBB177_20
; %bb.7:
	s_load_b128 s[8:11], s[0:1], 0x20
	v_mul_lo_u32 v21, v16, s4
	v_mov_b32_e32 v20, 0
	v_mov_b32_e32 v22, v16
	s_branch .LBB177_10
.LBB177_8:                              ;   in Loop: Header=BB177_10 Depth=1
	s_or_b32 exec_lo, exec_lo, s1
.LBB177_9:                              ;   in Loop: Header=BB177_10 Depth=1
	v_add_nc_u32_e32 v22, s14, v22
	s_cmp_eq_u32 s4, s7
	s_cbranch_scc1 .LBB177_21
.LBB177_10:                             ; =>This Inner Loop Header: Depth=1
	v_cmp_gt_f32_e64 s0, v9, v8
	s_mov_b32 s17, exec_lo
	s_delay_alu instid0(VALU_DEP_1) | instskip(SKIP_2) | instid1(VALU_DEP_3)
	v_cndmask_b32_e64 v23, v8, v9, s0
	v_cndmask_b32_e64 v24, 0, 1, s0
	;; [unrolled: 1-line block ×3, first 2 shown]
	v_cmp_gt_f32_e64 s1, v10, v23
	s_delay_alu instid0(VALU_DEP_1) | instskip(NEXT) | instid1(VALU_DEP_4)
	v_cndmask_b32_e64 v23, v23, v10, s1
	v_cndmask_b32_e64 v24, v24, 2, s1
	s_delay_alu instid0(VALU_DEP_4) | instskip(NEXT) | instid1(VALU_DEP_3)
	v_cndmask_b32_e64 v25, v25, v2, s1
	v_cmp_gt_f32_e64 s0, v11, v23
	s_delay_alu instid0(VALU_DEP_1) | instskip(NEXT) | instid1(VALU_DEP_4)
	v_cndmask_b32_e64 v23, v23, v11, s0
	v_cndmask_b32_e64 v24, v24, 3, s0
	s_delay_alu instid0(VALU_DEP_4) | instskip(NEXT) | instid1(VALU_DEP_3)
	v_cndmask_b32_e64 v25, v25, v3, s0
	v_cmp_gt_f32_e64 s1, v12, v23
	s_delay_alu instid0(VALU_DEP_1) | instskip(NEXT) | instid1(VALU_DEP_4)
	v_cndmask_b32_e64 v23, v23, v12, s1
	v_cndmask_b32_e64 v24, v24, 4, s1
	s_delay_alu instid0(VALU_DEP_4) | instskip(NEXT) | instid1(VALU_DEP_3)
	v_cndmask_b32_e64 v25, v25, v4, s1
	v_cmp_gt_f32_e64 s0, v13, v23
	s_delay_alu instid0(VALU_DEP_1) | instskip(NEXT) | instid1(VALU_DEP_4)
	v_cndmask_b32_e64 v23, v23, v13, s0
	v_cndmask_b32_e64 v24, v24, 5, s0
	s_delay_alu instid0(VALU_DEP_4) | instskip(NEXT) | instid1(VALU_DEP_3)
	v_cndmask_b32_e64 v25, v25, v5, s0
	v_cmp_gt_f32_e64 s1, v14, v23
	s_delay_alu instid0(VALU_DEP_1) | instskip(NEXT) | instid1(VALU_DEP_4)
	v_cndmask_b32_e64 v23, v23, v14, s1
	v_cndmask_b32_e64 v24, v24, 6, s1
	s_delay_alu instid0(VALU_DEP_4) | instskip(NEXT) | instid1(VALU_DEP_3)
	v_cndmask_b32_e64 v25, v25, v6, s1
	v_cmp_gt_f32_e64 s0, v15, v23
	s_delay_alu instid0(VALU_DEP_1) | instskip(NEXT) | instid1(VALU_DEP_4)
	v_cndmask_b32_e64 v27, v23, v15, s0
	v_cndmask_b32_e64 v23, v24, 7, s0
	s_delay_alu instid0(VALU_DEP_4)
	v_cndmask_b32_e64 v24, v25, v7, s0
	ds_bpermute_b32 v28, v18, v27
	v_or_b32_e32 v23, v19, v23
	ds_bpermute_b32 v26, v18, v24
	ds_bpermute_b32 v25, v18, v23
	s_waitcnt lgkmcnt(0)
	v_cmp_lt_f32_e64 s16, v27, v28
	v_cmpx_nlt_f32_e32 v27, v28
	s_cbranch_execnz .LBB177_14
; %bb.11:                               ;   in Loop: Header=BB177_10 Depth=1
	s_or_b32 exec_lo, exec_lo, s17
	s_delay_alu instid0(VALU_DEP_2)
	s_and_saveexec_b32 s0, s16
	s_cbranch_execnz .LBB177_15
.LBB177_12:                             ;   in Loop: Header=BB177_10 Depth=1
	s_or_b32 exec_lo, exec_lo, s0
	s_and_saveexec_b32 s16, s2
	s_cbranch_execnz .LBB177_16
.LBB177_13:                             ;   in Loop: Header=BB177_10 Depth=1
	s_or_b32 exec_lo, exec_lo, s16
	s_add_i32 s7, s7, 1
	s_delay_alu instid0(SALU_CYCLE_1)
	s_cmp_ge_i32 s7, s4
	s_cbranch_scc1 .LBB177_9
	s_branch .LBB177_17
.LBB177_14:                             ;   in Loop: Header=BB177_10 Depth=1
	v_cmp_eq_f32_e64 s0, v27, v28
	v_cmp_lt_i32_e64 s1, v25, v23
	s_delay_alu instid0(VALU_DEP_1) | instskip(SKIP_2) | instid1(SALU_CYCLE_1)
	s_and_b32 s0, s0, s1
	s_and_not1_b32 s1, s16, exec_lo
	s_and_b32 s0, s0, exec_lo
	s_or_b32 s16, s1, s0
	s_or_b32 exec_lo, exec_lo, s17
	s_and_saveexec_b32 s0, s16
	s_cbranch_execz .LBB177_12
.LBB177_15:                             ;   in Loop: Header=BB177_10 Depth=1
	v_dual_mov_b32 v24, v26 :: v_dual_mov_b32 v23, v25
	s_or_b32 exec_lo, exec_lo, s0
	s_and_saveexec_b32 s16, s2
	s_cbranch_execz .LBB177_13
.LBB177_16:                             ;   in Loop: Header=BB177_10 Depth=1
	v_add_nc_u32_e32 v25, s7, v21
	v_subrev_nc_u32_e32 v29, s5, v23
	v_cmp_le_i32_e64 s0, s5, v23
	v_cmp_gt_i32_e64 s1, s6, v23
	v_add_f32_e32 v33, v20, v24
	v_ashrrev_i32_e32 v26, 31, v25
	v_ashrrev_i32_e32 v30, 31, v29
	s_delay_alu instid0(VALU_DEP_4) | instskip(NEXT) | instid1(VALU_DEP_3)
	s_and_b32 s0, s0, s1
	v_cndmask_b32_e32 v20, v20, v33, vcc_lo
	s_delay_alu instid0(VALU_DEP_3) | instskip(SKIP_2) | instid1(SALU_CYCLE_1)
	v_lshlrev_b64 v[27:28], 2, v[25:26]
	v_lshlrev_b64 v[25:26], 3, v[25:26]
	s_and_b32 s0, s15, s0
	v_cndmask_b32_e64 v30, 0, v30, s0
	v_cndmask_b32_e64 v29, 16, v29, s0
	s_delay_alu instid0(VALU_DEP_4) | instskip(NEXT) | instid1(VALU_DEP_1)
	v_add_co_u32 v31, s0, s12, v27
	v_add_co_ci_u32_e64 v32, s0, s13, v28, s0
	v_add_co_u32 v25, s0, s8, v25
	s_delay_alu instid0(VALU_DEP_1) | instskip(SKIP_1) | instid1(VALU_DEP_1)
	v_add_co_ci_u32_e64 v26, s0, s9, v26, s0
	v_add_co_u32 v27, s0, s10, v27
	v_add_co_ci_u32_e64 v28, s0, s11, v28, s0
	global_store_b32 v[31:32], v24, off
	global_store_b64 v[25:26], v[29:30], off
	global_store_b32 v[27:28], v22, off
	s_or_b32 exec_lo, exec_lo, s16
	s_add_i32 s7, s7, 1
	s_delay_alu instid0(SALU_CYCLE_1)
	s_cmp_ge_i32 s7, s4
	s_cbranch_scc1 .LBB177_9
.LBB177_17:                             ;   in Loop: Header=BB177_10 Depth=1
	v_ashrrev_i32_e32 v25, 31, v23
	s_mov_b32 s1, exec_lo
	s_delay_alu instid0(VALU_DEP_1) | instskip(NEXT) | instid1(VALU_DEP_1)
	v_lshrrev_b32_e32 v24, 29, v25
	v_add_nc_u32_e32 v26, v23, v24
	s_delay_alu instid0(VALU_DEP_1) | instskip(SKIP_1) | instid1(VALU_DEP_1)
	v_ashrrev_i32_e32 v24, 3, v26
	v_lshrrev_b32_e32 v26, 31, v26
	v_add_nc_u32_e32 v26, v24, v26
	s_delay_alu instid0(VALU_DEP_1) | instskip(NEXT) | instid1(VALU_DEP_1)
	v_and_b32_e32 v26, -2, v26
	v_sub_nc_u32_e32 v26, v24, v26
	s_delay_alu instid0(VALU_DEP_1)
	v_cmpx_eq_u32_e64 v17, v26
	s_cbranch_execz .LBB177_8
; %bb.18:                               ;   in Loop: Header=BB177_10 Depth=1
	v_lshrrev_b32_e32 v25, 28, v25
	v_lshlrev_b32_e32 v24, 3, v24
	s_delay_alu instid0(VALU_DEP_2) | instskip(NEXT) | instid1(VALU_DEP_2)
	v_add_nc_u32_e32 v25, v23, v25
	v_sub_nc_u32_e32 v23, v23, v24
	s_delay_alu instid0(VALU_DEP_2) | instskip(NEXT) | instid1(VALU_DEP_1)
	v_ashrrev_i32_e32 v24, 4, v25
	v_lshl_add_u32 v23, v24, 3, v23
	s_delay_alu instid0(VALU_DEP_1) | instskip(NEXT) | instid1(VALU_DEP_1)
	v_cmp_ne_u32_e64 s0, 7, v23
	v_cndmask_b32_e64 v15, 0xc61c4000, v15, s0
	v_cmp_ne_u32_e64 s0, 6, v23
	s_delay_alu instid0(VALU_DEP_1) | instskip(SKIP_1) | instid1(VALU_DEP_1)
	v_cndmask_b32_e64 v14, 0xc61c4000, v14, s0
	v_cmp_ne_u32_e64 s0, 5, v23
	v_cndmask_b32_e64 v13, 0xc61c4000, v13, s0
	v_cmp_ne_u32_e64 s0, 4, v23
	s_delay_alu instid0(VALU_DEP_1) | instskip(SKIP_1) | instid1(VALU_DEP_1)
	v_cndmask_b32_e64 v12, 0xc61c4000, v12, s0
	;; [unrolled: 5-line block ×3, first 2 shown]
	v_cmp_ne_u32_e64 s0, 1, v23
	v_cndmask_b32_e64 v9, 0xc61c4000, v9, s0
	v_cmp_ne_u32_e64 s0, 0, v23
	s_delay_alu instid0(VALU_DEP_1)
	v_cndmask_b32_e64 v8, 0xc61c4000, v8, s0
	s_branch .LBB177_8
.LBB177_19:
                                        ; implicit-def: $vgpr8_vgpr9_vgpr10_vgpr11_vgpr12_vgpr13_vgpr14_vgpr15
	s_and_not1_b32 vcc_lo, exec_lo, s8
	s_cbranch_vccz .LBB177_5
	s_branch .LBB177_6
.LBB177_20:
	v_mov_b32_e32 v20, 0
.LBB177_21:
	v_cmp_eq_u32_e64 s0, 0, v17
	s_delay_alu instid0(VALU_DEP_1) | instskip(NEXT) | instid1(SALU_CYCLE_1)
	s_and_b32 s0, s0, vcc_lo
	s_and_b32 exec_lo, exec_lo, s0
	s_cbranch_execz .LBB177_25
; %bb.22:
	s_and_not1_b32 vcc_lo, exec_lo, s3
	s_cbranch_vccnz .LBB177_25
; %bb.23:
	v_mul_lo_u32 v0, v16, s4
	v_cmp_lt_f32_e32 vcc_lo, 0, v20
	v_cndmask_b32_e32 v2, 1.0, v20, vcc_lo
	s_delay_alu instid0(VALU_DEP_3) | instskip(NEXT) | instid1(VALU_DEP_1)
	v_ashrrev_i32_e32 v1, 31, v0
	v_lshlrev_b64 v[0:1], 2, v[0:1]
	s_delay_alu instid0(VALU_DEP_1) | instskip(NEXT) | instid1(VALU_DEP_2)
	v_add_co_u32 v0, vcc_lo, s12, v0
	v_add_co_ci_u32_e32 v1, vcc_lo, s13, v1, vcc_lo
	.p2align	6
.LBB177_24:                             ; =>This Inner Loop Header: Depth=1
	global_load_b32 v3, v[0:1], off
	s_add_i32 s4, s4, -1
	s_delay_alu instid0(SALU_CYCLE_1) | instskip(SKIP_3) | instid1(VALU_DEP_2)
	s_cmp_lg_u32 s4, 0
	s_waitcnt vmcnt(0)
	v_div_scale_f32 v4, null, v2, v2, v3
	v_div_scale_f32 v7, vcc_lo, v3, v2, v3
	v_rcp_f32_e32 v5, v4
	s_waitcnt_depctr 0xfff
	v_fma_f32 v6, -v4, v5, 1.0
	s_delay_alu instid0(VALU_DEP_1) | instskip(NEXT) | instid1(VALU_DEP_1)
	v_fmac_f32_e32 v5, v6, v5
	v_mul_f32_e32 v6, v7, v5
	s_delay_alu instid0(VALU_DEP_1) | instskip(NEXT) | instid1(VALU_DEP_1)
	v_fma_f32 v8, -v4, v6, v7
	v_fmac_f32_e32 v6, v8, v5
	s_delay_alu instid0(VALU_DEP_1) | instskip(NEXT) | instid1(VALU_DEP_1)
	v_fma_f32 v4, -v4, v6, v7
	v_div_fmas_f32 v4, v4, v5, v6
	s_delay_alu instid0(VALU_DEP_1)
	v_div_fixup_f32 v3, v4, v2, v3
	global_store_b32 v[0:1], v3, off
	v_add_co_u32 v0, vcc_lo, v0, 4
	v_add_co_ci_u32_e32 v1, vcc_lo, 0, v1, vcc_lo
	s_cbranch_scc1 .LBB177_24
.LBB177_25:
	s_nop 0
	s_sendmsg sendmsg(MSG_DEALLOC_VGPRS)
	s_endpgm
	.section	.rodata,"a",@progbits
	.p2align	6, 0x0
	.amdhsa_kernel _ZN4vllm3moe10topkGatingILi8ELi16ELi4ELi16ELi32El14__hip_bfloat16LNS0_11ScoringFuncE0EEEvPKT5_PKbPfiPT4_PiiiibPKf
		.amdhsa_group_segment_fixed_size 0
		.amdhsa_private_segment_fixed_size 0
		.amdhsa_kernarg_size 72
		.amdhsa_user_sgpr_count 15
		.amdhsa_user_sgpr_dispatch_ptr 0
		.amdhsa_user_sgpr_queue_ptr 0
		.amdhsa_user_sgpr_kernarg_segment_ptr 1
		.amdhsa_user_sgpr_dispatch_id 0
		.amdhsa_user_sgpr_private_segment_size 0
		.amdhsa_wavefront_size32 1
		.amdhsa_uses_dynamic_stack 0
		.amdhsa_enable_private_segment 0
		.amdhsa_system_sgpr_workgroup_id_x 1
		.amdhsa_system_sgpr_workgroup_id_y 0
		.amdhsa_system_sgpr_workgroup_id_z 0
		.amdhsa_system_sgpr_workgroup_info 0
		.amdhsa_system_vgpr_workitem_id 1
		.amdhsa_next_free_vgpr 35
		.amdhsa_next_free_sgpr 18
		.amdhsa_reserve_vcc 1
		.amdhsa_float_round_mode_32 0
		.amdhsa_float_round_mode_16_64 0
		.amdhsa_float_denorm_mode_32 3
		.amdhsa_float_denorm_mode_16_64 3
		.amdhsa_dx10_clamp 1
		.amdhsa_ieee_mode 1
		.amdhsa_fp16_overflow 0
		.amdhsa_workgroup_processor_mode 1
		.amdhsa_memory_ordered 1
		.amdhsa_forward_progress 0
		.amdhsa_shared_vgpr_count 0
		.amdhsa_exception_fp_ieee_invalid_op 0
		.amdhsa_exception_fp_denorm_src 0
		.amdhsa_exception_fp_ieee_div_zero 0
		.amdhsa_exception_fp_ieee_overflow 0
		.amdhsa_exception_fp_ieee_underflow 0
		.amdhsa_exception_fp_ieee_inexact 0
		.amdhsa_exception_int_div_zero 0
	.end_amdhsa_kernel
	.section	.text._ZN4vllm3moe10topkGatingILi8ELi16ELi4ELi16ELi32El14__hip_bfloat16LNS0_11ScoringFuncE0EEEvPKT5_PKbPfiPT4_PiiiibPKf,"axG",@progbits,_ZN4vllm3moe10topkGatingILi8ELi16ELi4ELi16ELi32El14__hip_bfloat16LNS0_11ScoringFuncE0EEEvPKT5_PKbPfiPT4_PiiiibPKf,comdat
.Lfunc_end177:
	.size	_ZN4vllm3moe10topkGatingILi8ELi16ELi4ELi16ELi32El14__hip_bfloat16LNS0_11ScoringFuncE0EEEvPKT5_PKbPfiPT4_PiiiibPKf, .Lfunc_end177-_ZN4vllm3moe10topkGatingILi8ELi16ELi4ELi16ELi32El14__hip_bfloat16LNS0_11ScoringFuncE0EEEvPKT5_PKbPfiPT4_PiiiibPKf
                                        ; -- End function
	.section	.AMDGPU.csdata,"",@progbits
; Kernel info:
; codeLenInByte = 2852
; NumSgprs: 20
; NumVgprs: 35
; ScratchSize: 0
; MemoryBound: 0
; FloatMode: 240
; IeeeMode: 1
; LDSByteSize: 0 bytes/workgroup (compile time only)
; SGPRBlocks: 2
; VGPRBlocks: 4
; NumSGPRsForWavesPerEU: 20
; NumVGPRsForWavesPerEU: 35
; Occupancy: 16
; WaveLimiterHint : 0
; COMPUTE_PGM_RSRC2:SCRATCH_EN: 0
; COMPUTE_PGM_RSRC2:USER_SGPR: 15
; COMPUTE_PGM_RSRC2:TRAP_HANDLER: 0
; COMPUTE_PGM_RSRC2:TGID_X_EN: 1
; COMPUTE_PGM_RSRC2:TGID_Y_EN: 0
; COMPUTE_PGM_RSRC2:TGID_Z_EN: 0
; COMPUTE_PGM_RSRC2:TIDIG_COMP_CNT: 1
	.section	.text._ZN4vllm3moe10topkGatingILi8ELi32ELi4ELi16ELi64El14__hip_bfloat16LNS0_11ScoringFuncE0EEEvPKT5_PKbPfiPT4_PiiiibPKf,"axG",@progbits,_ZN4vllm3moe10topkGatingILi8ELi32ELi4ELi16ELi64El14__hip_bfloat16LNS0_11ScoringFuncE0EEEvPKT5_PKbPfiPT4_PiiiibPKf,comdat
	.protected	_ZN4vllm3moe10topkGatingILi8ELi32ELi4ELi16ELi64El14__hip_bfloat16LNS0_11ScoringFuncE0EEEvPKT5_PKbPfiPT4_PiiiibPKf ; -- Begin function _ZN4vllm3moe10topkGatingILi8ELi32ELi4ELi16ELi64El14__hip_bfloat16LNS0_11ScoringFuncE0EEEvPKT5_PKbPfiPT4_PiiiibPKf
	.globl	_ZN4vllm3moe10topkGatingILi8ELi32ELi4ELi16ELi64El14__hip_bfloat16LNS0_11ScoringFuncE0EEEvPKT5_PKbPfiPT4_PiiiibPKf
	.p2align	8
	.type	_ZN4vllm3moe10topkGatingILi8ELi32ELi4ELi16ELi64El14__hip_bfloat16LNS0_11ScoringFuncE0EEEvPKT5_PKbPfiPT4_PiiiibPKf,@function
_ZN4vllm3moe10topkGatingILi8ELi32ELi4ELi16ELi64El14__hip_bfloat16LNS0_11ScoringFuncE0EEEvPKT5_PKbPfiPT4_PiiiibPKf: ; @_ZN4vllm3moe10topkGatingILi8ELi32ELi4ELi16ELi64El14__hip_bfloat16LNS0_11ScoringFuncE0EEEvPKT5_PKbPfiPT4_PiiiibPKf
; %bb.0:
	s_load_b32 s14, s[0:1], 0x18
	v_bfe_u32 v1, v0, 10, 10
	v_and_b32_e32 v0, 0x3ff, v0
	s_lshl_b32 s2, s15, 6
	s_delay_alu instid0(VALU_DEP_2) | instskip(NEXT) | instid1(VALU_DEP_2)
	v_lshlrev_b32_e32 v1, 4, v1
	v_lshrrev_b32_e32 v2, 2, v0
	s_delay_alu instid0(VALU_DEP_1) | instskip(SKIP_2) | instid1(VALU_DEP_1)
	v_add3_u32 v16, s2, v1, v2
	s_mov_b32 s2, exec_lo
	s_waitcnt lgkmcnt(0)
	v_cmpx_gt_i32_e64 s14, v16
	s_cbranch_execz .LBB178_29
; %bb.1:
	s_clause 0x1
	s_load_b128 s[4:7], s[0:1], 0x0
	s_load_b64 s[12:13], s[0:1], 0x10
	s_mov_b32 s8, -1
	s_mov_b32 s15, -1
	s_waitcnt lgkmcnt(0)
	s_cmp_eq_u64 s[6:7], 0
	s_cbranch_scc1 .LBB178_3
; %bb.2:
	v_ashrrev_i32_e32 v2, 31, v16
	v_add_co_u32 v1, vcc_lo, s6, v16
	s_delay_alu instid0(VALU_DEP_2) | instskip(SKIP_3) | instid1(VALU_DEP_1)
	v_add_co_ci_u32_e32 v2, vcc_lo, s7, v2, vcc_lo
	global_load_u8 v1, v[1:2], off
	s_waitcnt vmcnt(0)
	v_and_b32_e32 v1, 1, v1
	v_cmp_eq_u32_e32 vcc_lo, 1, v1
	s_xor_b32 s2, vcc_lo, -1
	s_delay_alu instid0(SALU_CYCLE_1)
	s_or_not1_b32 s15, s2, exec_lo
.LBB178_3:
	v_lshlrev_b32_e32 v1, 5, v16
	v_and_b32_e32 v17, 3, v0
	v_mbcnt_lo_u32_b32 v5, -1, 0
	s_load_b64 s[2:3], s[0:1], 0x40
	s_delay_alu instid0(VALU_DEP_3) | instskip(NEXT) | instid1(VALU_DEP_2)
	v_ashrrev_i32_e32 v2, 31, v1
	v_xor_b32_e32 v9, 2, v5
	v_xor_b32_e32 v12, 1, v5
	v_and_b32_e32 v8, 28, v5
	s_delay_alu instid0(VALU_DEP_4) | instskip(SKIP_1) | instid1(VALU_DEP_2)
	v_lshlrev_b64 v[0:1], 1, v[1:2]
	v_lshlrev_b32_e32 v2, 4, v17
	v_add_co_u32 v0, vcc_lo, s4, v0
	s_delay_alu instid0(VALU_DEP_3) | instskip(NEXT) | instid1(VALU_DEP_2)
	v_add_co_ci_u32_e32 v1, vcc_lo, s5, v1, vcc_lo
	v_add_co_u32 v0, vcc_lo, v0, v2
	s_delay_alu instid0(VALU_DEP_2)
	v_add_co_ci_u32_e32 v1, vcc_lo, 0, v1, vcc_lo
	s_waitcnt lgkmcnt(0)
	s_cmp_eq_u64 s[2:3], 0
	global_load_b128 v[0:3], v[0:1], off
	s_waitcnt vmcnt(0)
	v_and_b32_e32 v4, 0xffff0000, v0
	v_lshlrev_b32_e32 v0, 16, v0
	v_lshlrev_b32_e32 v10, 16, v1
	s_delay_alu instid0(VALU_DEP_3) | instskip(NEXT) | instid1(VALU_DEP_3)
	v_dual_max_f32 v6, v4, v4 :: v_dual_and_b32 v1, 0xffff0000, v1
	v_max_f32_e32 v7, v0, v0
	s_delay_alu instid0(VALU_DEP_1) | instskip(SKIP_2) | instid1(VALU_DEP_3)
	v_dual_max_f32 v6, v7, v6 :: v_dual_add_nc_u32 v7, 4, v8
	v_lshlrev_b32_e32 v8, 16, v2
	v_and_b32_e32 v2, 0xffff0000, v2
	v_max3_f32 v6, v6, v10, v1
	s_delay_alu instid0(VALU_DEP_4) | instskip(NEXT) | instid1(VALU_DEP_2)
	v_cmp_lt_i32_e32 vcc_lo, v9, v7
	v_max3_f32 v6, v6, v8, v2
	v_cndmask_b32_e32 v9, v5, v9, vcc_lo
	v_lshlrev_b32_e32 v11, 16, v3
	v_and_b32_e32 v3, 0xffff0000, v3
	v_cmp_lt_i32_e32 vcc_lo, v12, v7
	s_delay_alu instid0(VALU_DEP_4) | instskip(NEXT) | instid1(VALU_DEP_3)
	v_lshlrev_b32_e32 v18, 2, v9
	v_max3_f32 v6, v6, v11, v3
	v_cndmask_b32_e32 v5, v5, v12, vcc_lo
	ds_bpermute_b32 v9, v18, v6
	v_lshlrev_b32_e32 v19, 2, v5
	s_waitcnt lgkmcnt(0)
	v_max_f32_e32 v7, v9, v9
	s_delay_alu instid0(VALU_DEP_1) | instskip(SKIP_3) | instid1(VALU_DEP_1)
	v_max_f32_e32 v5, v6, v7
	ds_bpermute_b32 v6, v19, v5
	s_waitcnt lgkmcnt(0)
	v_max_f32_e32 v6, v6, v6
	v_max_f32_e32 v5, v5, v6
	s_delay_alu instid0(VALU_DEP_1)
	v_sub_f32_e32 v0, v0, v5
	v_sub_f32_e32 v4, v4, v5
	;; [unrolled: 1-line block ×6, first 2 shown]
	v_dual_sub_f32 v8, v11, v5 :: v_dual_mul_f32 v9, 0x3fb8aa3b, v4
	s_delay_alu instid0(VALU_DEP_3) | instskip(SKIP_1) | instid1(VALU_DEP_3)
	v_dual_sub_f32 v3, v3, v5 :: v_dual_mul_f32 v12, 0x3fb8aa3b, v7
	v_dual_mul_f32 v5, 0x3fb8aa3b, v0 :: v_dual_mul_f32 v10, 0x3fb8aa3b, v6
	v_dual_mul_f32 v11, 0x3fb8aa3b, v1 :: v_dual_mul_f32 v14, 0x3fb8aa3b, v8
	s_delay_alu instid0(VALU_DEP_4) | instskip(NEXT) | instid1(VALU_DEP_3)
	v_fma_f32 v22, 0x3fb8aa3b, v4, -v9
	v_fma_f32 v20, 0x3fb8aa3b, v0, -v5
	v_rndne_f32_e32 v21, v5
	v_rndne_f32_e32 v23, v9
	;; [unrolled: 1-line block ×3, first 2 shown]
	v_mul_f32_e32 v13, 0x3fb8aa3b, v2
	v_fma_f32 v28, 0x3fb8aa3b, v7, -v12
	v_dual_fmac_f32 v20, 0x32a5705f, v0 :: v_dual_sub_f32 v5, v5, v21
	v_fma_f32 v24, 0x3fb8aa3b, v6, -v10
	v_fma_f32 v26, 0x3fb8aa3b, v1, -v11
	v_rndne_f32_e32 v29, v12
	v_mul_f32_e32 v15, 0x3fb8aa3b, v3
	v_fma_f32 v32, 0x3fb8aa3b, v8, -v14
	v_dual_fmac_f32 v22, 0x32a5705f, v4 :: v_dual_sub_f32 v9, v9, v23
	v_sub_f32_e32 v10, v10, v25
	v_fma_f32 v30, 0x3fb8aa3b, v2, -v13
	v_rndne_f32_e32 v31, v13
	v_dual_fmac_f32 v28, 0x32a5705f, v7 :: v_dual_add_f32 v5, v5, v20
	v_rndne_f32_e32 v27, v11
	v_fmac_f32_e32 v24, 0x32a5705f, v6
	s_delay_alu instid0(VALU_DEP_4)
	v_dual_fmac_f32 v26, 0x32a5705f, v1 :: v_dual_sub_f32 v13, v13, v31
	v_sub_f32_e32 v12, v12, v29
	v_fma_f32 v34, 0x3fb8aa3b, v3, -v15
	v_rndne_f32_e32 v35, v15
	v_fmac_f32_e32 v30, 0x32a5705f, v2
	v_dual_fmac_f32 v32, 0x32a5705f, v8 :: v_dual_add_f32 v9, v9, v22
	v_exp_f32_e32 v5, v5
	v_rndne_f32_e32 v33, v14
	v_cvt_i32_f32_e32 v21, v21
	v_sub_f32_e32 v11, v11, v27
	v_sub_f32_e32 v15, v15, v35
	v_dual_fmac_f32 v34, 0x32a5705f, v3 :: v_dual_add_f32 v13, v13, v30
	v_add_f32_e32 v10, v10, v24
	v_exp_f32_e32 v9, v9
	v_cvt_i32_f32_e32 v23, v23
	s_delay_alu instid0(VALU_DEP_3)
	v_dual_add_f32 v15, v15, v34 :: v_dual_sub_f32 v14, v14, v33
	v_add_f32_e32 v11, v11, v26
	v_exp_f32_e32 v10, v10
	v_ldexp_f32 v5, v5, v21
	v_cmp_ngt_f32_e32 vcc_lo, 0xc2ce8ed0, v0
	v_cvt_i32_f32_e32 v25, v25
	v_add_f32_e32 v12, v12, v28
	v_exp_f32_e32 v11, v11
	v_ldexp_f32 v9, v9, v23
	v_cndmask_b32_e32 v5, 0, v5, vcc_lo
	v_cmp_ngt_f32_e32 vcc_lo, 0xc2ce8ed0, v4
	v_cvt_i32_f32_e32 v27, v27
	v_add_f32_e32 v14, v14, v32
	v_ldexp_f32 v10, v10, v25
	v_exp_f32_e32 v12, v12
	v_cndmask_b32_e32 v9, 0, v9, vcc_lo
	v_cmp_ngt_f32_e32 vcc_lo, 0xc2ce8ed0, v6
	v_ldexp_f32 v11, v11, v27
	v_cvt_i32_f32_e32 v29, v29
	v_exp_f32_e32 v13, v13
	v_cvt_i32_f32_e32 v31, v31
	v_cndmask_b32_e32 v10, 0, v10, vcc_lo
	v_cmp_nlt_f32_e32 vcc_lo, 0x42b17218, v0
	v_exp_f32_e32 v14, v14
	v_ldexp_f32 v12, v12, v29
	v_cvt_i32_f32_e32 v20, v33
	v_exp_f32_e32 v15, v15
	v_cndmask_b32_e32 v0, 0x7f800000, v5, vcc_lo
	v_cmp_nlt_f32_e32 vcc_lo, 0x42b17218, v4
	v_ldexp_f32 v13, v13, v31
	v_cvt_i32_f32_e32 v22, v35
	v_cndmask_b32_e32 v4, 0x7f800000, v9, vcc_lo
	v_cmp_ngt_f32_e32 vcc_lo, 0xc2ce8ed0, v1
	v_ldexp_f32 v14, v14, v20
	s_delay_alu instid0(TRANS32_DEP_1) | instid1(VALU_DEP_4)
	v_ldexp_f32 v15, v15, v22
	s_delay_alu instid0(VALU_DEP_4)
	v_dual_add_f32 v9, v0, v4 :: v_dual_lshlrev_b32 v20, 3, v17
	v_cndmask_b32_e32 v5, 0, v11, vcc_lo
	v_cmp_nlt_f32_e32 vcc_lo, 0x42b17218, v6
	v_cndmask_b32_e32 v6, 0x7f800000, v10, vcc_lo
	v_cmp_ngt_f32_e32 vcc_lo, 0xc2ce8ed0, v7
	v_cndmask_b32_e32 v10, 0, v12, vcc_lo
	v_cmp_nlt_f32_e32 vcc_lo, 0x42b17218, v1
	v_cndmask_b32_e32 v1, 0x7f800000, v5, vcc_lo
	v_cmp_ngt_f32_e32 vcc_lo, 0xc2ce8ed0, v2
	v_add_f32_e32 v5, v9, v6
	v_cndmask_b32_e32 v9, 0, v13, vcc_lo
	v_cmp_nlt_f32_e32 vcc_lo, 0x42b17218, v7
	v_cndmask_b32_e32 v7, 0x7f800000, v10, vcc_lo
	v_cmp_ngt_f32_e32 vcc_lo, 0xc2ce8ed0, v8
	v_dual_add_f32 v5, v5, v1 :: v_dual_cndmask_b32 v10, 0, v14
	v_cmp_nlt_f32_e32 vcc_lo, 0x42b17218, v2
	s_delay_alu instid0(VALU_DEP_2) | instskip(SKIP_1) | instid1(VALU_DEP_2)
	v_dual_add_f32 v5, v5, v7 :: v_dual_cndmask_b32 v2, 0x7f800000, v9
	v_cmp_ngt_f32_e32 vcc_lo, 0xc2ce8ed0, v3
	v_add_f32_e32 v5, v5, v2
	v_cndmask_b32_e32 v9, 0, v15, vcc_lo
	v_cmp_nlt_f32_e32 vcc_lo, 0x42b17218, v8
	v_cndmask_b32_e32 v8, 0x7f800000, v10, vcc_lo
	v_cmp_nlt_f32_e32 vcc_lo, 0x42b17218, v3
	s_delay_alu instid0(VALU_DEP_2) | instskip(SKIP_1) | instid1(VALU_DEP_1)
	v_add_f32_e32 v5, v5, v8
	v_cndmask_b32_e32 v3, 0x7f800000, v9, vcc_lo
	v_add_f32_e32 v5, v5, v3
	ds_bpermute_b32 v9, v18, v5
	s_waitcnt lgkmcnt(0)
	v_add_f32_e32 v5, v5, v9
	ds_bpermute_b32 v9, v19, v5
	s_waitcnt lgkmcnt(0)
	v_add_f32_e32 v5, v5, v9
	s_delay_alu instid0(VALU_DEP_1) | instskip(SKIP_1) | instid1(VALU_DEP_2)
	v_div_scale_f32 v9, null, v5, v5, 1.0
	v_div_scale_f32 v12, vcc_lo, 1.0, v5, 1.0
	v_rcp_f32_e32 v10, v9
	s_waitcnt_depctr 0xfff
	v_fma_f32 v11, -v9, v10, 1.0
	s_delay_alu instid0(VALU_DEP_1) | instskip(NEXT) | instid1(VALU_DEP_1)
	v_fmac_f32_e32 v10, v11, v10
	v_mul_f32_e32 v11, v12, v10
	s_delay_alu instid0(VALU_DEP_1) | instskip(NEXT) | instid1(VALU_DEP_1)
	v_fma_f32 v13, -v9, v11, v12
	v_fmac_f32_e32 v11, v13, v10
	s_delay_alu instid0(VALU_DEP_1) | instskip(NEXT) | instid1(VALU_DEP_1)
	v_fma_f32 v9, -v9, v11, v12
	v_div_fmas_f32 v9, v9, v10, v11
	s_delay_alu instid0(VALU_DEP_1) | instskip(NEXT) | instid1(VALU_DEP_1)
	v_div_fixup_f32 v5, v9, v5, 1.0
	v_mul_f32_e32 v0, v5, v0
	v_mul_f32_e32 v4, v5, v4
	;; [unrolled: 1-line block ×5, first 2 shown]
	v_cmp_class_f32_e64 vcc_lo, v0, 0x1f8
	v_mul_f32_e32 v11, v5, v3
	v_mul_f32_e32 v8, v5, v8
	v_cndmask_b32_e32 v0, 0, v0, vcc_lo
	v_cmp_class_f32_e64 vcc_lo, v4, 0x1f8
	v_dual_mul_f32 v6, v5, v6 :: v_dual_cndmask_b32 v1, 0, v4
	s_delay_alu instid0(VALU_DEP_1)
	v_cmp_class_f32_e64 vcc_lo, v6, 0x1f8
	v_cndmask_b32_e32 v2, 0, v6, vcc_lo
	v_cmp_class_f32_e64 vcc_lo, v9, 0x1f8
	v_cndmask_b32_e32 v3, 0, v9, vcc_lo
	;; [unrolled: 2-line block ×6, first 2 shown]
	s_cbranch_scc1 .LBB178_23
; %bb.4:
	v_lshlrev_b32_e32 v12, 2, v20
	s_clause 0x1
	global_load_b128 v[8:11], v12, s[2:3]
	global_load_b128 v[12:15], v12, s[2:3] offset:16
	s_waitcnt vmcnt(1)
	v_dual_add_f32 v9, v9, v1 :: v_dual_add_f32 v8, v8, v0
	v_dual_add_f32 v11, v11, v3 :: v_dual_add_f32 v10, v10, v2
	s_waitcnt vmcnt(0)
	v_dual_add_f32 v13, v13, v5 :: v_dual_add_f32 v12, v12, v4
	v_dual_add_f32 v15, v15, v7 :: v_dual_add_f32 v14, v14, v6
	s_cbranch_execnz .LBB178_6
.LBB178_5:
	v_dual_mov_b32 v15, v7 :: v_dual_mov_b32 v14, v6
	v_dual_mov_b32 v13, v5 :: v_dual_mov_b32 v12, v4
	;; [unrolled: 1-line block ×4, first 2 shown]
.LBB178_6:
	s_load_b128 s[4:7], s[0:1], 0x30
	v_cmp_eq_u32_e64 s2, 0, v17
	s_waitcnt lgkmcnt(0)
	s_bitcmp1_b32 s7, 0
	s_mov_b32 s7, 0
	s_cselect_b32 vcc_lo, -1, 0
	s_cmp_gt_i32 s4, 0
	s_cselect_b32 s3, -1, 0
	s_cmp_lt_i32 s4, 1
	s_cbranch_scc1 .LBB178_24
; %bb.7:
	s_load_b128 s[8:11], s[0:1], 0x20
	v_mul_lo_u32 v22, v16, s4
	v_mov_b32_e32 v21, 0
	v_mov_b32_e32 v23, v16
	s_branch .LBB178_10
.LBB178_8:                              ;   in Loop: Header=BB178_10 Depth=1
	s_or_b32 exec_lo, exec_lo, s1
.LBB178_9:                              ;   in Loop: Header=BB178_10 Depth=1
	v_add_nc_u32_e32 v23, s14, v23
	s_cmp_eq_u32 s4, s7
	s_cbranch_scc1 .LBB178_25
.LBB178_10:                             ; =>This Inner Loop Header: Depth=1
	v_cmp_gt_f32_e64 s0, v9, v8
	s_mov_b32 s17, exec_lo
	s_delay_alu instid0(VALU_DEP_1) | instskip(SKIP_2) | instid1(VALU_DEP_3)
	v_cndmask_b32_e64 v24, v8, v9, s0
	v_cndmask_b32_e64 v25, 0, 1, s0
	;; [unrolled: 1-line block ×3, first 2 shown]
	v_cmp_gt_f32_e64 s1, v10, v24
	s_delay_alu instid0(VALU_DEP_1) | instskip(NEXT) | instid1(VALU_DEP_4)
	v_cndmask_b32_e64 v24, v24, v10, s1
	v_cndmask_b32_e64 v25, v25, 2, s1
	s_delay_alu instid0(VALU_DEP_4) | instskip(NEXT) | instid1(VALU_DEP_3)
	v_cndmask_b32_e64 v26, v26, v2, s1
	v_cmp_gt_f32_e64 s0, v11, v24
	s_delay_alu instid0(VALU_DEP_1) | instskip(NEXT) | instid1(VALU_DEP_4)
	v_cndmask_b32_e64 v24, v24, v11, s0
	v_cndmask_b32_e64 v25, v25, 3, s0
	s_delay_alu instid0(VALU_DEP_4) | instskip(NEXT) | instid1(VALU_DEP_3)
	v_cndmask_b32_e64 v26, v26, v3, s0
	;; [unrolled: 6-line block ×4, first 2 shown]
	v_cmp_gt_f32_e64 s1, v14, v24
	s_delay_alu instid0(VALU_DEP_1) | instskip(NEXT) | instid1(VALU_DEP_4)
	v_cndmask_b32_e64 v24, v24, v14, s1
	v_cndmask_b32_e64 v25, v25, 6, s1
	s_waitcnt lgkmcnt(0)
	v_cndmask_b32_e64 v27, v26, v6, s1
	s_delay_alu instid0(VALU_DEP_3) | instskip(NEXT) | instid1(VALU_DEP_1)
	v_cmp_gt_f32_e64 s0, v15, v24
	v_cndmask_b32_e64 v26, v24, v15, s0
	v_cndmask_b32_e64 v24, v25, 7, s0
	s_delay_alu instid0(VALU_DEP_4)
	v_cndmask_b32_e64 v25, v27, v7, s0
	ds_bpermute_b32 v27, v18, v26
	v_or_b32_e32 v24, v20, v24
	ds_bpermute_b32 v29, v18, v25
	ds_bpermute_b32 v28, v18, v24
	s_waitcnt lgkmcnt(0)
	v_cmp_lt_f32_e64 s16, v26, v27
	v_cmpx_nlt_f32_e32 v26, v27
; %bb.11:                               ;   in Loop: Header=BB178_10 Depth=1
	v_cmp_eq_f32_e64 s0, v26, v27
	v_cmp_lt_i32_e64 s1, v28, v24
	s_delay_alu instid0(VALU_DEP_1) | instskip(SKIP_2) | instid1(SALU_CYCLE_1)
	s_and_b32 s0, s0, s1
	s_and_not1_b32 s1, s16, exec_lo
	s_and_b32 s0, s0, exec_lo
	s_or_b32 s16, s1, s0
; %bb.12:                               ;   in Loop: Header=BB178_10 Depth=1
	s_or_b32 exec_lo, exec_lo, s17
	s_and_saveexec_b32 s0, s16
; %bb.13:                               ;   in Loop: Header=BB178_10 Depth=1
	v_dual_mov_b32 v25, v29 :: v_dual_mov_b32 v26, v27
	v_mov_b32_e32 v24, v28
; %bb.14:                               ;   in Loop: Header=BB178_10 Depth=1
	s_or_b32 exec_lo, exec_lo, s0
	ds_bpermute_b32 v29, v19, v26
	ds_bpermute_b32 v28, v19, v25
	;; [unrolled: 1-line block ×3, first 2 shown]
	s_mov_b32 s17, exec_lo
	s_waitcnt lgkmcnt(2)
	v_cmp_lt_f32_e64 s16, v26, v29
	v_cmpx_nlt_f32_e32 v26, v29
	s_cbranch_execnz .LBB178_18
; %bb.15:                               ;   in Loop: Header=BB178_10 Depth=1
	s_or_b32 exec_lo, exec_lo, s17
	s_delay_alu instid0(VALU_DEP_2)
	s_and_saveexec_b32 s0, s16
	s_cbranch_execnz .LBB178_19
.LBB178_16:                             ;   in Loop: Header=BB178_10 Depth=1
	s_or_b32 exec_lo, exec_lo, s0
	s_and_saveexec_b32 s16, s2
	s_cbranch_execnz .LBB178_20
.LBB178_17:                             ;   in Loop: Header=BB178_10 Depth=1
	s_or_b32 exec_lo, exec_lo, s16
	s_add_i32 s7, s7, 1
	s_delay_alu instid0(SALU_CYCLE_1)
	s_cmp_ge_i32 s7, s4
	s_cbranch_scc1 .LBB178_9
	s_branch .LBB178_21
.LBB178_18:                             ;   in Loop: Header=BB178_10 Depth=1
	v_cmp_eq_f32_e64 s0, v26, v29
	s_waitcnt lgkmcnt(0)
	v_cmp_lt_i32_e64 s1, v27, v24
	s_delay_alu instid0(VALU_DEP_1) | instskip(SKIP_2) | instid1(SALU_CYCLE_1)
	s_and_b32 s0, s0, s1
	s_and_not1_b32 s1, s16, exec_lo
	s_and_b32 s0, s0, exec_lo
	s_or_b32 s16, s1, s0
	s_or_b32 exec_lo, exec_lo, s17
	s_and_saveexec_b32 s0, s16
	s_cbranch_execz .LBB178_16
.LBB178_19:                             ;   in Loop: Header=BB178_10 Depth=1
	s_waitcnt lgkmcnt(0)
	v_dual_mov_b32 v25, v28 :: v_dual_mov_b32 v24, v27
	s_or_b32 exec_lo, exec_lo, s0
	s_and_saveexec_b32 s16, s2
	s_cbranch_execz .LBB178_17
.LBB178_20:                             ;   in Loop: Header=BB178_10 Depth=1
	v_add_nc_u32_e32 v26, s7, v22
	v_subrev_nc_u32_e32 v30, s5, v24
	v_cmp_le_i32_e64 s0, s5, v24
	v_cmp_gt_i32_e64 s1, s6, v24
	v_add_f32_e32 v34, v21, v25
	s_waitcnt lgkmcnt(0)
	v_ashrrev_i32_e32 v27, 31, v26
	v_ashrrev_i32_e32 v31, 31, v30
	s_and_b32 s0, s0, s1
	v_cndmask_b32_e32 v21, v21, v34, vcc_lo
	s_delay_alu instid0(VALU_DEP_3) | instskip(SKIP_2) | instid1(SALU_CYCLE_1)
	v_lshlrev_b64 v[28:29], 2, v[26:27]
	v_lshlrev_b64 v[26:27], 3, v[26:27]
	s_and_b32 s0, s15, s0
	v_cndmask_b32_e64 v31, 0, v31, s0
	v_cndmask_b32_e64 v30, 32, v30, s0
	s_delay_alu instid0(VALU_DEP_4) | instskip(NEXT) | instid1(VALU_DEP_1)
	v_add_co_u32 v32, s0, s12, v28
	v_add_co_ci_u32_e64 v33, s0, s13, v29, s0
	v_add_co_u32 v26, s0, s8, v26
	s_delay_alu instid0(VALU_DEP_1) | instskip(SKIP_1) | instid1(VALU_DEP_1)
	v_add_co_ci_u32_e64 v27, s0, s9, v27, s0
	v_add_co_u32 v28, s0, s10, v28
	v_add_co_ci_u32_e64 v29, s0, s11, v29, s0
	global_store_b32 v[32:33], v25, off
	global_store_b64 v[26:27], v[30:31], off
	global_store_b32 v[28:29], v23, off
	s_or_b32 exec_lo, exec_lo, s16
	s_add_i32 s7, s7, 1
	s_delay_alu instid0(SALU_CYCLE_1)
	s_cmp_ge_i32 s7, s4
	s_cbranch_scc1 .LBB178_9
.LBB178_21:                             ;   in Loop: Header=BB178_10 Depth=1
	v_ashrrev_i32_e32 v26, 31, v24
	s_mov_b32 s1, exec_lo
	s_delay_alu instid0(VALU_DEP_1) | instskip(NEXT) | instid1(VALU_DEP_1)
	v_lshrrev_b32_e32 v25, 29, v26
	v_add_nc_u32_e32 v25, v24, v25
	s_delay_alu instid0(VALU_DEP_1) | instskip(SKIP_1) | instid1(VALU_DEP_1)
	v_ashrrev_i32_e32 v25, 3, v25
	s_waitcnt lgkmcnt(0)
	v_lshrrev_b32_e32 v27, 30, v25
	s_delay_alu instid0(VALU_DEP_1) | instskip(NEXT) | instid1(VALU_DEP_1)
	v_add_nc_u32_e32 v27, v25, v27
	v_and_b32_e32 v27, -4, v27
	s_delay_alu instid0(VALU_DEP_1) | instskip(NEXT) | instid1(VALU_DEP_1)
	v_sub_nc_u32_e32 v27, v25, v27
	v_cmpx_eq_u32_e64 v17, v27
	s_cbranch_execz .LBB178_8
; %bb.22:                               ;   in Loop: Header=BB178_10 Depth=1
	v_lshrrev_b32_e32 v26, 27, v26
	v_lshlrev_b32_e32 v25, 3, v25
	s_delay_alu instid0(VALU_DEP_2) | instskip(NEXT) | instid1(VALU_DEP_2)
	v_add_nc_u32_e32 v26, v24, v26
	v_sub_nc_u32_e32 v24, v24, v25
	s_delay_alu instid0(VALU_DEP_2) | instskip(NEXT) | instid1(VALU_DEP_1)
	v_ashrrev_i32_e32 v25, 5, v26
	v_lshl_add_u32 v24, v25, 3, v24
	s_delay_alu instid0(VALU_DEP_1) | instskip(NEXT) | instid1(VALU_DEP_1)
	v_cmp_ne_u32_e64 s0, 7, v24
	v_cndmask_b32_e64 v15, 0xc61c4000, v15, s0
	v_cmp_ne_u32_e64 s0, 6, v24
	s_delay_alu instid0(VALU_DEP_1) | instskip(SKIP_1) | instid1(VALU_DEP_1)
	v_cndmask_b32_e64 v14, 0xc61c4000, v14, s0
	v_cmp_ne_u32_e64 s0, 5, v24
	v_cndmask_b32_e64 v13, 0xc61c4000, v13, s0
	v_cmp_ne_u32_e64 s0, 4, v24
	s_delay_alu instid0(VALU_DEP_1) | instskip(SKIP_1) | instid1(VALU_DEP_1)
	v_cndmask_b32_e64 v12, 0xc61c4000, v12, s0
	;; [unrolled: 5-line block ×3, first 2 shown]
	v_cmp_ne_u32_e64 s0, 1, v24
	v_cndmask_b32_e64 v9, 0xc61c4000, v9, s0
	v_cmp_ne_u32_e64 s0, 0, v24
	s_delay_alu instid0(VALU_DEP_1)
	v_cndmask_b32_e64 v8, 0xc61c4000, v8, s0
	s_branch .LBB178_8
.LBB178_23:
                                        ; implicit-def: $vgpr8_vgpr9_vgpr10_vgpr11_vgpr12_vgpr13_vgpr14_vgpr15
	s_and_not1_b32 vcc_lo, exec_lo, s8
	s_cbranch_vccz .LBB178_5
	s_branch .LBB178_6
.LBB178_24:
	v_mov_b32_e32 v21, 0
.LBB178_25:
	v_cmp_eq_u32_e64 s0, 0, v17
	s_delay_alu instid0(VALU_DEP_1) | instskip(NEXT) | instid1(SALU_CYCLE_1)
	s_and_b32 s0, s0, vcc_lo
	s_and_b32 exec_lo, exec_lo, s0
	s_cbranch_execz .LBB178_29
; %bb.26:
	s_and_not1_b32 vcc_lo, exec_lo, s3
	s_cbranch_vccnz .LBB178_29
; %bb.27:
	v_mul_lo_u32 v0, v16, s4
	v_cmp_lt_f32_e32 vcc_lo, 0, v21
	v_cndmask_b32_e32 v2, 1.0, v21, vcc_lo
	s_delay_alu instid0(VALU_DEP_3) | instskip(NEXT) | instid1(VALU_DEP_1)
	v_ashrrev_i32_e32 v1, 31, v0
	v_lshlrev_b64 v[0:1], 2, v[0:1]
	s_delay_alu instid0(VALU_DEP_1) | instskip(NEXT) | instid1(VALU_DEP_2)
	v_add_co_u32 v0, vcc_lo, s12, v0
	v_add_co_ci_u32_e32 v1, vcc_lo, s13, v1, vcc_lo
	.p2align	6
.LBB178_28:                             ; =>This Inner Loop Header: Depth=1
	global_load_b32 v3, v[0:1], off
	s_add_i32 s4, s4, -1
	s_delay_alu instid0(SALU_CYCLE_1) | instskip(SKIP_3) | instid1(VALU_DEP_2)
	s_cmp_lg_u32 s4, 0
	s_waitcnt vmcnt(0)
	v_div_scale_f32 v4, null, v2, v2, v3
	v_div_scale_f32 v7, vcc_lo, v3, v2, v3
	v_rcp_f32_e32 v5, v4
	s_waitcnt_depctr 0xfff
	v_fma_f32 v6, -v4, v5, 1.0
	s_delay_alu instid0(VALU_DEP_1) | instskip(NEXT) | instid1(VALU_DEP_1)
	v_fmac_f32_e32 v5, v6, v5
	v_mul_f32_e32 v6, v7, v5
	s_delay_alu instid0(VALU_DEP_1) | instskip(NEXT) | instid1(VALU_DEP_1)
	v_fma_f32 v8, -v4, v6, v7
	v_fmac_f32_e32 v6, v8, v5
	s_delay_alu instid0(VALU_DEP_1) | instskip(NEXT) | instid1(VALU_DEP_1)
	v_fma_f32 v4, -v4, v6, v7
	v_div_fmas_f32 v4, v4, v5, v6
	s_delay_alu instid0(VALU_DEP_1)
	v_div_fixup_f32 v3, v4, v2, v3
	global_store_b32 v[0:1], v3, off
	v_add_co_u32 v0, vcc_lo, v0, 4
	v_add_co_ci_u32_e32 v1, vcc_lo, 0, v1, vcc_lo
	s_cbranch_scc1 .LBB178_28
.LBB178_29:
	s_nop 0
	s_sendmsg sendmsg(MSG_DEALLOC_VGPRS)
	s_endpgm
	.section	.rodata,"a",@progbits
	.p2align	6, 0x0
	.amdhsa_kernel _ZN4vllm3moe10topkGatingILi8ELi32ELi4ELi16ELi64El14__hip_bfloat16LNS0_11ScoringFuncE0EEEvPKT5_PKbPfiPT4_PiiiibPKf
		.amdhsa_group_segment_fixed_size 0
		.amdhsa_private_segment_fixed_size 0
		.amdhsa_kernarg_size 72
		.amdhsa_user_sgpr_count 15
		.amdhsa_user_sgpr_dispatch_ptr 0
		.amdhsa_user_sgpr_queue_ptr 0
		.amdhsa_user_sgpr_kernarg_segment_ptr 1
		.amdhsa_user_sgpr_dispatch_id 0
		.amdhsa_user_sgpr_private_segment_size 0
		.amdhsa_wavefront_size32 1
		.amdhsa_uses_dynamic_stack 0
		.amdhsa_enable_private_segment 0
		.amdhsa_system_sgpr_workgroup_id_x 1
		.amdhsa_system_sgpr_workgroup_id_y 0
		.amdhsa_system_sgpr_workgroup_id_z 0
		.amdhsa_system_sgpr_workgroup_info 0
		.amdhsa_system_vgpr_workitem_id 1
		.amdhsa_next_free_vgpr 36
		.amdhsa_next_free_sgpr 18
		.amdhsa_reserve_vcc 1
		.amdhsa_float_round_mode_32 0
		.amdhsa_float_round_mode_16_64 0
		.amdhsa_float_denorm_mode_32 3
		.amdhsa_float_denorm_mode_16_64 3
		.amdhsa_dx10_clamp 1
		.amdhsa_ieee_mode 1
		.amdhsa_fp16_overflow 0
		.amdhsa_workgroup_processor_mode 1
		.amdhsa_memory_ordered 1
		.amdhsa_forward_progress 0
		.amdhsa_shared_vgpr_count 0
		.amdhsa_exception_fp_ieee_invalid_op 0
		.amdhsa_exception_fp_denorm_src 0
		.amdhsa_exception_fp_ieee_div_zero 0
		.amdhsa_exception_fp_ieee_overflow 0
		.amdhsa_exception_fp_ieee_underflow 0
		.amdhsa_exception_fp_ieee_inexact 0
		.amdhsa_exception_int_div_zero 0
	.end_amdhsa_kernel
	.section	.text._ZN4vllm3moe10topkGatingILi8ELi32ELi4ELi16ELi64El14__hip_bfloat16LNS0_11ScoringFuncE0EEEvPKT5_PKbPfiPT4_PiiiibPKf,"axG",@progbits,_ZN4vllm3moe10topkGatingILi8ELi32ELi4ELi16ELi64El14__hip_bfloat16LNS0_11ScoringFuncE0EEEvPKT5_PKbPfiPT4_PiiiibPKf,comdat
.Lfunc_end178:
	.size	_ZN4vllm3moe10topkGatingILi8ELi32ELi4ELi16ELi64El14__hip_bfloat16LNS0_11ScoringFuncE0EEEvPKT5_PKbPfiPT4_PiiiibPKf, .Lfunc_end178-_ZN4vllm3moe10topkGatingILi8ELi32ELi4ELi16ELi64El14__hip_bfloat16LNS0_11ScoringFuncE0EEEvPKT5_PKbPfiPT4_PiiiibPKf
                                        ; -- End function
	.section	.AMDGPU.csdata,"",@progbits
; Kernel info:
; codeLenInByte = 2984
; NumSgprs: 20
; NumVgprs: 36
; ScratchSize: 0
; MemoryBound: 0
; FloatMode: 240
; IeeeMode: 1
; LDSByteSize: 0 bytes/workgroup (compile time only)
; SGPRBlocks: 2
; VGPRBlocks: 4
; NumSGPRsForWavesPerEU: 20
; NumVGPRsForWavesPerEU: 36
; Occupancy: 16
; WaveLimiterHint : 0
; COMPUTE_PGM_RSRC2:SCRATCH_EN: 0
; COMPUTE_PGM_RSRC2:USER_SGPR: 15
; COMPUTE_PGM_RSRC2:TRAP_HANDLER: 0
; COMPUTE_PGM_RSRC2:TGID_X_EN: 1
; COMPUTE_PGM_RSRC2:TGID_Y_EN: 0
; COMPUTE_PGM_RSRC2:TGID_Z_EN: 0
; COMPUTE_PGM_RSRC2:TIDIG_COMP_CNT: 1
	.section	.text._ZN4vllm3moe10topkGatingILi8ELi32ELi4ELi16ELi32El14__hip_bfloat16LNS0_11ScoringFuncE0EEEvPKT5_PKbPfiPT4_PiiiibPKf,"axG",@progbits,_ZN4vllm3moe10topkGatingILi8ELi32ELi4ELi16ELi32El14__hip_bfloat16LNS0_11ScoringFuncE0EEEvPKT5_PKbPfiPT4_PiiiibPKf,comdat
	.protected	_ZN4vllm3moe10topkGatingILi8ELi32ELi4ELi16ELi32El14__hip_bfloat16LNS0_11ScoringFuncE0EEEvPKT5_PKbPfiPT4_PiiiibPKf ; -- Begin function _ZN4vllm3moe10topkGatingILi8ELi32ELi4ELi16ELi32El14__hip_bfloat16LNS0_11ScoringFuncE0EEEvPKT5_PKbPfiPT4_PiiiibPKf
	.globl	_ZN4vllm3moe10topkGatingILi8ELi32ELi4ELi16ELi32El14__hip_bfloat16LNS0_11ScoringFuncE0EEEvPKT5_PKbPfiPT4_PiiiibPKf
	.p2align	8
	.type	_ZN4vllm3moe10topkGatingILi8ELi32ELi4ELi16ELi32El14__hip_bfloat16LNS0_11ScoringFuncE0EEEvPKT5_PKbPfiPT4_PiiiibPKf,@function
_ZN4vllm3moe10topkGatingILi8ELi32ELi4ELi16ELi32El14__hip_bfloat16LNS0_11ScoringFuncE0EEEvPKT5_PKbPfiPT4_PiiiibPKf: ; @_ZN4vllm3moe10topkGatingILi8ELi32ELi4ELi16ELi32El14__hip_bfloat16LNS0_11ScoringFuncE0EEEvPKT5_PKbPfiPT4_PiiiibPKf
; %bb.0:
	s_load_b32 s14, s[0:1], 0x18
	v_bfe_u32 v1, v0, 10, 10
	v_and_b32_e32 v0, 0x3ff, v0
	s_lshl_b32 s2, s15, 5
	s_delay_alu instid0(VALU_DEP_2) | instskip(NEXT) | instid1(VALU_DEP_2)
	v_lshlrev_b32_e32 v1, 3, v1
	v_lshrrev_b32_e32 v2, 2, v0
	s_delay_alu instid0(VALU_DEP_1) | instskip(SKIP_2) | instid1(VALU_DEP_1)
	v_add3_u32 v16, s2, v1, v2
	s_mov_b32 s2, exec_lo
	s_waitcnt lgkmcnt(0)
	v_cmpx_gt_i32_e64 s14, v16
	s_cbranch_execz .LBB179_29
; %bb.1:
	s_clause 0x1
	s_load_b128 s[4:7], s[0:1], 0x0
	s_load_b64 s[12:13], s[0:1], 0x10
	s_mov_b32 s8, -1
	s_mov_b32 s15, -1
	s_waitcnt lgkmcnt(0)
	s_cmp_eq_u64 s[6:7], 0
	s_cbranch_scc1 .LBB179_3
; %bb.2:
	v_ashrrev_i32_e32 v2, 31, v16
	v_add_co_u32 v1, vcc_lo, s6, v16
	s_delay_alu instid0(VALU_DEP_2) | instskip(SKIP_3) | instid1(VALU_DEP_1)
	v_add_co_ci_u32_e32 v2, vcc_lo, s7, v2, vcc_lo
	global_load_u8 v1, v[1:2], off
	s_waitcnt vmcnt(0)
	v_and_b32_e32 v1, 1, v1
	v_cmp_eq_u32_e32 vcc_lo, 1, v1
	s_xor_b32 s2, vcc_lo, -1
	s_delay_alu instid0(SALU_CYCLE_1)
	s_or_not1_b32 s15, s2, exec_lo
.LBB179_3:
	v_lshlrev_b32_e32 v1, 5, v16
	v_and_b32_e32 v17, 3, v0
	v_mbcnt_lo_u32_b32 v5, -1, 0
	s_load_b64 s[2:3], s[0:1], 0x40
	s_delay_alu instid0(VALU_DEP_3) | instskip(NEXT) | instid1(VALU_DEP_2)
	v_ashrrev_i32_e32 v2, 31, v1
	v_xor_b32_e32 v9, 2, v5
	v_xor_b32_e32 v12, 1, v5
	v_and_b32_e32 v8, 28, v5
	s_delay_alu instid0(VALU_DEP_4) | instskip(SKIP_1) | instid1(VALU_DEP_2)
	v_lshlrev_b64 v[0:1], 1, v[1:2]
	v_lshlrev_b32_e32 v2, 4, v17
	v_add_co_u32 v0, vcc_lo, s4, v0
	s_delay_alu instid0(VALU_DEP_3) | instskip(NEXT) | instid1(VALU_DEP_2)
	v_add_co_ci_u32_e32 v1, vcc_lo, s5, v1, vcc_lo
	v_add_co_u32 v0, vcc_lo, v0, v2
	s_delay_alu instid0(VALU_DEP_2)
	v_add_co_ci_u32_e32 v1, vcc_lo, 0, v1, vcc_lo
	s_waitcnt lgkmcnt(0)
	s_cmp_eq_u64 s[2:3], 0
	global_load_b128 v[0:3], v[0:1], off
	s_waitcnt vmcnt(0)
	v_and_b32_e32 v4, 0xffff0000, v0
	v_lshlrev_b32_e32 v0, 16, v0
	v_lshlrev_b32_e32 v10, 16, v1
	s_delay_alu instid0(VALU_DEP_3) | instskip(NEXT) | instid1(VALU_DEP_3)
	v_dual_max_f32 v6, v4, v4 :: v_dual_and_b32 v1, 0xffff0000, v1
	v_max_f32_e32 v7, v0, v0
	s_delay_alu instid0(VALU_DEP_1) | instskip(SKIP_2) | instid1(VALU_DEP_3)
	v_dual_max_f32 v6, v7, v6 :: v_dual_add_nc_u32 v7, 4, v8
	v_lshlrev_b32_e32 v8, 16, v2
	v_and_b32_e32 v2, 0xffff0000, v2
	v_max3_f32 v6, v6, v10, v1
	s_delay_alu instid0(VALU_DEP_4) | instskip(NEXT) | instid1(VALU_DEP_2)
	v_cmp_lt_i32_e32 vcc_lo, v9, v7
	v_max3_f32 v6, v6, v8, v2
	v_cndmask_b32_e32 v9, v5, v9, vcc_lo
	v_lshlrev_b32_e32 v11, 16, v3
	v_and_b32_e32 v3, 0xffff0000, v3
	v_cmp_lt_i32_e32 vcc_lo, v12, v7
	s_delay_alu instid0(VALU_DEP_4) | instskip(NEXT) | instid1(VALU_DEP_3)
	v_lshlrev_b32_e32 v18, 2, v9
	v_max3_f32 v6, v6, v11, v3
	v_cndmask_b32_e32 v5, v5, v12, vcc_lo
	ds_bpermute_b32 v9, v18, v6
	v_lshlrev_b32_e32 v19, 2, v5
	s_waitcnt lgkmcnt(0)
	v_max_f32_e32 v7, v9, v9
	s_delay_alu instid0(VALU_DEP_1) | instskip(SKIP_3) | instid1(VALU_DEP_1)
	v_max_f32_e32 v5, v6, v7
	ds_bpermute_b32 v6, v19, v5
	s_waitcnt lgkmcnt(0)
	v_max_f32_e32 v6, v6, v6
	v_max_f32_e32 v5, v5, v6
	s_delay_alu instid0(VALU_DEP_1)
	v_sub_f32_e32 v0, v0, v5
	v_sub_f32_e32 v4, v4, v5
	;; [unrolled: 1-line block ×6, first 2 shown]
	v_dual_sub_f32 v8, v11, v5 :: v_dual_mul_f32 v9, 0x3fb8aa3b, v4
	s_delay_alu instid0(VALU_DEP_3) | instskip(SKIP_1) | instid1(VALU_DEP_3)
	v_dual_sub_f32 v3, v3, v5 :: v_dual_mul_f32 v12, 0x3fb8aa3b, v7
	v_dual_mul_f32 v5, 0x3fb8aa3b, v0 :: v_dual_mul_f32 v10, 0x3fb8aa3b, v6
	v_dual_mul_f32 v11, 0x3fb8aa3b, v1 :: v_dual_mul_f32 v14, 0x3fb8aa3b, v8
	s_delay_alu instid0(VALU_DEP_4) | instskip(NEXT) | instid1(VALU_DEP_3)
	v_fma_f32 v22, 0x3fb8aa3b, v4, -v9
	v_fma_f32 v20, 0x3fb8aa3b, v0, -v5
	v_rndne_f32_e32 v21, v5
	v_rndne_f32_e32 v23, v9
	;; [unrolled: 1-line block ×3, first 2 shown]
	v_mul_f32_e32 v13, 0x3fb8aa3b, v2
	v_fma_f32 v28, 0x3fb8aa3b, v7, -v12
	v_dual_fmac_f32 v20, 0x32a5705f, v0 :: v_dual_sub_f32 v5, v5, v21
	v_fma_f32 v24, 0x3fb8aa3b, v6, -v10
	v_fma_f32 v26, 0x3fb8aa3b, v1, -v11
	v_rndne_f32_e32 v29, v12
	v_mul_f32_e32 v15, 0x3fb8aa3b, v3
	v_fma_f32 v32, 0x3fb8aa3b, v8, -v14
	v_dual_fmac_f32 v22, 0x32a5705f, v4 :: v_dual_sub_f32 v9, v9, v23
	v_sub_f32_e32 v10, v10, v25
	v_fma_f32 v30, 0x3fb8aa3b, v2, -v13
	v_rndne_f32_e32 v31, v13
	v_dual_fmac_f32 v28, 0x32a5705f, v7 :: v_dual_add_f32 v5, v5, v20
	v_rndne_f32_e32 v27, v11
	v_fmac_f32_e32 v24, 0x32a5705f, v6
	s_delay_alu instid0(VALU_DEP_4)
	v_dual_fmac_f32 v26, 0x32a5705f, v1 :: v_dual_sub_f32 v13, v13, v31
	v_sub_f32_e32 v12, v12, v29
	v_fma_f32 v34, 0x3fb8aa3b, v3, -v15
	v_rndne_f32_e32 v35, v15
	v_fmac_f32_e32 v30, 0x32a5705f, v2
	v_dual_fmac_f32 v32, 0x32a5705f, v8 :: v_dual_add_f32 v9, v9, v22
	v_exp_f32_e32 v5, v5
	v_rndne_f32_e32 v33, v14
	v_cvt_i32_f32_e32 v21, v21
	v_sub_f32_e32 v11, v11, v27
	v_sub_f32_e32 v15, v15, v35
	v_dual_fmac_f32 v34, 0x32a5705f, v3 :: v_dual_add_f32 v13, v13, v30
	v_add_f32_e32 v10, v10, v24
	v_exp_f32_e32 v9, v9
	v_cvt_i32_f32_e32 v23, v23
	s_delay_alu instid0(VALU_DEP_3)
	v_dual_add_f32 v15, v15, v34 :: v_dual_sub_f32 v14, v14, v33
	v_add_f32_e32 v11, v11, v26
	v_exp_f32_e32 v10, v10
	v_ldexp_f32 v5, v5, v21
	v_cmp_ngt_f32_e32 vcc_lo, 0xc2ce8ed0, v0
	v_cvt_i32_f32_e32 v25, v25
	v_add_f32_e32 v12, v12, v28
	v_exp_f32_e32 v11, v11
	v_ldexp_f32 v9, v9, v23
	v_cndmask_b32_e32 v5, 0, v5, vcc_lo
	v_cmp_ngt_f32_e32 vcc_lo, 0xc2ce8ed0, v4
	v_cvt_i32_f32_e32 v27, v27
	v_add_f32_e32 v14, v14, v32
	v_ldexp_f32 v10, v10, v25
	v_exp_f32_e32 v12, v12
	v_cndmask_b32_e32 v9, 0, v9, vcc_lo
	v_cmp_ngt_f32_e32 vcc_lo, 0xc2ce8ed0, v6
	v_ldexp_f32 v11, v11, v27
	v_cvt_i32_f32_e32 v29, v29
	v_exp_f32_e32 v13, v13
	v_cvt_i32_f32_e32 v31, v31
	v_cndmask_b32_e32 v10, 0, v10, vcc_lo
	v_cmp_nlt_f32_e32 vcc_lo, 0x42b17218, v0
	v_exp_f32_e32 v14, v14
	v_ldexp_f32 v12, v12, v29
	v_cvt_i32_f32_e32 v20, v33
	v_exp_f32_e32 v15, v15
	v_cndmask_b32_e32 v0, 0x7f800000, v5, vcc_lo
	v_cmp_nlt_f32_e32 vcc_lo, 0x42b17218, v4
	v_ldexp_f32 v13, v13, v31
	v_cvt_i32_f32_e32 v22, v35
	v_cndmask_b32_e32 v4, 0x7f800000, v9, vcc_lo
	v_cmp_ngt_f32_e32 vcc_lo, 0xc2ce8ed0, v1
	v_ldexp_f32 v14, v14, v20
	s_delay_alu instid0(TRANS32_DEP_1) | instid1(VALU_DEP_4)
	v_ldexp_f32 v15, v15, v22
	s_delay_alu instid0(VALU_DEP_4)
	v_dual_add_f32 v9, v0, v4 :: v_dual_lshlrev_b32 v20, 3, v17
	v_cndmask_b32_e32 v5, 0, v11, vcc_lo
	v_cmp_nlt_f32_e32 vcc_lo, 0x42b17218, v6
	v_cndmask_b32_e32 v6, 0x7f800000, v10, vcc_lo
	v_cmp_ngt_f32_e32 vcc_lo, 0xc2ce8ed0, v7
	v_cndmask_b32_e32 v10, 0, v12, vcc_lo
	v_cmp_nlt_f32_e32 vcc_lo, 0x42b17218, v1
	v_cndmask_b32_e32 v1, 0x7f800000, v5, vcc_lo
	v_cmp_ngt_f32_e32 vcc_lo, 0xc2ce8ed0, v2
	v_add_f32_e32 v5, v9, v6
	v_cndmask_b32_e32 v9, 0, v13, vcc_lo
	v_cmp_nlt_f32_e32 vcc_lo, 0x42b17218, v7
	v_cndmask_b32_e32 v7, 0x7f800000, v10, vcc_lo
	v_cmp_ngt_f32_e32 vcc_lo, 0xc2ce8ed0, v8
	v_dual_add_f32 v5, v5, v1 :: v_dual_cndmask_b32 v10, 0, v14
	v_cmp_nlt_f32_e32 vcc_lo, 0x42b17218, v2
	s_delay_alu instid0(VALU_DEP_2) | instskip(SKIP_1) | instid1(VALU_DEP_2)
	v_dual_add_f32 v5, v5, v7 :: v_dual_cndmask_b32 v2, 0x7f800000, v9
	v_cmp_ngt_f32_e32 vcc_lo, 0xc2ce8ed0, v3
	v_add_f32_e32 v5, v5, v2
	v_cndmask_b32_e32 v9, 0, v15, vcc_lo
	v_cmp_nlt_f32_e32 vcc_lo, 0x42b17218, v8
	v_cndmask_b32_e32 v8, 0x7f800000, v10, vcc_lo
	v_cmp_nlt_f32_e32 vcc_lo, 0x42b17218, v3
	s_delay_alu instid0(VALU_DEP_2) | instskip(SKIP_1) | instid1(VALU_DEP_1)
	v_add_f32_e32 v5, v5, v8
	v_cndmask_b32_e32 v3, 0x7f800000, v9, vcc_lo
	v_add_f32_e32 v5, v5, v3
	ds_bpermute_b32 v9, v18, v5
	s_waitcnt lgkmcnt(0)
	v_add_f32_e32 v5, v5, v9
	ds_bpermute_b32 v9, v19, v5
	s_waitcnt lgkmcnt(0)
	v_add_f32_e32 v5, v5, v9
	s_delay_alu instid0(VALU_DEP_1) | instskip(SKIP_1) | instid1(VALU_DEP_2)
	v_div_scale_f32 v9, null, v5, v5, 1.0
	v_div_scale_f32 v12, vcc_lo, 1.0, v5, 1.0
	v_rcp_f32_e32 v10, v9
	s_waitcnt_depctr 0xfff
	v_fma_f32 v11, -v9, v10, 1.0
	s_delay_alu instid0(VALU_DEP_1) | instskip(NEXT) | instid1(VALU_DEP_1)
	v_fmac_f32_e32 v10, v11, v10
	v_mul_f32_e32 v11, v12, v10
	s_delay_alu instid0(VALU_DEP_1) | instskip(NEXT) | instid1(VALU_DEP_1)
	v_fma_f32 v13, -v9, v11, v12
	v_fmac_f32_e32 v11, v13, v10
	s_delay_alu instid0(VALU_DEP_1) | instskip(NEXT) | instid1(VALU_DEP_1)
	v_fma_f32 v9, -v9, v11, v12
	v_div_fmas_f32 v9, v9, v10, v11
	s_delay_alu instid0(VALU_DEP_1) | instskip(NEXT) | instid1(VALU_DEP_1)
	v_div_fixup_f32 v5, v9, v5, 1.0
	v_mul_f32_e32 v0, v5, v0
	v_mul_f32_e32 v4, v5, v4
	;; [unrolled: 1-line block ×5, first 2 shown]
	v_cmp_class_f32_e64 vcc_lo, v0, 0x1f8
	v_mul_f32_e32 v11, v5, v3
	v_mul_f32_e32 v8, v5, v8
	v_cndmask_b32_e32 v0, 0, v0, vcc_lo
	v_cmp_class_f32_e64 vcc_lo, v4, 0x1f8
	v_dual_mul_f32 v6, v5, v6 :: v_dual_cndmask_b32 v1, 0, v4
	s_delay_alu instid0(VALU_DEP_1)
	v_cmp_class_f32_e64 vcc_lo, v6, 0x1f8
	v_cndmask_b32_e32 v2, 0, v6, vcc_lo
	v_cmp_class_f32_e64 vcc_lo, v9, 0x1f8
	v_cndmask_b32_e32 v3, 0, v9, vcc_lo
	;; [unrolled: 2-line block ×6, first 2 shown]
	s_cbranch_scc1 .LBB179_23
; %bb.4:
	v_lshlrev_b32_e32 v12, 2, v20
	s_clause 0x1
	global_load_b128 v[8:11], v12, s[2:3]
	global_load_b128 v[12:15], v12, s[2:3] offset:16
	s_waitcnt vmcnt(1)
	v_dual_add_f32 v9, v9, v1 :: v_dual_add_f32 v8, v8, v0
	v_dual_add_f32 v11, v11, v3 :: v_dual_add_f32 v10, v10, v2
	s_waitcnt vmcnt(0)
	v_dual_add_f32 v13, v13, v5 :: v_dual_add_f32 v12, v12, v4
	v_dual_add_f32 v15, v15, v7 :: v_dual_add_f32 v14, v14, v6
	s_cbranch_execnz .LBB179_6
.LBB179_5:
	v_dual_mov_b32 v15, v7 :: v_dual_mov_b32 v14, v6
	v_dual_mov_b32 v13, v5 :: v_dual_mov_b32 v12, v4
	v_dual_mov_b32 v11, v3 :: v_dual_mov_b32 v10, v2
	v_dual_mov_b32 v9, v1 :: v_dual_mov_b32 v8, v0
.LBB179_6:
	s_load_b128 s[4:7], s[0:1], 0x30
	v_cmp_eq_u32_e64 s2, 0, v17
	s_waitcnt lgkmcnt(0)
	s_bitcmp1_b32 s7, 0
	s_mov_b32 s7, 0
	s_cselect_b32 vcc_lo, -1, 0
	s_cmp_gt_i32 s4, 0
	s_cselect_b32 s3, -1, 0
	s_cmp_lt_i32 s4, 1
	s_cbranch_scc1 .LBB179_24
; %bb.7:
	s_load_b128 s[8:11], s[0:1], 0x20
	v_mul_lo_u32 v22, v16, s4
	v_mov_b32_e32 v21, 0
	v_mov_b32_e32 v23, v16
	s_branch .LBB179_10
.LBB179_8:                              ;   in Loop: Header=BB179_10 Depth=1
	s_or_b32 exec_lo, exec_lo, s1
.LBB179_9:                              ;   in Loop: Header=BB179_10 Depth=1
	v_add_nc_u32_e32 v23, s14, v23
	s_cmp_eq_u32 s4, s7
	s_cbranch_scc1 .LBB179_25
.LBB179_10:                             ; =>This Inner Loop Header: Depth=1
	v_cmp_gt_f32_e64 s0, v9, v8
	s_mov_b32 s17, exec_lo
	s_delay_alu instid0(VALU_DEP_1) | instskip(SKIP_2) | instid1(VALU_DEP_3)
	v_cndmask_b32_e64 v24, v8, v9, s0
	v_cndmask_b32_e64 v25, 0, 1, s0
	;; [unrolled: 1-line block ×3, first 2 shown]
	v_cmp_gt_f32_e64 s1, v10, v24
	s_delay_alu instid0(VALU_DEP_1) | instskip(NEXT) | instid1(VALU_DEP_4)
	v_cndmask_b32_e64 v24, v24, v10, s1
	v_cndmask_b32_e64 v25, v25, 2, s1
	s_delay_alu instid0(VALU_DEP_4) | instskip(NEXT) | instid1(VALU_DEP_3)
	v_cndmask_b32_e64 v26, v26, v2, s1
	v_cmp_gt_f32_e64 s0, v11, v24
	s_delay_alu instid0(VALU_DEP_1) | instskip(NEXT) | instid1(VALU_DEP_4)
	v_cndmask_b32_e64 v24, v24, v11, s0
	v_cndmask_b32_e64 v25, v25, 3, s0
	s_delay_alu instid0(VALU_DEP_4) | instskip(NEXT) | instid1(VALU_DEP_3)
	v_cndmask_b32_e64 v26, v26, v3, s0
	;; [unrolled: 6-line block ×4, first 2 shown]
	v_cmp_gt_f32_e64 s1, v14, v24
	s_delay_alu instid0(VALU_DEP_1) | instskip(NEXT) | instid1(VALU_DEP_4)
	v_cndmask_b32_e64 v24, v24, v14, s1
	v_cndmask_b32_e64 v25, v25, 6, s1
	s_waitcnt lgkmcnt(0)
	v_cndmask_b32_e64 v27, v26, v6, s1
	s_delay_alu instid0(VALU_DEP_3) | instskip(NEXT) | instid1(VALU_DEP_1)
	v_cmp_gt_f32_e64 s0, v15, v24
	v_cndmask_b32_e64 v26, v24, v15, s0
	v_cndmask_b32_e64 v24, v25, 7, s0
	s_delay_alu instid0(VALU_DEP_4)
	v_cndmask_b32_e64 v25, v27, v7, s0
	ds_bpermute_b32 v27, v18, v26
	v_or_b32_e32 v24, v20, v24
	ds_bpermute_b32 v29, v18, v25
	ds_bpermute_b32 v28, v18, v24
	s_waitcnt lgkmcnt(0)
	v_cmp_lt_f32_e64 s16, v26, v27
	v_cmpx_nlt_f32_e32 v26, v27
; %bb.11:                               ;   in Loop: Header=BB179_10 Depth=1
	v_cmp_eq_f32_e64 s0, v26, v27
	v_cmp_lt_i32_e64 s1, v28, v24
	s_delay_alu instid0(VALU_DEP_1) | instskip(SKIP_2) | instid1(SALU_CYCLE_1)
	s_and_b32 s0, s0, s1
	s_and_not1_b32 s1, s16, exec_lo
	s_and_b32 s0, s0, exec_lo
	s_or_b32 s16, s1, s0
; %bb.12:                               ;   in Loop: Header=BB179_10 Depth=1
	s_or_b32 exec_lo, exec_lo, s17
	s_and_saveexec_b32 s0, s16
; %bb.13:                               ;   in Loop: Header=BB179_10 Depth=1
	v_dual_mov_b32 v25, v29 :: v_dual_mov_b32 v26, v27
	v_mov_b32_e32 v24, v28
; %bb.14:                               ;   in Loop: Header=BB179_10 Depth=1
	s_or_b32 exec_lo, exec_lo, s0
	ds_bpermute_b32 v29, v19, v26
	ds_bpermute_b32 v28, v19, v25
	;; [unrolled: 1-line block ×3, first 2 shown]
	s_mov_b32 s17, exec_lo
	s_waitcnt lgkmcnt(2)
	v_cmp_lt_f32_e64 s16, v26, v29
	v_cmpx_nlt_f32_e32 v26, v29
	s_cbranch_execnz .LBB179_18
; %bb.15:                               ;   in Loop: Header=BB179_10 Depth=1
	s_or_b32 exec_lo, exec_lo, s17
	s_delay_alu instid0(VALU_DEP_2)
	s_and_saveexec_b32 s0, s16
	s_cbranch_execnz .LBB179_19
.LBB179_16:                             ;   in Loop: Header=BB179_10 Depth=1
	s_or_b32 exec_lo, exec_lo, s0
	s_and_saveexec_b32 s16, s2
	s_cbranch_execnz .LBB179_20
.LBB179_17:                             ;   in Loop: Header=BB179_10 Depth=1
	s_or_b32 exec_lo, exec_lo, s16
	s_add_i32 s7, s7, 1
	s_delay_alu instid0(SALU_CYCLE_1)
	s_cmp_ge_i32 s7, s4
	s_cbranch_scc1 .LBB179_9
	s_branch .LBB179_21
.LBB179_18:                             ;   in Loop: Header=BB179_10 Depth=1
	v_cmp_eq_f32_e64 s0, v26, v29
	s_waitcnt lgkmcnt(0)
	v_cmp_lt_i32_e64 s1, v27, v24
	s_delay_alu instid0(VALU_DEP_1) | instskip(SKIP_2) | instid1(SALU_CYCLE_1)
	s_and_b32 s0, s0, s1
	s_and_not1_b32 s1, s16, exec_lo
	s_and_b32 s0, s0, exec_lo
	s_or_b32 s16, s1, s0
	s_or_b32 exec_lo, exec_lo, s17
	s_and_saveexec_b32 s0, s16
	s_cbranch_execz .LBB179_16
.LBB179_19:                             ;   in Loop: Header=BB179_10 Depth=1
	s_waitcnt lgkmcnt(0)
	v_dual_mov_b32 v25, v28 :: v_dual_mov_b32 v24, v27
	s_or_b32 exec_lo, exec_lo, s0
	s_and_saveexec_b32 s16, s2
	s_cbranch_execz .LBB179_17
.LBB179_20:                             ;   in Loop: Header=BB179_10 Depth=1
	v_add_nc_u32_e32 v26, s7, v22
	v_subrev_nc_u32_e32 v30, s5, v24
	v_cmp_le_i32_e64 s0, s5, v24
	v_cmp_gt_i32_e64 s1, s6, v24
	v_add_f32_e32 v34, v21, v25
	s_waitcnt lgkmcnt(0)
	v_ashrrev_i32_e32 v27, 31, v26
	v_ashrrev_i32_e32 v31, 31, v30
	s_and_b32 s0, s0, s1
	v_cndmask_b32_e32 v21, v21, v34, vcc_lo
	s_delay_alu instid0(VALU_DEP_3) | instskip(SKIP_2) | instid1(SALU_CYCLE_1)
	v_lshlrev_b64 v[28:29], 2, v[26:27]
	v_lshlrev_b64 v[26:27], 3, v[26:27]
	s_and_b32 s0, s15, s0
	v_cndmask_b32_e64 v31, 0, v31, s0
	v_cndmask_b32_e64 v30, 32, v30, s0
	s_delay_alu instid0(VALU_DEP_4) | instskip(NEXT) | instid1(VALU_DEP_1)
	v_add_co_u32 v32, s0, s12, v28
	v_add_co_ci_u32_e64 v33, s0, s13, v29, s0
	v_add_co_u32 v26, s0, s8, v26
	s_delay_alu instid0(VALU_DEP_1) | instskip(SKIP_1) | instid1(VALU_DEP_1)
	v_add_co_ci_u32_e64 v27, s0, s9, v27, s0
	v_add_co_u32 v28, s0, s10, v28
	v_add_co_ci_u32_e64 v29, s0, s11, v29, s0
	global_store_b32 v[32:33], v25, off
	global_store_b64 v[26:27], v[30:31], off
	global_store_b32 v[28:29], v23, off
	s_or_b32 exec_lo, exec_lo, s16
	s_add_i32 s7, s7, 1
	s_delay_alu instid0(SALU_CYCLE_1)
	s_cmp_ge_i32 s7, s4
	s_cbranch_scc1 .LBB179_9
.LBB179_21:                             ;   in Loop: Header=BB179_10 Depth=1
	v_ashrrev_i32_e32 v26, 31, v24
	s_mov_b32 s1, exec_lo
	s_delay_alu instid0(VALU_DEP_1) | instskip(NEXT) | instid1(VALU_DEP_1)
	v_lshrrev_b32_e32 v25, 29, v26
	v_add_nc_u32_e32 v25, v24, v25
	s_delay_alu instid0(VALU_DEP_1) | instskip(SKIP_1) | instid1(VALU_DEP_1)
	v_ashrrev_i32_e32 v25, 3, v25
	s_waitcnt lgkmcnt(0)
	v_lshrrev_b32_e32 v27, 30, v25
	s_delay_alu instid0(VALU_DEP_1) | instskip(NEXT) | instid1(VALU_DEP_1)
	v_add_nc_u32_e32 v27, v25, v27
	v_and_b32_e32 v27, -4, v27
	s_delay_alu instid0(VALU_DEP_1) | instskip(NEXT) | instid1(VALU_DEP_1)
	v_sub_nc_u32_e32 v27, v25, v27
	v_cmpx_eq_u32_e64 v17, v27
	s_cbranch_execz .LBB179_8
; %bb.22:                               ;   in Loop: Header=BB179_10 Depth=1
	v_lshrrev_b32_e32 v26, 27, v26
	v_lshlrev_b32_e32 v25, 3, v25
	s_delay_alu instid0(VALU_DEP_2) | instskip(NEXT) | instid1(VALU_DEP_2)
	v_add_nc_u32_e32 v26, v24, v26
	v_sub_nc_u32_e32 v24, v24, v25
	s_delay_alu instid0(VALU_DEP_2) | instskip(NEXT) | instid1(VALU_DEP_1)
	v_ashrrev_i32_e32 v25, 5, v26
	v_lshl_add_u32 v24, v25, 3, v24
	s_delay_alu instid0(VALU_DEP_1) | instskip(NEXT) | instid1(VALU_DEP_1)
	v_cmp_ne_u32_e64 s0, 7, v24
	v_cndmask_b32_e64 v15, 0xc61c4000, v15, s0
	v_cmp_ne_u32_e64 s0, 6, v24
	s_delay_alu instid0(VALU_DEP_1) | instskip(SKIP_1) | instid1(VALU_DEP_1)
	v_cndmask_b32_e64 v14, 0xc61c4000, v14, s0
	v_cmp_ne_u32_e64 s0, 5, v24
	v_cndmask_b32_e64 v13, 0xc61c4000, v13, s0
	v_cmp_ne_u32_e64 s0, 4, v24
	s_delay_alu instid0(VALU_DEP_1) | instskip(SKIP_1) | instid1(VALU_DEP_1)
	v_cndmask_b32_e64 v12, 0xc61c4000, v12, s0
	;; [unrolled: 5-line block ×3, first 2 shown]
	v_cmp_ne_u32_e64 s0, 1, v24
	v_cndmask_b32_e64 v9, 0xc61c4000, v9, s0
	v_cmp_ne_u32_e64 s0, 0, v24
	s_delay_alu instid0(VALU_DEP_1)
	v_cndmask_b32_e64 v8, 0xc61c4000, v8, s0
	s_branch .LBB179_8
.LBB179_23:
                                        ; implicit-def: $vgpr8_vgpr9_vgpr10_vgpr11_vgpr12_vgpr13_vgpr14_vgpr15
	s_and_not1_b32 vcc_lo, exec_lo, s8
	s_cbranch_vccz .LBB179_5
	s_branch .LBB179_6
.LBB179_24:
	v_mov_b32_e32 v21, 0
.LBB179_25:
	v_cmp_eq_u32_e64 s0, 0, v17
	s_delay_alu instid0(VALU_DEP_1) | instskip(NEXT) | instid1(SALU_CYCLE_1)
	s_and_b32 s0, s0, vcc_lo
	s_and_b32 exec_lo, exec_lo, s0
	s_cbranch_execz .LBB179_29
; %bb.26:
	s_and_not1_b32 vcc_lo, exec_lo, s3
	s_cbranch_vccnz .LBB179_29
; %bb.27:
	v_mul_lo_u32 v0, v16, s4
	v_cmp_lt_f32_e32 vcc_lo, 0, v21
	v_cndmask_b32_e32 v2, 1.0, v21, vcc_lo
	s_delay_alu instid0(VALU_DEP_3) | instskip(NEXT) | instid1(VALU_DEP_1)
	v_ashrrev_i32_e32 v1, 31, v0
	v_lshlrev_b64 v[0:1], 2, v[0:1]
	s_delay_alu instid0(VALU_DEP_1) | instskip(NEXT) | instid1(VALU_DEP_2)
	v_add_co_u32 v0, vcc_lo, s12, v0
	v_add_co_ci_u32_e32 v1, vcc_lo, s13, v1, vcc_lo
	.p2align	6
.LBB179_28:                             ; =>This Inner Loop Header: Depth=1
	global_load_b32 v3, v[0:1], off
	s_add_i32 s4, s4, -1
	s_delay_alu instid0(SALU_CYCLE_1) | instskip(SKIP_3) | instid1(VALU_DEP_2)
	s_cmp_lg_u32 s4, 0
	s_waitcnt vmcnt(0)
	v_div_scale_f32 v4, null, v2, v2, v3
	v_div_scale_f32 v7, vcc_lo, v3, v2, v3
	v_rcp_f32_e32 v5, v4
	s_waitcnt_depctr 0xfff
	v_fma_f32 v6, -v4, v5, 1.0
	s_delay_alu instid0(VALU_DEP_1) | instskip(NEXT) | instid1(VALU_DEP_1)
	v_fmac_f32_e32 v5, v6, v5
	v_mul_f32_e32 v6, v7, v5
	s_delay_alu instid0(VALU_DEP_1) | instskip(NEXT) | instid1(VALU_DEP_1)
	v_fma_f32 v8, -v4, v6, v7
	v_fmac_f32_e32 v6, v8, v5
	s_delay_alu instid0(VALU_DEP_1) | instskip(NEXT) | instid1(VALU_DEP_1)
	v_fma_f32 v4, -v4, v6, v7
	v_div_fmas_f32 v4, v4, v5, v6
	s_delay_alu instid0(VALU_DEP_1)
	v_div_fixup_f32 v3, v4, v2, v3
	global_store_b32 v[0:1], v3, off
	v_add_co_u32 v0, vcc_lo, v0, 4
	v_add_co_ci_u32_e32 v1, vcc_lo, 0, v1, vcc_lo
	s_cbranch_scc1 .LBB179_28
.LBB179_29:
	s_nop 0
	s_sendmsg sendmsg(MSG_DEALLOC_VGPRS)
	s_endpgm
	.section	.rodata,"a",@progbits
	.p2align	6, 0x0
	.amdhsa_kernel _ZN4vllm3moe10topkGatingILi8ELi32ELi4ELi16ELi32El14__hip_bfloat16LNS0_11ScoringFuncE0EEEvPKT5_PKbPfiPT4_PiiiibPKf
		.amdhsa_group_segment_fixed_size 0
		.amdhsa_private_segment_fixed_size 0
		.amdhsa_kernarg_size 72
		.amdhsa_user_sgpr_count 15
		.amdhsa_user_sgpr_dispatch_ptr 0
		.amdhsa_user_sgpr_queue_ptr 0
		.amdhsa_user_sgpr_kernarg_segment_ptr 1
		.amdhsa_user_sgpr_dispatch_id 0
		.amdhsa_user_sgpr_private_segment_size 0
		.amdhsa_wavefront_size32 1
		.amdhsa_uses_dynamic_stack 0
		.amdhsa_enable_private_segment 0
		.amdhsa_system_sgpr_workgroup_id_x 1
		.amdhsa_system_sgpr_workgroup_id_y 0
		.amdhsa_system_sgpr_workgroup_id_z 0
		.amdhsa_system_sgpr_workgroup_info 0
		.amdhsa_system_vgpr_workitem_id 1
		.amdhsa_next_free_vgpr 36
		.amdhsa_next_free_sgpr 18
		.amdhsa_reserve_vcc 1
		.amdhsa_float_round_mode_32 0
		.amdhsa_float_round_mode_16_64 0
		.amdhsa_float_denorm_mode_32 3
		.amdhsa_float_denorm_mode_16_64 3
		.amdhsa_dx10_clamp 1
		.amdhsa_ieee_mode 1
		.amdhsa_fp16_overflow 0
		.amdhsa_workgroup_processor_mode 1
		.amdhsa_memory_ordered 1
		.amdhsa_forward_progress 0
		.amdhsa_shared_vgpr_count 0
		.amdhsa_exception_fp_ieee_invalid_op 0
		.amdhsa_exception_fp_denorm_src 0
		.amdhsa_exception_fp_ieee_div_zero 0
		.amdhsa_exception_fp_ieee_overflow 0
		.amdhsa_exception_fp_ieee_underflow 0
		.amdhsa_exception_fp_ieee_inexact 0
		.amdhsa_exception_int_div_zero 0
	.end_amdhsa_kernel
	.section	.text._ZN4vllm3moe10topkGatingILi8ELi32ELi4ELi16ELi32El14__hip_bfloat16LNS0_11ScoringFuncE0EEEvPKT5_PKbPfiPT4_PiiiibPKf,"axG",@progbits,_ZN4vllm3moe10topkGatingILi8ELi32ELi4ELi16ELi32El14__hip_bfloat16LNS0_11ScoringFuncE0EEEvPKT5_PKbPfiPT4_PiiiibPKf,comdat
.Lfunc_end179:
	.size	_ZN4vllm3moe10topkGatingILi8ELi32ELi4ELi16ELi32El14__hip_bfloat16LNS0_11ScoringFuncE0EEEvPKT5_PKbPfiPT4_PiiiibPKf, .Lfunc_end179-_ZN4vllm3moe10topkGatingILi8ELi32ELi4ELi16ELi32El14__hip_bfloat16LNS0_11ScoringFuncE0EEEvPKT5_PKbPfiPT4_PiiiibPKf
                                        ; -- End function
	.section	.AMDGPU.csdata,"",@progbits
; Kernel info:
; codeLenInByte = 2984
; NumSgprs: 20
; NumVgprs: 36
; ScratchSize: 0
; MemoryBound: 0
; FloatMode: 240
; IeeeMode: 1
; LDSByteSize: 0 bytes/workgroup (compile time only)
; SGPRBlocks: 2
; VGPRBlocks: 4
; NumSGPRsForWavesPerEU: 20
; NumVGPRsForWavesPerEU: 36
; Occupancy: 16
; WaveLimiterHint : 0
; COMPUTE_PGM_RSRC2:SCRATCH_EN: 0
; COMPUTE_PGM_RSRC2:USER_SGPR: 15
; COMPUTE_PGM_RSRC2:TRAP_HANDLER: 0
; COMPUTE_PGM_RSRC2:TGID_X_EN: 1
; COMPUTE_PGM_RSRC2:TGID_Y_EN: 0
; COMPUTE_PGM_RSRC2:TGID_Z_EN: 0
; COMPUTE_PGM_RSRC2:TIDIG_COMP_CNT: 1
	.section	.text._ZN4vllm3moe10topkGatingILi8ELi64ELi4ELi16ELi64El14__hip_bfloat16LNS0_11ScoringFuncE0EEEvPKT5_PKbPfiPT4_PiiiibPKf,"axG",@progbits,_ZN4vllm3moe10topkGatingILi8ELi64ELi4ELi16ELi64El14__hip_bfloat16LNS0_11ScoringFuncE0EEEvPKT5_PKbPfiPT4_PiiiibPKf,comdat
	.protected	_ZN4vllm3moe10topkGatingILi8ELi64ELi4ELi16ELi64El14__hip_bfloat16LNS0_11ScoringFuncE0EEEvPKT5_PKbPfiPT4_PiiiibPKf ; -- Begin function _ZN4vllm3moe10topkGatingILi8ELi64ELi4ELi16ELi64El14__hip_bfloat16LNS0_11ScoringFuncE0EEEvPKT5_PKbPfiPT4_PiiiibPKf
	.globl	_ZN4vllm3moe10topkGatingILi8ELi64ELi4ELi16ELi64El14__hip_bfloat16LNS0_11ScoringFuncE0EEEvPKT5_PKbPfiPT4_PiiiibPKf
	.p2align	8
	.type	_ZN4vllm3moe10topkGatingILi8ELi64ELi4ELi16ELi64El14__hip_bfloat16LNS0_11ScoringFuncE0EEEvPKT5_PKbPfiPT4_PiiiibPKf,@function
_ZN4vllm3moe10topkGatingILi8ELi64ELi4ELi16ELi64El14__hip_bfloat16LNS0_11ScoringFuncE0EEEvPKT5_PKbPfiPT4_PiiiibPKf: ; @_ZN4vllm3moe10topkGatingILi8ELi64ELi4ELi16ELi64El14__hip_bfloat16LNS0_11ScoringFuncE0EEEvPKT5_PKbPfiPT4_PiiiibPKf
; %bb.0:
	s_load_b32 s14, s[0:1], 0x18
	v_bfe_u32 v1, v0, 10, 10
	v_and_b32_e32 v0, 0x3ff, v0
	s_lshl_b32 s2, s15, 5
	s_delay_alu instid0(VALU_DEP_2) | instskip(NEXT) | instid1(VALU_DEP_2)
	v_lshlrev_b32_e32 v1, 3, v1
	v_lshrrev_b32_e32 v2, 3, v0
	s_delay_alu instid0(VALU_DEP_1) | instskip(SKIP_2) | instid1(VALU_DEP_1)
	v_add3_u32 v16, s2, v1, v2
	s_mov_b32 s2, exec_lo
	s_waitcnt lgkmcnt(0)
	v_cmpx_gt_i32_e64 s14, v16
	s_cbranch_execz .LBB180_33
; %bb.1:
	s_clause 0x1
	s_load_b128 s[4:7], s[0:1], 0x0
	s_load_b64 s[12:13], s[0:1], 0x10
	s_mov_b32 s8, -1
	s_mov_b32 s15, -1
	s_waitcnt lgkmcnt(0)
	s_cmp_eq_u64 s[6:7], 0
	s_cbranch_scc1 .LBB180_3
; %bb.2:
	v_ashrrev_i32_e32 v2, 31, v16
	v_add_co_u32 v1, vcc_lo, s6, v16
	s_delay_alu instid0(VALU_DEP_2) | instskip(SKIP_3) | instid1(VALU_DEP_1)
	v_add_co_ci_u32_e32 v2, vcc_lo, s7, v2, vcc_lo
	global_load_u8 v1, v[1:2], off
	s_waitcnt vmcnt(0)
	v_and_b32_e32 v1, 1, v1
	v_cmp_eq_u32_e32 vcc_lo, 1, v1
	s_xor_b32 s2, vcc_lo, -1
	s_delay_alu instid0(SALU_CYCLE_1)
	s_or_not1_b32 s15, s2, exec_lo
.LBB180_3:
	v_lshlrev_b32_e32 v1, 6, v16
	v_and_b32_e32 v17, 7, v0
	v_mbcnt_lo_u32_b32 v5, -1, 0
	s_load_b64 s[2:3], s[0:1], 0x40
	s_delay_alu instid0(VALU_DEP_3) | instskip(NEXT) | instid1(VALU_DEP_2)
	v_ashrrev_i32_e32 v2, 31, v1
	v_xor_b32_e32 v9, 4, v5
	v_and_b32_e32 v8, 24, v5
	v_xor_b32_e32 v12, 2, v5
	s_delay_alu instid0(VALU_DEP_4) | instskip(SKIP_1) | instid1(VALU_DEP_2)
	v_lshlrev_b64 v[0:1], 1, v[1:2]
	v_lshlrev_b32_e32 v2, 4, v17
	v_add_co_u32 v0, vcc_lo, s4, v0
	s_delay_alu instid0(VALU_DEP_3) | instskip(NEXT) | instid1(VALU_DEP_2)
	v_add_co_ci_u32_e32 v1, vcc_lo, s5, v1, vcc_lo
	v_add_co_u32 v0, vcc_lo, v0, v2
	s_delay_alu instid0(VALU_DEP_2)
	v_add_co_ci_u32_e32 v1, vcc_lo, 0, v1, vcc_lo
	s_waitcnt lgkmcnt(0)
	s_cmp_eq_u64 s[2:3], 0
	global_load_b128 v[0:3], v[0:1], off
	s_waitcnt vmcnt(0)
	v_and_b32_e32 v4, 0xffff0000, v0
	v_lshlrev_b32_e32 v0, 16, v0
	v_lshlrev_b32_e32 v10, 16, v1
	s_delay_alu instid0(VALU_DEP_3) | instskip(NEXT) | instid1(VALU_DEP_3)
	v_dual_max_f32 v6, v4, v4 :: v_dual_and_b32 v1, 0xffff0000, v1
	v_max_f32_e32 v7, v0, v0
	s_delay_alu instid0(VALU_DEP_1) | instskip(SKIP_2) | instid1(VALU_DEP_3)
	v_dual_max_f32 v6, v7, v6 :: v_dual_add_nc_u32 v7, 8, v8
	v_lshlrev_b32_e32 v8, 16, v2
	v_and_b32_e32 v2, 0xffff0000, v2
	v_max3_f32 v6, v6, v10, v1
	s_delay_alu instid0(VALU_DEP_4) | instskip(NEXT) | instid1(VALU_DEP_2)
	v_cmp_lt_i32_e32 vcc_lo, v9, v7
	v_max3_f32 v6, v6, v8, v2
	v_cndmask_b32_e32 v9, v5, v9, vcc_lo
	v_cmp_lt_i32_e32 vcc_lo, v12, v7
	v_lshlrev_b32_e32 v11, 16, v3
	v_and_b32_e32 v3, 0xffff0000, v3
	s_delay_alu instid0(VALU_DEP_4) | instskip(SKIP_1) | instid1(VALU_DEP_3)
	v_lshlrev_b32_e32 v18, 2, v9
	v_cndmask_b32_e32 v12, v5, v12, vcc_lo
	v_max3_f32 v6, v6, v11, v3
	s_delay_alu instid0(VALU_DEP_2) | instskip(SKIP_4) | instid1(VALU_DEP_1)
	v_lshlrev_b32_e32 v19, 2, v12
	v_xor_b32_e32 v12, 1, v5
	ds_bpermute_b32 v9, v18, v6
	v_cmp_lt_i32_e32 vcc_lo, v12, v7
	v_cndmask_b32_e32 v5, v5, v12, vcc_lo
	v_lshlrev_b32_e32 v20, 2, v5
	s_waitcnt lgkmcnt(0)
	v_max_f32_e32 v9, v9, v9
	s_delay_alu instid0(VALU_DEP_1) | instskip(SKIP_3) | instid1(VALU_DEP_1)
	v_max_f32_e32 v6, v6, v9
	ds_bpermute_b32 v9, v19, v6
	s_waitcnt lgkmcnt(0)
	v_max_f32_e32 v7, v9, v9
	v_max_f32_e32 v5, v6, v7
	ds_bpermute_b32 v6, v20, v5
	s_waitcnt lgkmcnt(0)
	v_max_f32_e32 v6, v6, v6
	s_delay_alu instid0(VALU_DEP_1) | instskip(NEXT) | instid1(VALU_DEP_1)
	v_max_f32_e32 v5, v5, v6
	v_sub_f32_e32 v4, v4, v5
	v_sub_f32_e32 v6, v10, v5
	;; [unrolled: 1-line block ×4, first 2 shown]
	s_delay_alu instid0(VALU_DEP_4) | instskip(NEXT) | instid1(VALU_DEP_4)
	v_mul_f32_e32 v9, 0x3fb8aa3b, v4
	v_dual_sub_f32 v7, v8, v5 :: v_dual_mul_f32 v10, 0x3fb8aa3b, v6
	v_sub_f32_e32 v3, v3, v5
	v_cmp_ngt_f32_e32 vcc_lo, 0xc2ce8ed0, v0
	s_delay_alu instid0(VALU_DEP_4) | instskip(NEXT) | instid1(VALU_DEP_4)
	v_fma_f32 v23, 0x3fb8aa3b, v4, -v9
	v_mul_f32_e32 v12, 0x3fb8aa3b, v7
	s_delay_alu instid0(VALU_DEP_4) | instskip(SKIP_1) | instid1(VALU_DEP_3)
	v_dual_sub_f32 v2, v2, v5 :: v_dual_mul_f32 v15, 0x3fb8aa3b, v3
	v_dual_sub_f32 v8, v11, v5 :: v_dual_mul_f32 v5, 0x3fb8aa3b, v0
	v_fma_f32 v29, 0x3fb8aa3b, v7, -v12
	s_delay_alu instid0(VALU_DEP_3)
	v_mul_f32_e32 v13, 0x3fb8aa3b, v2
	v_rndne_f32_e32 v30, v12
	v_fma_f32 v25, 0x3fb8aa3b, v6, -v10
	v_fma_f32 v21, 0x3fb8aa3b, v0, -v5
	v_rndne_f32_e32 v22, v5
	v_rndne_f32_e32 v26, v10
	v_dual_fmac_f32 v23, 0x32a5705f, v4 :: v_dual_sub_f32 v12, v12, v30
	v_fmac_f32_e32 v29, 0x32a5705f, v7
	v_dual_mul_f32 v11, 0x3fb8aa3b, v1 :: v_dual_mul_f32 v14, 0x3fb8aa3b, v8
	v_rndne_f32_e32 v24, v9
	v_dual_fmac_f32 v21, 0x32a5705f, v0 :: v_dual_sub_f32 v10, v10, v26
	s_delay_alu instid0(VALU_DEP_4) | instskip(SKIP_2) | instid1(VALU_DEP_3)
	v_dual_fmac_f32 v25, 0x32a5705f, v6 :: v_dual_add_f32 v12, v12, v29
	v_sub_f32_e32 v5, v5, v22
	v_rndne_f32_e32 v34, v14
	v_dual_sub_f32 v9, v9, v24 :: v_dual_add_f32 v10, v10, v25
	v_fma_f32 v33, 0x3fb8aa3b, v8, -v14
	s_delay_alu instid0(VALU_DEP_3) | instskip(NEXT) | instid1(VALU_DEP_3)
	v_dual_add_f32 v5, v5, v21 :: v_dual_sub_f32 v14, v14, v34
	v_add_f32_e32 v9, v9, v23
	v_cvt_i32_f32_e32 v22, v22
	v_cvt_i32_f32_e32 v24, v24
	s_delay_alu instid0(VALU_DEP_4)
	v_exp_f32_e32 v5, v5
	v_exp_f32_e32 v10, v10
	;; [unrolled: 1-line block ×3, first 2 shown]
	v_fma_f32 v27, 0x3fb8aa3b, v1, -v11
	v_rndne_f32_e32 v28, v11
	v_cvt_i32_f32_e32 v26, v26
	v_fmac_f32_e32 v33, 0x32a5705f, v8
	v_rndne_f32_e32 v32, v13
	v_fma_f32 v31, 0x3fb8aa3b, v2, -v13
	v_sub_f32_e32 v11, v11, v28
	v_ldexp_f32 v5, v5, v22
	v_add_f32_e32 v14, v14, v33
	v_ldexp_f32 v9, v9, v24
	v_ldexp_f32 v10, v10, v26
	v_rndne_f32_e32 v36, v15
	v_cndmask_b32_e32 v5, 0, v5, vcc_lo
	v_cmp_ngt_f32_e32 vcc_lo, 0xc2ce8ed0, v4
	v_cvt_i32_f32_e32 v28, v28
	v_fma_f32 v35, 0x3fb8aa3b, v3, -v15
	v_exp_f32_e32 v12, v12
	v_cvt_i32_f32_e32 v30, v30
	v_cndmask_b32_e32 v9, 0, v9, vcc_lo
	v_cmp_ngt_f32_e32 vcc_lo, 0xc2ce8ed0, v6
	v_fmac_f32_e32 v27, 0x32a5705f, v1
	v_fmac_f32_e32 v35, 0x32a5705f, v3
	v_exp_f32_e32 v14, v14
	v_cvt_i32_f32_e32 v21, v34
	s_delay_alu instid0(VALU_DEP_3)
	v_dual_cndmask_b32 v10, 0, v10 :: v_dual_add_f32 v11, v11, v27
	v_cmp_nlt_f32_e32 vcc_lo, 0x42b17218, v0
	v_sub_f32_e32 v13, v13, v32
	v_ldexp_f32 v12, v12, v30
	v_cvt_i32_f32_e32 v32, v32
	v_exp_f32_e32 v11, v11
	v_cndmask_b32_e32 v0, 0x7f800000, v5, vcc_lo
	v_cmp_nlt_f32_e32 vcc_lo, 0x42b17218, v4
	v_fmac_f32_e32 v31, 0x32a5705f, v2
	v_sub_f32_e32 v15, v15, v36
	v_ldexp_f32 v14, v14, v21
	v_cvt_i32_f32_e32 v23, v36
	v_cndmask_b32_e32 v4, 0x7f800000, v9, vcc_lo
	v_cmp_ngt_f32_e32 vcc_lo, 0xc2ce8ed0, v1
	v_add_f32_e32 v13, v13, v31
	v_ldexp_f32 v11, v11, v28
	v_add_f32_e32 v15, v15, v35
	v_add_f32_e32 v9, v0, v4
	v_lshlrev_b32_e32 v21, 3, v17
	v_exp_f32_e32 v13, v13
	v_cndmask_b32_e32 v5, 0, v11, vcc_lo
	v_cmp_nlt_f32_e32 vcc_lo, 0x42b17218, v6
	v_exp_f32_e32 v15, v15
	v_cndmask_b32_e32 v6, 0x7f800000, v10, vcc_lo
	v_cmp_ngt_f32_e32 vcc_lo, 0xc2ce8ed0, v7
	s_waitcnt_depctr 0xfff
	v_ldexp_f32 v13, v13, v32
	v_cndmask_b32_e32 v10, 0, v12, vcc_lo
	v_cmp_nlt_f32_e32 vcc_lo, 0x42b17218, v1
	v_ldexp_f32 v15, v15, v23
	v_cndmask_b32_e32 v1, 0x7f800000, v5, vcc_lo
	v_cmp_ngt_f32_e32 vcc_lo, 0xc2ce8ed0, v2
	v_add_f32_e32 v5, v9, v6
	v_cndmask_b32_e32 v9, 0, v13, vcc_lo
	v_cmp_nlt_f32_e32 vcc_lo, 0x42b17218, v7
	s_delay_alu instid0(VALU_DEP_3) | instskip(SKIP_2) | instid1(VALU_DEP_2)
	v_add_f32_e32 v5, v5, v1
	v_cndmask_b32_e32 v7, 0x7f800000, v10, vcc_lo
	v_cmp_ngt_f32_e32 vcc_lo, 0xc2ce8ed0, v8
	v_dual_add_f32 v5, v5, v7 :: v_dual_cndmask_b32 v10, 0, v14
	v_cmp_nlt_f32_e32 vcc_lo, 0x42b17218, v2
	v_cndmask_b32_e32 v2, 0x7f800000, v9, vcc_lo
	v_cmp_ngt_f32_e32 vcc_lo, 0xc2ce8ed0, v3
	s_delay_alu instid0(VALU_DEP_2) | instskip(SKIP_4) | instid1(VALU_DEP_2)
	v_add_f32_e32 v5, v5, v2
	v_cndmask_b32_e32 v9, 0, v15, vcc_lo
	v_cmp_nlt_f32_e32 vcc_lo, 0x42b17218, v8
	v_cndmask_b32_e32 v8, 0x7f800000, v10, vcc_lo
	v_cmp_nlt_f32_e32 vcc_lo, 0x42b17218, v3
	v_add_f32_e32 v5, v5, v8
	v_cndmask_b32_e32 v3, 0x7f800000, v9, vcc_lo
	s_delay_alu instid0(VALU_DEP_1)
	v_add_f32_e32 v5, v5, v3
	ds_bpermute_b32 v9, v18, v5
	s_waitcnt lgkmcnt(0)
	v_add_f32_e32 v5, v5, v9
	ds_bpermute_b32 v9, v19, v5
	s_waitcnt lgkmcnt(0)
	;; [unrolled: 3-line block ×3, first 2 shown]
	v_add_f32_e32 v5, v5, v9
	s_delay_alu instid0(VALU_DEP_1) | instskip(SKIP_1) | instid1(VALU_DEP_2)
	v_div_scale_f32 v9, null, v5, v5, 1.0
	v_div_scale_f32 v12, vcc_lo, 1.0, v5, 1.0
	v_rcp_f32_e32 v10, v9
	s_waitcnt_depctr 0xfff
	v_fma_f32 v11, -v9, v10, 1.0
	s_delay_alu instid0(VALU_DEP_1) | instskip(NEXT) | instid1(VALU_DEP_1)
	v_fmac_f32_e32 v10, v11, v10
	v_mul_f32_e32 v11, v12, v10
	s_delay_alu instid0(VALU_DEP_1) | instskip(NEXT) | instid1(VALU_DEP_1)
	v_fma_f32 v13, -v9, v11, v12
	v_fmac_f32_e32 v11, v13, v10
	s_delay_alu instid0(VALU_DEP_1) | instskip(NEXT) | instid1(VALU_DEP_1)
	v_fma_f32 v9, -v9, v11, v12
	v_div_fmas_f32 v9, v9, v10, v11
	s_delay_alu instid0(VALU_DEP_1) | instskip(NEXT) | instid1(VALU_DEP_1)
	v_div_fixup_f32 v5, v9, v5, 1.0
	v_mul_f32_e32 v0, v5, v0
	v_mul_f32_e32 v4, v5, v4
	;; [unrolled: 1-line block ×5, first 2 shown]
	v_cmp_class_f32_e64 vcc_lo, v0, 0x1f8
	v_mul_f32_e32 v7, v5, v7
	v_mul_f32_e32 v10, v5, v2
	v_dual_mul_f32 v11, v5, v3 :: v_dual_cndmask_b32 v0, 0, v0
	v_cmp_class_f32_e64 vcc_lo, v4, 0x1f8
	v_cndmask_b32_e32 v1, 0, v4, vcc_lo
	v_cmp_class_f32_e64 vcc_lo, v6, 0x1f8
	v_cndmask_b32_e32 v2, 0, v6, vcc_lo
	;; [unrolled: 2-line block ×7, first 2 shown]
	s_cbranch_scc1 .LBB180_27
; %bb.4:
	v_lshlrev_b32_e32 v12, 2, v21
	s_clause 0x1
	global_load_b128 v[8:11], v12, s[2:3]
	global_load_b128 v[12:15], v12, s[2:3] offset:16
	s_waitcnt vmcnt(1)
	v_dual_add_f32 v11, v11, v3 :: v_dual_add_f32 v8, v8, v0
	v_dual_add_f32 v9, v9, v1 :: v_dual_add_f32 v10, v10, v2
	s_waitcnt vmcnt(0)
	v_dual_add_f32 v13, v13, v5 :: v_dual_add_f32 v12, v12, v4
	v_dual_add_f32 v15, v15, v7 :: v_dual_add_f32 v14, v14, v6
	s_cbranch_execnz .LBB180_6
.LBB180_5:
	v_dual_mov_b32 v15, v7 :: v_dual_mov_b32 v14, v6
	v_dual_mov_b32 v13, v5 :: v_dual_mov_b32 v12, v4
	;; [unrolled: 1-line block ×4, first 2 shown]
.LBB180_6:
	s_load_b128 s[4:7], s[0:1], 0x30
	v_cmp_eq_u32_e64 s2, 0, v17
	s_waitcnt lgkmcnt(0)
	s_bitcmp1_b32 s7, 0
	s_mov_b32 s7, 0
	s_cselect_b32 vcc_lo, -1, 0
	s_cmp_gt_i32 s4, 0
	s_cselect_b32 s3, -1, 0
	s_cmp_lt_i32 s4, 1
	s_cbranch_scc1 .LBB180_28
; %bb.7:
	s_load_b128 s[8:11], s[0:1], 0x20
	v_mul_lo_u32 v23, v16, s4
	v_mov_b32_e32 v22, 0
	v_mov_b32_e32 v24, v16
	s_branch .LBB180_10
.LBB180_8:                              ;   in Loop: Header=BB180_10 Depth=1
	s_or_b32 exec_lo, exec_lo, s1
.LBB180_9:                              ;   in Loop: Header=BB180_10 Depth=1
	v_add_nc_u32_e32 v24, s14, v24
	s_cmp_eq_u32 s4, s7
	s_cbranch_scc1 .LBB180_29
.LBB180_10:                             ; =>This Inner Loop Header: Depth=1
	v_cmp_gt_f32_e64 s0, v9, v8
	s_mov_b32 s17, exec_lo
	s_delay_alu instid0(VALU_DEP_1) | instskip(SKIP_2) | instid1(VALU_DEP_3)
	v_cndmask_b32_e64 v25, v8, v9, s0
	v_cndmask_b32_e64 v26, 0, 1, s0
	;; [unrolled: 1-line block ×3, first 2 shown]
	v_cmp_gt_f32_e64 s1, v10, v25
	s_delay_alu instid0(VALU_DEP_1) | instskip(NEXT) | instid1(VALU_DEP_4)
	v_cndmask_b32_e64 v25, v25, v10, s1
	v_cndmask_b32_e64 v26, v26, 2, s1
	s_delay_alu instid0(VALU_DEP_4) | instskip(NEXT) | instid1(VALU_DEP_3)
	v_cndmask_b32_e64 v27, v27, v2, s1
	v_cmp_gt_f32_e64 s0, v11, v25
	s_delay_alu instid0(VALU_DEP_1) | instskip(NEXT) | instid1(VALU_DEP_4)
	v_cndmask_b32_e64 v25, v25, v11, s0
	v_cndmask_b32_e64 v26, v26, 3, s0
	s_delay_alu instid0(VALU_DEP_4) | instskip(NEXT) | instid1(VALU_DEP_3)
	v_cndmask_b32_e64 v27, v27, v3, s0
	;; [unrolled: 6-line block ×4, first 2 shown]
	v_cmp_gt_f32_e64 s1, v14, v25
	s_delay_alu instid0(VALU_DEP_1) | instskip(NEXT) | instid1(VALU_DEP_4)
	v_cndmask_b32_e64 v25, v25, v14, s1
	v_cndmask_b32_e64 v26, v26, 6, s1
	s_waitcnt lgkmcnt(0)
	v_cndmask_b32_e64 v28, v27, v6, s1
	s_delay_alu instid0(VALU_DEP_3) | instskip(NEXT) | instid1(VALU_DEP_1)
	v_cmp_gt_f32_e64 s0, v15, v25
	v_cndmask_b32_e64 v27, v25, v15, s0
	v_cndmask_b32_e64 v25, v26, 7, s0
	s_delay_alu instid0(VALU_DEP_4)
	v_cndmask_b32_e64 v26, v28, v7, s0
	ds_bpermute_b32 v28, v18, v27
	v_or_b32_e32 v25, v21, v25
	ds_bpermute_b32 v30, v18, v26
	ds_bpermute_b32 v29, v18, v25
	s_waitcnt lgkmcnt(0)
	v_cmp_lt_f32_e64 s16, v27, v28
	v_cmpx_nlt_f32_e32 v27, v28
; %bb.11:                               ;   in Loop: Header=BB180_10 Depth=1
	v_cmp_eq_f32_e64 s0, v27, v28
	v_cmp_lt_i32_e64 s1, v29, v25
	s_delay_alu instid0(VALU_DEP_1) | instskip(SKIP_2) | instid1(SALU_CYCLE_1)
	s_and_b32 s0, s0, s1
	s_and_not1_b32 s1, s16, exec_lo
	s_and_b32 s0, s0, exec_lo
	s_or_b32 s16, s1, s0
; %bb.12:                               ;   in Loop: Header=BB180_10 Depth=1
	s_or_b32 exec_lo, exec_lo, s17
	s_and_saveexec_b32 s0, s16
; %bb.13:                               ;   in Loop: Header=BB180_10 Depth=1
	v_dual_mov_b32 v26, v30 :: v_dual_mov_b32 v27, v28
	v_mov_b32_e32 v25, v29
; %bb.14:                               ;   in Loop: Header=BB180_10 Depth=1
	s_or_b32 exec_lo, exec_lo, s0
	ds_bpermute_b32 v29, v19, v27
	ds_bpermute_b32 v30, v19, v26
	;; [unrolled: 1-line block ×3, first 2 shown]
	s_mov_b32 s17, exec_lo
	s_waitcnt lgkmcnt(2)
	v_cmp_lt_f32_e64 s16, v27, v29
	v_cmpx_nlt_f32_e32 v27, v29
	s_cbranch_execz .LBB180_16
; %bb.15:                               ;   in Loop: Header=BB180_10 Depth=1
	v_cmp_eq_f32_e64 s0, v27, v29
	s_waitcnt lgkmcnt(0)
	v_cmp_lt_i32_e64 s1, v28, v25
	s_delay_alu instid0(VALU_DEP_1) | instskip(SKIP_2) | instid1(SALU_CYCLE_1)
	s_and_b32 s0, s0, s1
	s_and_not1_b32 s1, s16, exec_lo
	s_and_b32 s0, s0, exec_lo
	s_or_b32 s16, s1, s0
.LBB180_16:                             ;   in Loop: Header=BB180_10 Depth=1
	s_or_b32 exec_lo, exec_lo, s17
	s_delay_alu instid0(VALU_DEP_2)
	s_and_saveexec_b32 s0, s16
	s_cbranch_execz .LBB180_18
; %bb.17:                               ;   in Loop: Header=BB180_10 Depth=1
	s_waitcnt lgkmcnt(1)
	v_dual_mov_b32 v26, v30 :: v_dual_mov_b32 v27, v29
	s_waitcnt lgkmcnt(0)
	v_mov_b32_e32 v25, v28
.LBB180_18:                             ;   in Loop: Header=BB180_10 Depth=1
	s_or_b32 exec_lo, exec_lo, s0
	s_waitcnt lgkmcnt(1)
	ds_bpermute_b32 v30, v20, v27
	ds_bpermute_b32 v29, v20, v26
	s_waitcnt lgkmcnt(2)
	ds_bpermute_b32 v28, v20, v25
	s_mov_b32 s17, exec_lo
	s_waitcnt lgkmcnt(2)
	v_cmp_lt_f32_e64 s16, v27, v30
	v_cmpx_nlt_f32_e32 v27, v30
	s_cbranch_execnz .LBB180_22
; %bb.19:                               ;   in Loop: Header=BB180_10 Depth=1
	s_or_b32 exec_lo, exec_lo, s17
	s_delay_alu instid0(VALU_DEP_2)
	s_and_saveexec_b32 s0, s16
	s_cbranch_execnz .LBB180_23
.LBB180_20:                             ;   in Loop: Header=BB180_10 Depth=1
	s_or_b32 exec_lo, exec_lo, s0
	s_and_saveexec_b32 s16, s2
	s_cbranch_execnz .LBB180_24
.LBB180_21:                             ;   in Loop: Header=BB180_10 Depth=1
	s_or_b32 exec_lo, exec_lo, s16
	s_add_i32 s7, s7, 1
	s_delay_alu instid0(SALU_CYCLE_1)
	s_cmp_ge_i32 s7, s4
	s_cbranch_scc1 .LBB180_9
	s_branch .LBB180_25
.LBB180_22:                             ;   in Loop: Header=BB180_10 Depth=1
	v_cmp_eq_f32_e64 s0, v27, v30
	s_waitcnt lgkmcnt(0)
	v_cmp_lt_i32_e64 s1, v28, v25
	s_delay_alu instid0(VALU_DEP_1) | instskip(SKIP_2) | instid1(SALU_CYCLE_1)
	s_and_b32 s0, s0, s1
	s_and_not1_b32 s1, s16, exec_lo
	s_and_b32 s0, s0, exec_lo
	s_or_b32 s16, s1, s0
	s_or_b32 exec_lo, exec_lo, s17
	s_and_saveexec_b32 s0, s16
	s_cbranch_execz .LBB180_20
.LBB180_23:                             ;   in Loop: Header=BB180_10 Depth=1
	s_waitcnt lgkmcnt(0)
	v_dual_mov_b32 v26, v29 :: v_dual_mov_b32 v25, v28
	s_or_b32 exec_lo, exec_lo, s0
	s_and_saveexec_b32 s16, s2
	s_cbranch_execz .LBB180_21
.LBB180_24:                             ;   in Loop: Header=BB180_10 Depth=1
	v_add_nc_u32_e32 v27, s7, v23
	v_subrev_nc_u32_e32 v31, s5, v25
	v_cmp_le_i32_e64 s0, s5, v25
	v_cmp_gt_i32_e64 s1, s6, v25
	v_add_f32_e32 v35, v22, v26
	s_waitcnt lgkmcnt(0)
	v_ashrrev_i32_e32 v28, 31, v27
	v_ashrrev_i32_e32 v32, 31, v31
	s_and_b32 s0, s0, s1
	v_cndmask_b32_e32 v22, v22, v35, vcc_lo
	s_delay_alu instid0(VALU_DEP_3) | instskip(SKIP_2) | instid1(SALU_CYCLE_1)
	v_lshlrev_b64 v[29:30], 2, v[27:28]
	v_lshlrev_b64 v[27:28], 3, v[27:28]
	s_and_b32 s0, s15, s0
	v_cndmask_b32_e64 v32, 0, v32, s0
	v_cndmask_b32_e64 v31, 64, v31, s0
	s_delay_alu instid0(VALU_DEP_4) | instskip(NEXT) | instid1(VALU_DEP_1)
	v_add_co_u32 v33, s0, s12, v29
	v_add_co_ci_u32_e64 v34, s0, s13, v30, s0
	v_add_co_u32 v27, s0, s8, v27
	s_delay_alu instid0(VALU_DEP_1) | instskip(SKIP_1) | instid1(VALU_DEP_1)
	v_add_co_ci_u32_e64 v28, s0, s9, v28, s0
	v_add_co_u32 v29, s0, s10, v29
	v_add_co_ci_u32_e64 v30, s0, s11, v30, s0
	global_store_b32 v[33:34], v26, off
	global_store_b64 v[27:28], v[31:32], off
	global_store_b32 v[29:30], v24, off
	s_or_b32 exec_lo, exec_lo, s16
	s_add_i32 s7, s7, 1
	s_delay_alu instid0(SALU_CYCLE_1)
	s_cmp_ge_i32 s7, s4
	s_cbranch_scc1 .LBB180_9
.LBB180_25:                             ;   in Loop: Header=BB180_10 Depth=1
	v_ashrrev_i32_e32 v27, 31, v25
	s_mov_b32 s1, exec_lo
	s_delay_alu instid0(VALU_DEP_1) | instskip(NEXT) | instid1(VALU_DEP_1)
	v_lshrrev_b32_e32 v26, 29, v27
	v_add_nc_u32_e32 v26, v25, v26
	s_delay_alu instid0(VALU_DEP_1) | instskip(SKIP_1) | instid1(VALU_DEP_1)
	v_ashrrev_i32_e32 v26, 3, v26
	s_waitcnt lgkmcnt(0)
	v_lshrrev_b32_e32 v28, 29, v26
	s_delay_alu instid0(VALU_DEP_1) | instskip(NEXT) | instid1(VALU_DEP_1)
	v_add_nc_u32_e32 v28, v26, v28
	v_and_b32_e32 v28, -8, v28
	s_delay_alu instid0(VALU_DEP_1) | instskip(NEXT) | instid1(VALU_DEP_1)
	v_sub_nc_u32_e32 v28, v26, v28
	v_cmpx_eq_u32_e64 v17, v28
	s_cbranch_execz .LBB180_8
; %bb.26:                               ;   in Loop: Header=BB180_10 Depth=1
	v_lshrrev_b32_e32 v27, 26, v27
	v_lshlrev_b32_e32 v26, 3, v26
	s_delay_alu instid0(VALU_DEP_2) | instskip(NEXT) | instid1(VALU_DEP_2)
	v_add_nc_u32_e32 v27, v25, v27
	v_sub_nc_u32_e32 v25, v25, v26
	s_delay_alu instid0(VALU_DEP_2) | instskip(NEXT) | instid1(VALU_DEP_1)
	v_ashrrev_i32_e32 v26, 6, v27
	v_lshl_add_u32 v25, v26, 3, v25
	s_delay_alu instid0(VALU_DEP_1) | instskip(NEXT) | instid1(VALU_DEP_1)
	v_cmp_ne_u32_e64 s0, 7, v25
	v_cndmask_b32_e64 v15, 0xc61c4000, v15, s0
	v_cmp_ne_u32_e64 s0, 6, v25
	s_delay_alu instid0(VALU_DEP_1) | instskip(SKIP_1) | instid1(VALU_DEP_1)
	v_cndmask_b32_e64 v14, 0xc61c4000, v14, s0
	v_cmp_ne_u32_e64 s0, 5, v25
	v_cndmask_b32_e64 v13, 0xc61c4000, v13, s0
	v_cmp_ne_u32_e64 s0, 4, v25
	s_delay_alu instid0(VALU_DEP_1) | instskip(SKIP_1) | instid1(VALU_DEP_1)
	v_cndmask_b32_e64 v12, 0xc61c4000, v12, s0
	;; [unrolled: 5-line block ×3, first 2 shown]
	v_cmp_ne_u32_e64 s0, 1, v25
	v_cndmask_b32_e64 v9, 0xc61c4000, v9, s0
	v_cmp_ne_u32_e64 s0, 0, v25
	s_delay_alu instid0(VALU_DEP_1)
	v_cndmask_b32_e64 v8, 0xc61c4000, v8, s0
	s_branch .LBB180_8
.LBB180_27:
                                        ; implicit-def: $vgpr8_vgpr9_vgpr10_vgpr11_vgpr12_vgpr13_vgpr14_vgpr15
	s_and_not1_b32 vcc_lo, exec_lo, s8
	s_cbranch_vccz .LBB180_5
	s_branch .LBB180_6
.LBB180_28:
	v_mov_b32_e32 v22, 0
.LBB180_29:
	v_cmp_eq_u32_e64 s0, 0, v17
	s_delay_alu instid0(VALU_DEP_1) | instskip(NEXT) | instid1(SALU_CYCLE_1)
	s_and_b32 s0, s0, vcc_lo
	s_and_b32 exec_lo, exec_lo, s0
	s_cbranch_execz .LBB180_33
; %bb.30:
	s_and_not1_b32 vcc_lo, exec_lo, s3
	s_cbranch_vccnz .LBB180_33
; %bb.31:
	v_mul_lo_u32 v0, v16, s4
	v_cmp_lt_f32_e32 vcc_lo, 0, v22
	v_cndmask_b32_e32 v2, 1.0, v22, vcc_lo
	s_delay_alu instid0(VALU_DEP_3) | instskip(NEXT) | instid1(VALU_DEP_1)
	v_ashrrev_i32_e32 v1, 31, v0
	v_lshlrev_b64 v[0:1], 2, v[0:1]
	s_delay_alu instid0(VALU_DEP_1) | instskip(NEXT) | instid1(VALU_DEP_2)
	v_add_co_u32 v0, vcc_lo, s12, v0
	v_add_co_ci_u32_e32 v1, vcc_lo, s13, v1, vcc_lo
	.p2align	6
.LBB180_32:                             ; =>This Inner Loop Header: Depth=1
	global_load_b32 v3, v[0:1], off
	s_add_i32 s4, s4, -1
	s_delay_alu instid0(SALU_CYCLE_1) | instskip(SKIP_3) | instid1(VALU_DEP_2)
	s_cmp_lg_u32 s4, 0
	s_waitcnt vmcnt(0)
	v_div_scale_f32 v4, null, v2, v2, v3
	v_div_scale_f32 v7, vcc_lo, v3, v2, v3
	v_rcp_f32_e32 v5, v4
	s_waitcnt_depctr 0xfff
	v_fma_f32 v6, -v4, v5, 1.0
	s_delay_alu instid0(VALU_DEP_1) | instskip(NEXT) | instid1(VALU_DEP_1)
	v_fmac_f32_e32 v5, v6, v5
	v_mul_f32_e32 v6, v7, v5
	s_delay_alu instid0(VALU_DEP_1) | instskip(NEXT) | instid1(VALU_DEP_1)
	v_fma_f32 v8, -v4, v6, v7
	v_fmac_f32_e32 v6, v8, v5
	s_delay_alu instid0(VALU_DEP_1) | instskip(NEXT) | instid1(VALU_DEP_1)
	v_fma_f32 v4, -v4, v6, v7
	v_div_fmas_f32 v4, v4, v5, v6
	s_delay_alu instid0(VALU_DEP_1)
	v_div_fixup_f32 v3, v4, v2, v3
	global_store_b32 v[0:1], v3, off
	v_add_co_u32 v0, vcc_lo, v0, 4
	v_add_co_ci_u32_e32 v1, vcc_lo, 0, v1, vcc_lo
	s_cbranch_scc1 .LBB180_32
.LBB180_33:
	s_nop 0
	s_sendmsg sendmsg(MSG_DEALLOC_VGPRS)
	s_endpgm
	.section	.rodata,"a",@progbits
	.p2align	6, 0x0
	.amdhsa_kernel _ZN4vllm3moe10topkGatingILi8ELi64ELi4ELi16ELi64El14__hip_bfloat16LNS0_11ScoringFuncE0EEEvPKT5_PKbPfiPT4_PiiiibPKf
		.amdhsa_group_segment_fixed_size 0
		.amdhsa_private_segment_fixed_size 0
		.amdhsa_kernarg_size 72
		.amdhsa_user_sgpr_count 15
		.amdhsa_user_sgpr_dispatch_ptr 0
		.amdhsa_user_sgpr_queue_ptr 0
		.amdhsa_user_sgpr_kernarg_segment_ptr 1
		.amdhsa_user_sgpr_dispatch_id 0
		.amdhsa_user_sgpr_private_segment_size 0
		.amdhsa_wavefront_size32 1
		.amdhsa_uses_dynamic_stack 0
		.amdhsa_enable_private_segment 0
		.amdhsa_system_sgpr_workgroup_id_x 1
		.amdhsa_system_sgpr_workgroup_id_y 0
		.amdhsa_system_sgpr_workgroup_id_z 0
		.amdhsa_system_sgpr_workgroup_info 0
		.amdhsa_system_vgpr_workitem_id 1
		.amdhsa_next_free_vgpr 37
		.amdhsa_next_free_sgpr 18
		.amdhsa_reserve_vcc 1
		.amdhsa_float_round_mode_32 0
		.amdhsa_float_round_mode_16_64 0
		.amdhsa_float_denorm_mode_32 3
		.amdhsa_float_denorm_mode_16_64 3
		.amdhsa_dx10_clamp 1
		.amdhsa_ieee_mode 1
		.amdhsa_fp16_overflow 0
		.amdhsa_workgroup_processor_mode 1
		.amdhsa_memory_ordered 1
		.amdhsa_forward_progress 0
		.amdhsa_shared_vgpr_count 0
		.amdhsa_exception_fp_ieee_invalid_op 0
		.amdhsa_exception_fp_denorm_src 0
		.amdhsa_exception_fp_ieee_div_zero 0
		.amdhsa_exception_fp_ieee_overflow 0
		.amdhsa_exception_fp_ieee_underflow 0
		.amdhsa_exception_fp_ieee_inexact 0
		.amdhsa_exception_int_div_zero 0
	.end_amdhsa_kernel
	.section	.text._ZN4vllm3moe10topkGatingILi8ELi64ELi4ELi16ELi64El14__hip_bfloat16LNS0_11ScoringFuncE0EEEvPKT5_PKbPfiPT4_PiiiibPKf,"axG",@progbits,_ZN4vllm3moe10topkGatingILi8ELi64ELi4ELi16ELi64El14__hip_bfloat16LNS0_11ScoringFuncE0EEEvPKT5_PKbPfiPT4_PiiiibPKf,comdat
.Lfunc_end180:
	.size	_ZN4vllm3moe10topkGatingILi8ELi64ELi4ELi16ELi64El14__hip_bfloat16LNS0_11ScoringFuncE0EEEvPKT5_PKbPfiPT4_PiiiibPKf, .Lfunc_end180-_ZN4vllm3moe10topkGatingILi8ELi64ELi4ELi16ELi64El14__hip_bfloat16LNS0_11ScoringFuncE0EEEvPKT5_PKbPfiPT4_PiiiibPKf
                                        ; -- End function
	.section	.AMDGPU.csdata,"",@progbits
; Kernel info:
; codeLenInByte = 3192
; NumSgprs: 20
; NumVgprs: 37
; ScratchSize: 0
; MemoryBound: 0
; FloatMode: 240
; IeeeMode: 1
; LDSByteSize: 0 bytes/workgroup (compile time only)
; SGPRBlocks: 2
; VGPRBlocks: 4
; NumSGPRsForWavesPerEU: 20
; NumVGPRsForWavesPerEU: 37
; Occupancy: 16
; WaveLimiterHint : 0
; COMPUTE_PGM_RSRC2:SCRATCH_EN: 0
; COMPUTE_PGM_RSRC2:USER_SGPR: 15
; COMPUTE_PGM_RSRC2:TRAP_HANDLER: 0
; COMPUTE_PGM_RSRC2:TGID_X_EN: 1
; COMPUTE_PGM_RSRC2:TGID_Y_EN: 0
; COMPUTE_PGM_RSRC2:TGID_Z_EN: 0
; COMPUTE_PGM_RSRC2:TIDIG_COMP_CNT: 1
	.section	.text._ZN4vllm3moe10topkGatingILi8ELi64ELi4ELi16ELi32El14__hip_bfloat16LNS0_11ScoringFuncE0EEEvPKT5_PKbPfiPT4_PiiiibPKf,"axG",@progbits,_ZN4vllm3moe10topkGatingILi8ELi64ELi4ELi16ELi32El14__hip_bfloat16LNS0_11ScoringFuncE0EEEvPKT5_PKbPfiPT4_PiiiibPKf,comdat
	.protected	_ZN4vllm3moe10topkGatingILi8ELi64ELi4ELi16ELi32El14__hip_bfloat16LNS0_11ScoringFuncE0EEEvPKT5_PKbPfiPT4_PiiiibPKf ; -- Begin function _ZN4vllm3moe10topkGatingILi8ELi64ELi4ELi16ELi32El14__hip_bfloat16LNS0_11ScoringFuncE0EEEvPKT5_PKbPfiPT4_PiiiibPKf
	.globl	_ZN4vllm3moe10topkGatingILi8ELi64ELi4ELi16ELi32El14__hip_bfloat16LNS0_11ScoringFuncE0EEEvPKT5_PKbPfiPT4_PiiiibPKf
	.p2align	8
	.type	_ZN4vllm3moe10topkGatingILi8ELi64ELi4ELi16ELi32El14__hip_bfloat16LNS0_11ScoringFuncE0EEEvPKT5_PKbPfiPT4_PiiiibPKf,@function
_ZN4vllm3moe10topkGatingILi8ELi64ELi4ELi16ELi32El14__hip_bfloat16LNS0_11ScoringFuncE0EEEvPKT5_PKbPfiPT4_PiiiibPKf: ; @_ZN4vllm3moe10topkGatingILi8ELi64ELi4ELi16ELi32El14__hip_bfloat16LNS0_11ScoringFuncE0EEEvPKT5_PKbPfiPT4_PiiiibPKf
; %bb.0:
	s_load_b32 s14, s[0:1], 0x18
	v_bfe_u32 v1, v0, 10, 10
	v_and_b32_e32 v0, 0x3ff, v0
	s_lshl_b32 s2, s15, 4
	s_delay_alu instid0(VALU_DEP_2) | instskip(NEXT) | instid1(VALU_DEP_2)
	v_lshlrev_b32_e32 v1, 2, v1
	v_lshrrev_b32_e32 v2, 3, v0
	s_delay_alu instid0(VALU_DEP_1) | instskip(SKIP_2) | instid1(VALU_DEP_1)
	v_add3_u32 v16, s2, v1, v2
	s_mov_b32 s2, exec_lo
	s_waitcnt lgkmcnt(0)
	v_cmpx_gt_i32_e64 s14, v16
	s_cbranch_execz .LBB181_33
; %bb.1:
	s_clause 0x1
	s_load_b128 s[4:7], s[0:1], 0x0
	s_load_b64 s[12:13], s[0:1], 0x10
	s_mov_b32 s8, -1
	s_mov_b32 s15, -1
	s_waitcnt lgkmcnt(0)
	s_cmp_eq_u64 s[6:7], 0
	s_cbranch_scc1 .LBB181_3
; %bb.2:
	v_ashrrev_i32_e32 v2, 31, v16
	v_add_co_u32 v1, vcc_lo, s6, v16
	s_delay_alu instid0(VALU_DEP_2) | instskip(SKIP_3) | instid1(VALU_DEP_1)
	v_add_co_ci_u32_e32 v2, vcc_lo, s7, v2, vcc_lo
	global_load_u8 v1, v[1:2], off
	s_waitcnt vmcnt(0)
	v_and_b32_e32 v1, 1, v1
	v_cmp_eq_u32_e32 vcc_lo, 1, v1
	s_xor_b32 s2, vcc_lo, -1
	s_delay_alu instid0(SALU_CYCLE_1)
	s_or_not1_b32 s15, s2, exec_lo
.LBB181_3:
	v_lshlrev_b32_e32 v1, 6, v16
	v_and_b32_e32 v17, 7, v0
	v_mbcnt_lo_u32_b32 v5, -1, 0
	s_load_b64 s[2:3], s[0:1], 0x40
	s_delay_alu instid0(VALU_DEP_3) | instskip(NEXT) | instid1(VALU_DEP_2)
	v_ashrrev_i32_e32 v2, 31, v1
	v_xor_b32_e32 v9, 4, v5
	v_and_b32_e32 v8, 24, v5
	v_xor_b32_e32 v12, 2, v5
	s_delay_alu instid0(VALU_DEP_4) | instskip(SKIP_1) | instid1(VALU_DEP_2)
	v_lshlrev_b64 v[0:1], 1, v[1:2]
	v_lshlrev_b32_e32 v2, 4, v17
	v_add_co_u32 v0, vcc_lo, s4, v0
	s_delay_alu instid0(VALU_DEP_3) | instskip(NEXT) | instid1(VALU_DEP_2)
	v_add_co_ci_u32_e32 v1, vcc_lo, s5, v1, vcc_lo
	v_add_co_u32 v0, vcc_lo, v0, v2
	s_delay_alu instid0(VALU_DEP_2)
	v_add_co_ci_u32_e32 v1, vcc_lo, 0, v1, vcc_lo
	s_waitcnt lgkmcnt(0)
	s_cmp_eq_u64 s[2:3], 0
	global_load_b128 v[0:3], v[0:1], off
	s_waitcnt vmcnt(0)
	v_and_b32_e32 v4, 0xffff0000, v0
	v_lshlrev_b32_e32 v0, 16, v0
	v_lshlrev_b32_e32 v10, 16, v1
	s_delay_alu instid0(VALU_DEP_3) | instskip(NEXT) | instid1(VALU_DEP_3)
	v_dual_max_f32 v6, v4, v4 :: v_dual_and_b32 v1, 0xffff0000, v1
	v_max_f32_e32 v7, v0, v0
	s_delay_alu instid0(VALU_DEP_1) | instskip(SKIP_2) | instid1(VALU_DEP_3)
	v_dual_max_f32 v6, v7, v6 :: v_dual_add_nc_u32 v7, 8, v8
	v_lshlrev_b32_e32 v8, 16, v2
	v_and_b32_e32 v2, 0xffff0000, v2
	v_max3_f32 v6, v6, v10, v1
	s_delay_alu instid0(VALU_DEP_4) | instskip(NEXT) | instid1(VALU_DEP_2)
	v_cmp_lt_i32_e32 vcc_lo, v9, v7
	v_max3_f32 v6, v6, v8, v2
	v_cndmask_b32_e32 v9, v5, v9, vcc_lo
	v_cmp_lt_i32_e32 vcc_lo, v12, v7
	v_lshlrev_b32_e32 v11, 16, v3
	v_and_b32_e32 v3, 0xffff0000, v3
	s_delay_alu instid0(VALU_DEP_4) | instskip(SKIP_1) | instid1(VALU_DEP_3)
	v_lshlrev_b32_e32 v18, 2, v9
	v_cndmask_b32_e32 v12, v5, v12, vcc_lo
	v_max3_f32 v6, v6, v11, v3
	s_delay_alu instid0(VALU_DEP_2) | instskip(SKIP_4) | instid1(VALU_DEP_1)
	v_lshlrev_b32_e32 v19, 2, v12
	v_xor_b32_e32 v12, 1, v5
	ds_bpermute_b32 v9, v18, v6
	v_cmp_lt_i32_e32 vcc_lo, v12, v7
	v_cndmask_b32_e32 v5, v5, v12, vcc_lo
	v_lshlrev_b32_e32 v20, 2, v5
	s_waitcnt lgkmcnt(0)
	v_max_f32_e32 v9, v9, v9
	s_delay_alu instid0(VALU_DEP_1) | instskip(SKIP_3) | instid1(VALU_DEP_1)
	v_max_f32_e32 v6, v6, v9
	ds_bpermute_b32 v9, v19, v6
	s_waitcnt lgkmcnt(0)
	v_max_f32_e32 v7, v9, v9
	v_max_f32_e32 v5, v6, v7
	ds_bpermute_b32 v6, v20, v5
	s_waitcnt lgkmcnt(0)
	v_max_f32_e32 v6, v6, v6
	s_delay_alu instid0(VALU_DEP_1) | instskip(NEXT) | instid1(VALU_DEP_1)
	v_max_f32_e32 v5, v5, v6
	v_sub_f32_e32 v4, v4, v5
	v_sub_f32_e32 v6, v10, v5
	;; [unrolled: 1-line block ×4, first 2 shown]
	s_delay_alu instid0(VALU_DEP_4) | instskip(NEXT) | instid1(VALU_DEP_4)
	v_mul_f32_e32 v9, 0x3fb8aa3b, v4
	v_dual_sub_f32 v7, v8, v5 :: v_dual_mul_f32 v10, 0x3fb8aa3b, v6
	v_sub_f32_e32 v3, v3, v5
	v_cmp_ngt_f32_e32 vcc_lo, 0xc2ce8ed0, v0
	s_delay_alu instid0(VALU_DEP_4) | instskip(NEXT) | instid1(VALU_DEP_4)
	v_fma_f32 v23, 0x3fb8aa3b, v4, -v9
	v_mul_f32_e32 v12, 0x3fb8aa3b, v7
	s_delay_alu instid0(VALU_DEP_4) | instskip(SKIP_1) | instid1(VALU_DEP_3)
	v_dual_sub_f32 v2, v2, v5 :: v_dual_mul_f32 v15, 0x3fb8aa3b, v3
	v_dual_sub_f32 v8, v11, v5 :: v_dual_mul_f32 v5, 0x3fb8aa3b, v0
	v_fma_f32 v29, 0x3fb8aa3b, v7, -v12
	s_delay_alu instid0(VALU_DEP_3)
	v_mul_f32_e32 v13, 0x3fb8aa3b, v2
	v_rndne_f32_e32 v30, v12
	v_fma_f32 v25, 0x3fb8aa3b, v6, -v10
	v_fma_f32 v21, 0x3fb8aa3b, v0, -v5
	v_rndne_f32_e32 v22, v5
	v_rndne_f32_e32 v26, v10
	v_dual_fmac_f32 v23, 0x32a5705f, v4 :: v_dual_sub_f32 v12, v12, v30
	v_fmac_f32_e32 v29, 0x32a5705f, v7
	v_dual_mul_f32 v11, 0x3fb8aa3b, v1 :: v_dual_mul_f32 v14, 0x3fb8aa3b, v8
	v_rndne_f32_e32 v24, v9
	v_dual_fmac_f32 v21, 0x32a5705f, v0 :: v_dual_sub_f32 v10, v10, v26
	s_delay_alu instid0(VALU_DEP_4) | instskip(SKIP_2) | instid1(VALU_DEP_3)
	v_dual_fmac_f32 v25, 0x32a5705f, v6 :: v_dual_add_f32 v12, v12, v29
	v_sub_f32_e32 v5, v5, v22
	v_rndne_f32_e32 v34, v14
	v_dual_sub_f32 v9, v9, v24 :: v_dual_add_f32 v10, v10, v25
	v_fma_f32 v33, 0x3fb8aa3b, v8, -v14
	s_delay_alu instid0(VALU_DEP_3) | instskip(NEXT) | instid1(VALU_DEP_3)
	v_dual_add_f32 v5, v5, v21 :: v_dual_sub_f32 v14, v14, v34
	v_add_f32_e32 v9, v9, v23
	v_cvt_i32_f32_e32 v22, v22
	v_cvt_i32_f32_e32 v24, v24
	s_delay_alu instid0(VALU_DEP_4)
	v_exp_f32_e32 v5, v5
	v_exp_f32_e32 v10, v10
	;; [unrolled: 1-line block ×3, first 2 shown]
	v_fma_f32 v27, 0x3fb8aa3b, v1, -v11
	v_rndne_f32_e32 v28, v11
	v_cvt_i32_f32_e32 v26, v26
	v_fmac_f32_e32 v33, 0x32a5705f, v8
	v_rndne_f32_e32 v32, v13
	v_fma_f32 v31, 0x3fb8aa3b, v2, -v13
	v_sub_f32_e32 v11, v11, v28
	v_ldexp_f32 v5, v5, v22
	v_add_f32_e32 v14, v14, v33
	v_ldexp_f32 v9, v9, v24
	v_ldexp_f32 v10, v10, v26
	v_rndne_f32_e32 v36, v15
	v_cndmask_b32_e32 v5, 0, v5, vcc_lo
	v_cmp_ngt_f32_e32 vcc_lo, 0xc2ce8ed0, v4
	v_cvt_i32_f32_e32 v28, v28
	v_fma_f32 v35, 0x3fb8aa3b, v3, -v15
	v_exp_f32_e32 v12, v12
	v_cvt_i32_f32_e32 v30, v30
	v_cndmask_b32_e32 v9, 0, v9, vcc_lo
	v_cmp_ngt_f32_e32 vcc_lo, 0xc2ce8ed0, v6
	v_fmac_f32_e32 v27, 0x32a5705f, v1
	v_fmac_f32_e32 v35, 0x32a5705f, v3
	v_exp_f32_e32 v14, v14
	v_cvt_i32_f32_e32 v21, v34
	s_delay_alu instid0(VALU_DEP_3)
	v_dual_cndmask_b32 v10, 0, v10 :: v_dual_add_f32 v11, v11, v27
	v_cmp_nlt_f32_e32 vcc_lo, 0x42b17218, v0
	v_sub_f32_e32 v13, v13, v32
	v_ldexp_f32 v12, v12, v30
	v_cvt_i32_f32_e32 v32, v32
	v_exp_f32_e32 v11, v11
	v_cndmask_b32_e32 v0, 0x7f800000, v5, vcc_lo
	v_cmp_nlt_f32_e32 vcc_lo, 0x42b17218, v4
	v_fmac_f32_e32 v31, 0x32a5705f, v2
	v_sub_f32_e32 v15, v15, v36
	v_ldexp_f32 v14, v14, v21
	v_cvt_i32_f32_e32 v23, v36
	v_cndmask_b32_e32 v4, 0x7f800000, v9, vcc_lo
	v_cmp_ngt_f32_e32 vcc_lo, 0xc2ce8ed0, v1
	v_add_f32_e32 v13, v13, v31
	v_ldexp_f32 v11, v11, v28
	v_add_f32_e32 v15, v15, v35
	v_add_f32_e32 v9, v0, v4
	v_lshlrev_b32_e32 v21, 3, v17
	v_exp_f32_e32 v13, v13
	v_cndmask_b32_e32 v5, 0, v11, vcc_lo
	v_cmp_nlt_f32_e32 vcc_lo, 0x42b17218, v6
	v_exp_f32_e32 v15, v15
	v_cndmask_b32_e32 v6, 0x7f800000, v10, vcc_lo
	v_cmp_ngt_f32_e32 vcc_lo, 0xc2ce8ed0, v7
	s_waitcnt_depctr 0xfff
	v_ldexp_f32 v13, v13, v32
	v_cndmask_b32_e32 v10, 0, v12, vcc_lo
	v_cmp_nlt_f32_e32 vcc_lo, 0x42b17218, v1
	v_ldexp_f32 v15, v15, v23
	v_cndmask_b32_e32 v1, 0x7f800000, v5, vcc_lo
	v_cmp_ngt_f32_e32 vcc_lo, 0xc2ce8ed0, v2
	v_add_f32_e32 v5, v9, v6
	v_cndmask_b32_e32 v9, 0, v13, vcc_lo
	v_cmp_nlt_f32_e32 vcc_lo, 0x42b17218, v7
	s_delay_alu instid0(VALU_DEP_3) | instskip(SKIP_2) | instid1(VALU_DEP_2)
	v_add_f32_e32 v5, v5, v1
	v_cndmask_b32_e32 v7, 0x7f800000, v10, vcc_lo
	v_cmp_ngt_f32_e32 vcc_lo, 0xc2ce8ed0, v8
	v_dual_add_f32 v5, v5, v7 :: v_dual_cndmask_b32 v10, 0, v14
	v_cmp_nlt_f32_e32 vcc_lo, 0x42b17218, v2
	v_cndmask_b32_e32 v2, 0x7f800000, v9, vcc_lo
	v_cmp_ngt_f32_e32 vcc_lo, 0xc2ce8ed0, v3
	s_delay_alu instid0(VALU_DEP_2) | instskip(SKIP_4) | instid1(VALU_DEP_2)
	v_add_f32_e32 v5, v5, v2
	v_cndmask_b32_e32 v9, 0, v15, vcc_lo
	v_cmp_nlt_f32_e32 vcc_lo, 0x42b17218, v8
	v_cndmask_b32_e32 v8, 0x7f800000, v10, vcc_lo
	v_cmp_nlt_f32_e32 vcc_lo, 0x42b17218, v3
	v_add_f32_e32 v5, v5, v8
	v_cndmask_b32_e32 v3, 0x7f800000, v9, vcc_lo
	s_delay_alu instid0(VALU_DEP_1)
	v_add_f32_e32 v5, v5, v3
	ds_bpermute_b32 v9, v18, v5
	s_waitcnt lgkmcnt(0)
	v_add_f32_e32 v5, v5, v9
	ds_bpermute_b32 v9, v19, v5
	s_waitcnt lgkmcnt(0)
	;; [unrolled: 3-line block ×3, first 2 shown]
	v_add_f32_e32 v5, v5, v9
	s_delay_alu instid0(VALU_DEP_1) | instskip(SKIP_1) | instid1(VALU_DEP_2)
	v_div_scale_f32 v9, null, v5, v5, 1.0
	v_div_scale_f32 v12, vcc_lo, 1.0, v5, 1.0
	v_rcp_f32_e32 v10, v9
	s_waitcnt_depctr 0xfff
	v_fma_f32 v11, -v9, v10, 1.0
	s_delay_alu instid0(VALU_DEP_1) | instskip(NEXT) | instid1(VALU_DEP_1)
	v_fmac_f32_e32 v10, v11, v10
	v_mul_f32_e32 v11, v12, v10
	s_delay_alu instid0(VALU_DEP_1) | instskip(NEXT) | instid1(VALU_DEP_1)
	v_fma_f32 v13, -v9, v11, v12
	v_fmac_f32_e32 v11, v13, v10
	s_delay_alu instid0(VALU_DEP_1) | instskip(NEXT) | instid1(VALU_DEP_1)
	v_fma_f32 v9, -v9, v11, v12
	v_div_fmas_f32 v9, v9, v10, v11
	s_delay_alu instid0(VALU_DEP_1) | instskip(NEXT) | instid1(VALU_DEP_1)
	v_div_fixup_f32 v5, v9, v5, 1.0
	v_mul_f32_e32 v0, v5, v0
	v_mul_f32_e32 v4, v5, v4
	;; [unrolled: 1-line block ×5, first 2 shown]
	v_cmp_class_f32_e64 vcc_lo, v0, 0x1f8
	v_mul_f32_e32 v7, v5, v7
	v_mul_f32_e32 v10, v5, v2
	v_dual_mul_f32 v11, v5, v3 :: v_dual_cndmask_b32 v0, 0, v0
	v_cmp_class_f32_e64 vcc_lo, v4, 0x1f8
	v_cndmask_b32_e32 v1, 0, v4, vcc_lo
	v_cmp_class_f32_e64 vcc_lo, v6, 0x1f8
	v_cndmask_b32_e32 v2, 0, v6, vcc_lo
	;; [unrolled: 2-line block ×7, first 2 shown]
	s_cbranch_scc1 .LBB181_27
; %bb.4:
	v_lshlrev_b32_e32 v12, 2, v21
	s_clause 0x1
	global_load_b128 v[8:11], v12, s[2:3]
	global_load_b128 v[12:15], v12, s[2:3] offset:16
	s_waitcnt vmcnt(1)
	v_dual_add_f32 v11, v11, v3 :: v_dual_add_f32 v8, v8, v0
	v_dual_add_f32 v9, v9, v1 :: v_dual_add_f32 v10, v10, v2
	s_waitcnt vmcnt(0)
	v_dual_add_f32 v13, v13, v5 :: v_dual_add_f32 v12, v12, v4
	v_dual_add_f32 v15, v15, v7 :: v_dual_add_f32 v14, v14, v6
	s_cbranch_execnz .LBB181_6
.LBB181_5:
	v_dual_mov_b32 v15, v7 :: v_dual_mov_b32 v14, v6
	v_dual_mov_b32 v13, v5 :: v_dual_mov_b32 v12, v4
	;; [unrolled: 1-line block ×4, first 2 shown]
.LBB181_6:
	s_load_b128 s[4:7], s[0:1], 0x30
	v_cmp_eq_u32_e64 s2, 0, v17
	s_waitcnt lgkmcnt(0)
	s_bitcmp1_b32 s7, 0
	s_mov_b32 s7, 0
	s_cselect_b32 vcc_lo, -1, 0
	s_cmp_gt_i32 s4, 0
	s_cselect_b32 s3, -1, 0
	s_cmp_lt_i32 s4, 1
	s_cbranch_scc1 .LBB181_28
; %bb.7:
	s_load_b128 s[8:11], s[0:1], 0x20
	v_mul_lo_u32 v23, v16, s4
	v_mov_b32_e32 v22, 0
	v_mov_b32_e32 v24, v16
	s_branch .LBB181_10
.LBB181_8:                              ;   in Loop: Header=BB181_10 Depth=1
	s_or_b32 exec_lo, exec_lo, s1
.LBB181_9:                              ;   in Loop: Header=BB181_10 Depth=1
	v_add_nc_u32_e32 v24, s14, v24
	s_cmp_eq_u32 s4, s7
	s_cbranch_scc1 .LBB181_29
.LBB181_10:                             ; =>This Inner Loop Header: Depth=1
	v_cmp_gt_f32_e64 s0, v9, v8
	s_mov_b32 s17, exec_lo
	s_delay_alu instid0(VALU_DEP_1) | instskip(SKIP_2) | instid1(VALU_DEP_3)
	v_cndmask_b32_e64 v25, v8, v9, s0
	v_cndmask_b32_e64 v26, 0, 1, s0
	;; [unrolled: 1-line block ×3, first 2 shown]
	v_cmp_gt_f32_e64 s1, v10, v25
	s_delay_alu instid0(VALU_DEP_1) | instskip(NEXT) | instid1(VALU_DEP_4)
	v_cndmask_b32_e64 v25, v25, v10, s1
	v_cndmask_b32_e64 v26, v26, 2, s1
	s_delay_alu instid0(VALU_DEP_4) | instskip(NEXT) | instid1(VALU_DEP_3)
	v_cndmask_b32_e64 v27, v27, v2, s1
	v_cmp_gt_f32_e64 s0, v11, v25
	s_delay_alu instid0(VALU_DEP_1) | instskip(NEXT) | instid1(VALU_DEP_4)
	v_cndmask_b32_e64 v25, v25, v11, s0
	v_cndmask_b32_e64 v26, v26, 3, s0
	s_delay_alu instid0(VALU_DEP_4) | instskip(NEXT) | instid1(VALU_DEP_3)
	v_cndmask_b32_e64 v27, v27, v3, s0
	;; [unrolled: 6-line block ×4, first 2 shown]
	v_cmp_gt_f32_e64 s1, v14, v25
	s_delay_alu instid0(VALU_DEP_1) | instskip(NEXT) | instid1(VALU_DEP_4)
	v_cndmask_b32_e64 v25, v25, v14, s1
	v_cndmask_b32_e64 v26, v26, 6, s1
	s_waitcnt lgkmcnt(0)
	v_cndmask_b32_e64 v28, v27, v6, s1
	s_delay_alu instid0(VALU_DEP_3) | instskip(NEXT) | instid1(VALU_DEP_1)
	v_cmp_gt_f32_e64 s0, v15, v25
	v_cndmask_b32_e64 v27, v25, v15, s0
	v_cndmask_b32_e64 v25, v26, 7, s0
	s_delay_alu instid0(VALU_DEP_4)
	v_cndmask_b32_e64 v26, v28, v7, s0
	ds_bpermute_b32 v28, v18, v27
	v_or_b32_e32 v25, v21, v25
	ds_bpermute_b32 v30, v18, v26
	ds_bpermute_b32 v29, v18, v25
	s_waitcnt lgkmcnt(0)
	v_cmp_lt_f32_e64 s16, v27, v28
	v_cmpx_nlt_f32_e32 v27, v28
; %bb.11:                               ;   in Loop: Header=BB181_10 Depth=1
	v_cmp_eq_f32_e64 s0, v27, v28
	v_cmp_lt_i32_e64 s1, v29, v25
	s_delay_alu instid0(VALU_DEP_1) | instskip(SKIP_2) | instid1(SALU_CYCLE_1)
	s_and_b32 s0, s0, s1
	s_and_not1_b32 s1, s16, exec_lo
	s_and_b32 s0, s0, exec_lo
	s_or_b32 s16, s1, s0
; %bb.12:                               ;   in Loop: Header=BB181_10 Depth=1
	s_or_b32 exec_lo, exec_lo, s17
	s_and_saveexec_b32 s0, s16
; %bb.13:                               ;   in Loop: Header=BB181_10 Depth=1
	v_dual_mov_b32 v26, v30 :: v_dual_mov_b32 v27, v28
	v_mov_b32_e32 v25, v29
; %bb.14:                               ;   in Loop: Header=BB181_10 Depth=1
	s_or_b32 exec_lo, exec_lo, s0
	ds_bpermute_b32 v29, v19, v27
	ds_bpermute_b32 v30, v19, v26
	;; [unrolled: 1-line block ×3, first 2 shown]
	s_mov_b32 s17, exec_lo
	s_waitcnt lgkmcnt(2)
	v_cmp_lt_f32_e64 s16, v27, v29
	v_cmpx_nlt_f32_e32 v27, v29
	s_cbranch_execz .LBB181_16
; %bb.15:                               ;   in Loop: Header=BB181_10 Depth=1
	v_cmp_eq_f32_e64 s0, v27, v29
	s_waitcnt lgkmcnt(0)
	v_cmp_lt_i32_e64 s1, v28, v25
	s_delay_alu instid0(VALU_DEP_1) | instskip(SKIP_2) | instid1(SALU_CYCLE_1)
	s_and_b32 s0, s0, s1
	s_and_not1_b32 s1, s16, exec_lo
	s_and_b32 s0, s0, exec_lo
	s_or_b32 s16, s1, s0
.LBB181_16:                             ;   in Loop: Header=BB181_10 Depth=1
	s_or_b32 exec_lo, exec_lo, s17
	s_delay_alu instid0(VALU_DEP_2)
	s_and_saveexec_b32 s0, s16
	s_cbranch_execz .LBB181_18
; %bb.17:                               ;   in Loop: Header=BB181_10 Depth=1
	s_waitcnt lgkmcnt(1)
	v_dual_mov_b32 v26, v30 :: v_dual_mov_b32 v27, v29
	s_waitcnt lgkmcnt(0)
	v_mov_b32_e32 v25, v28
.LBB181_18:                             ;   in Loop: Header=BB181_10 Depth=1
	s_or_b32 exec_lo, exec_lo, s0
	s_waitcnt lgkmcnt(1)
	ds_bpermute_b32 v30, v20, v27
	ds_bpermute_b32 v29, v20, v26
	s_waitcnt lgkmcnt(2)
	ds_bpermute_b32 v28, v20, v25
	s_mov_b32 s17, exec_lo
	s_waitcnt lgkmcnt(2)
	v_cmp_lt_f32_e64 s16, v27, v30
	v_cmpx_nlt_f32_e32 v27, v30
	s_cbranch_execnz .LBB181_22
; %bb.19:                               ;   in Loop: Header=BB181_10 Depth=1
	s_or_b32 exec_lo, exec_lo, s17
	s_delay_alu instid0(VALU_DEP_2)
	s_and_saveexec_b32 s0, s16
	s_cbranch_execnz .LBB181_23
.LBB181_20:                             ;   in Loop: Header=BB181_10 Depth=1
	s_or_b32 exec_lo, exec_lo, s0
	s_and_saveexec_b32 s16, s2
	s_cbranch_execnz .LBB181_24
.LBB181_21:                             ;   in Loop: Header=BB181_10 Depth=1
	s_or_b32 exec_lo, exec_lo, s16
	s_add_i32 s7, s7, 1
	s_delay_alu instid0(SALU_CYCLE_1)
	s_cmp_ge_i32 s7, s4
	s_cbranch_scc1 .LBB181_9
	s_branch .LBB181_25
.LBB181_22:                             ;   in Loop: Header=BB181_10 Depth=1
	v_cmp_eq_f32_e64 s0, v27, v30
	s_waitcnt lgkmcnt(0)
	v_cmp_lt_i32_e64 s1, v28, v25
	s_delay_alu instid0(VALU_DEP_1) | instskip(SKIP_2) | instid1(SALU_CYCLE_1)
	s_and_b32 s0, s0, s1
	s_and_not1_b32 s1, s16, exec_lo
	s_and_b32 s0, s0, exec_lo
	s_or_b32 s16, s1, s0
	s_or_b32 exec_lo, exec_lo, s17
	s_and_saveexec_b32 s0, s16
	s_cbranch_execz .LBB181_20
.LBB181_23:                             ;   in Loop: Header=BB181_10 Depth=1
	s_waitcnt lgkmcnt(0)
	v_dual_mov_b32 v26, v29 :: v_dual_mov_b32 v25, v28
	s_or_b32 exec_lo, exec_lo, s0
	s_and_saveexec_b32 s16, s2
	s_cbranch_execz .LBB181_21
.LBB181_24:                             ;   in Loop: Header=BB181_10 Depth=1
	v_add_nc_u32_e32 v27, s7, v23
	v_subrev_nc_u32_e32 v31, s5, v25
	v_cmp_le_i32_e64 s0, s5, v25
	v_cmp_gt_i32_e64 s1, s6, v25
	v_add_f32_e32 v35, v22, v26
	s_waitcnt lgkmcnt(0)
	v_ashrrev_i32_e32 v28, 31, v27
	v_ashrrev_i32_e32 v32, 31, v31
	s_and_b32 s0, s0, s1
	v_cndmask_b32_e32 v22, v22, v35, vcc_lo
	s_delay_alu instid0(VALU_DEP_3) | instskip(SKIP_2) | instid1(SALU_CYCLE_1)
	v_lshlrev_b64 v[29:30], 2, v[27:28]
	v_lshlrev_b64 v[27:28], 3, v[27:28]
	s_and_b32 s0, s15, s0
	v_cndmask_b32_e64 v32, 0, v32, s0
	v_cndmask_b32_e64 v31, 64, v31, s0
	s_delay_alu instid0(VALU_DEP_4) | instskip(NEXT) | instid1(VALU_DEP_1)
	v_add_co_u32 v33, s0, s12, v29
	v_add_co_ci_u32_e64 v34, s0, s13, v30, s0
	v_add_co_u32 v27, s0, s8, v27
	s_delay_alu instid0(VALU_DEP_1) | instskip(SKIP_1) | instid1(VALU_DEP_1)
	v_add_co_ci_u32_e64 v28, s0, s9, v28, s0
	v_add_co_u32 v29, s0, s10, v29
	v_add_co_ci_u32_e64 v30, s0, s11, v30, s0
	global_store_b32 v[33:34], v26, off
	global_store_b64 v[27:28], v[31:32], off
	global_store_b32 v[29:30], v24, off
	s_or_b32 exec_lo, exec_lo, s16
	s_add_i32 s7, s7, 1
	s_delay_alu instid0(SALU_CYCLE_1)
	s_cmp_ge_i32 s7, s4
	s_cbranch_scc1 .LBB181_9
.LBB181_25:                             ;   in Loop: Header=BB181_10 Depth=1
	v_ashrrev_i32_e32 v27, 31, v25
	s_mov_b32 s1, exec_lo
	s_delay_alu instid0(VALU_DEP_1) | instskip(NEXT) | instid1(VALU_DEP_1)
	v_lshrrev_b32_e32 v26, 29, v27
	v_add_nc_u32_e32 v26, v25, v26
	s_delay_alu instid0(VALU_DEP_1) | instskip(SKIP_1) | instid1(VALU_DEP_1)
	v_ashrrev_i32_e32 v26, 3, v26
	s_waitcnt lgkmcnt(0)
	v_lshrrev_b32_e32 v28, 29, v26
	s_delay_alu instid0(VALU_DEP_1) | instskip(NEXT) | instid1(VALU_DEP_1)
	v_add_nc_u32_e32 v28, v26, v28
	v_and_b32_e32 v28, -8, v28
	s_delay_alu instid0(VALU_DEP_1) | instskip(NEXT) | instid1(VALU_DEP_1)
	v_sub_nc_u32_e32 v28, v26, v28
	v_cmpx_eq_u32_e64 v17, v28
	s_cbranch_execz .LBB181_8
; %bb.26:                               ;   in Loop: Header=BB181_10 Depth=1
	v_lshrrev_b32_e32 v27, 26, v27
	v_lshlrev_b32_e32 v26, 3, v26
	s_delay_alu instid0(VALU_DEP_2) | instskip(NEXT) | instid1(VALU_DEP_2)
	v_add_nc_u32_e32 v27, v25, v27
	v_sub_nc_u32_e32 v25, v25, v26
	s_delay_alu instid0(VALU_DEP_2) | instskip(NEXT) | instid1(VALU_DEP_1)
	v_ashrrev_i32_e32 v26, 6, v27
	v_lshl_add_u32 v25, v26, 3, v25
	s_delay_alu instid0(VALU_DEP_1) | instskip(NEXT) | instid1(VALU_DEP_1)
	v_cmp_ne_u32_e64 s0, 7, v25
	v_cndmask_b32_e64 v15, 0xc61c4000, v15, s0
	v_cmp_ne_u32_e64 s0, 6, v25
	s_delay_alu instid0(VALU_DEP_1) | instskip(SKIP_1) | instid1(VALU_DEP_1)
	v_cndmask_b32_e64 v14, 0xc61c4000, v14, s0
	v_cmp_ne_u32_e64 s0, 5, v25
	v_cndmask_b32_e64 v13, 0xc61c4000, v13, s0
	v_cmp_ne_u32_e64 s0, 4, v25
	s_delay_alu instid0(VALU_DEP_1) | instskip(SKIP_1) | instid1(VALU_DEP_1)
	v_cndmask_b32_e64 v12, 0xc61c4000, v12, s0
	;; [unrolled: 5-line block ×3, first 2 shown]
	v_cmp_ne_u32_e64 s0, 1, v25
	v_cndmask_b32_e64 v9, 0xc61c4000, v9, s0
	v_cmp_ne_u32_e64 s0, 0, v25
	s_delay_alu instid0(VALU_DEP_1)
	v_cndmask_b32_e64 v8, 0xc61c4000, v8, s0
	s_branch .LBB181_8
.LBB181_27:
                                        ; implicit-def: $vgpr8_vgpr9_vgpr10_vgpr11_vgpr12_vgpr13_vgpr14_vgpr15
	s_and_not1_b32 vcc_lo, exec_lo, s8
	s_cbranch_vccz .LBB181_5
	s_branch .LBB181_6
.LBB181_28:
	v_mov_b32_e32 v22, 0
.LBB181_29:
	v_cmp_eq_u32_e64 s0, 0, v17
	s_delay_alu instid0(VALU_DEP_1) | instskip(NEXT) | instid1(SALU_CYCLE_1)
	s_and_b32 s0, s0, vcc_lo
	s_and_b32 exec_lo, exec_lo, s0
	s_cbranch_execz .LBB181_33
; %bb.30:
	s_and_not1_b32 vcc_lo, exec_lo, s3
	s_cbranch_vccnz .LBB181_33
; %bb.31:
	v_mul_lo_u32 v0, v16, s4
	v_cmp_lt_f32_e32 vcc_lo, 0, v22
	v_cndmask_b32_e32 v2, 1.0, v22, vcc_lo
	s_delay_alu instid0(VALU_DEP_3) | instskip(NEXT) | instid1(VALU_DEP_1)
	v_ashrrev_i32_e32 v1, 31, v0
	v_lshlrev_b64 v[0:1], 2, v[0:1]
	s_delay_alu instid0(VALU_DEP_1) | instskip(NEXT) | instid1(VALU_DEP_2)
	v_add_co_u32 v0, vcc_lo, s12, v0
	v_add_co_ci_u32_e32 v1, vcc_lo, s13, v1, vcc_lo
	.p2align	6
.LBB181_32:                             ; =>This Inner Loop Header: Depth=1
	global_load_b32 v3, v[0:1], off
	s_add_i32 s4, s4, -1
	s_delay_alu instid0(SALU_CYCLE_1) | instskip(SKIP_3) | instid1(VALU_DEP_2)
	s_cmp_lg_u32 s4, 0
	s_waitcnt vmcnt(0)
	v_div_scale_f32 v4, null, v2, v2, v3
	v_div_scale_f32 v7, vcc_lo, v3, v2, v3
	v_rcp_f32_e32 v5, v4
	s_waitcnt_depctr 0xfff
	v_fma_f32 v6, -v4, v5, 1.0
	s_delay_alu instid0(VALU_DEP_1) | instskip(NEXT) | instid1(VALU_DEP_1)
	v_fmac_f32_e32 v5, v6, v5
	v_mul_f32_e32 v6, v7, v5
	s_delay_alu instid0(VALU_DEP_1) | instskip(NEXT) | instid1(VALU_DEP_1)
	v_fma_f32 v8, -v4, v6, v7
	v_fmac_f32_e32 v6, v8, v5
	s_delay_alu instid0(VALU_DEP_1) | instskip(NEXT) | instid1(VALU_DEP_1)
	v_fma_f32 v4, -v4, v6, v7
	v_div_fmas_f32 v4, v4, v5, v6
	s_delay_alu instid0(VALU_DEP_1)
	v_div_fixup_f32 v3, v4, v2, v3
	global_store_b32 v[0:1], v3, off
	v_add_co_u32 v0, vcc_lo, v0, 4
	v_add_co_ci_u32_e32 v1, vcc_lo, 0, v1, vcc_lo
	s_cbranch_scc1 .LBB181_32
.LBB181_33:
	s_nop 0
	s_sendmsg sendmsg(MSG_DEALLOC_VGPRS)
	s_endpgm
	.section	.rodata,"a",@progbits
	.p2align	6, 0x0
	.amdhsa_kernel _ZN4vllm3moe10topkGatingILi8ELi64ELi4ELi16ELi32El14__hip_bfloat16LNS0_11ScoringFuncE0EEEvPKT5_PKbPfiPT4_PiiiibPKf
		.amdhsa_group_segment_fixed_size 0
		.amdhsa_private_segment_fixed_size 0
		.amdhsa_kernarg_size 72
		.amdhsa_user_sgpr_count 15
		.amdhsa_user_sgpr_dispatch_ptr 0
		.amdhsa_user_sgpr_queue_ptr 0
		.amdhsa_user_sgpr_kernarg_segment_ptr 1
		.amdhsa_user_sgpr_dispatch_id 0
		.amdhsa_user_sgpr_private_segment_size 0
		.amdhsa_wavefront_size32 1
		.amdhsa_uses_dynamic_stack 0
		.amdhsa_enable_private_segment 0
		.amdhsa_system_sgpr_workgroup_id_x 1
		.amdhsa_system_sgpr_workgroup_id_y 0
		.amdhsa_system_sgpr_workgroup_id_z 0
		.amdhsa_system_sgpr_workgroup_info 0
		.amdhsa_system_vgpr_workitem_id 1
		.amdhsa_next_free_vgpr 37
		.amdhsa_next_free_sgpr 18
		.amdhsa_reserve_vcc 1
		.amdhsa_float_round_mode_32 0
		.amdhsa_float_round_mode_16_64 0
		.amdhsa_float_denorm_mode_32 3
		.amdhsa_float_denorm_mode_16_64 3
		.amdhsa_dx10_clamp 1
		.amdhsa_ieee_mode 1
		.amdhsa_fp16_overflow 0
		.amdhsa_workgroup_processor_mode 1
		.amdhsa_memory_ordered 1
		.amdhsa_forward_progress 0
		.amdhsa_shared_vgpr_count 0
		.amdhsa_exception_fp_ieee_invalid_op 0
		.amdhsa_exception_fp_denorm_src 0
		.amdhsa_exception_fp_ieee_div_zero 0
		.amdhsa_exception_fp_ieee_overflow 0
		.amdhsa_exception_fp_ieee_underflow 0
		.amdhsa_exception_fp_ieee_inexact 0
		.amdhsa_exception_int_div_zero 0
	.end_amdhsa_kernel
	.section	.text._ZN4vllm3moe10topkGatingILi8ELi64ELi4ELi16ELi32El14__hip_bfloat16LNS0_11ScoringFuncE0EEEvPKT5_PKbPfiPT4_PiiiibPKf,"axG",@progbits,_ZN4vllm3moe10topkGatingILi8ELi64ELi4ELi16ELi32El14__hip_bfloat16LNS0_11ScoringFuncE0EEEvPKT5_PKbPfiPT4_PiiiibPKf,comdat
.Lfunc_end181:
	.size	_ZN4vllm3moe10topkGatingILi8ELi64ELi4ELi16ELi32El14__hip_bfloat16LNS0_11ScoringFuncE0EEEvPKT5_PKbPfiPT4_PiiiibPKf, .Lfunc_end181-_ZN4vllm3moe10topkGatingILi8ELi64ELi4ELi16ELi32El14__hip_bfloat16LNS0_11ScoringFuncE0EEEvPKT5_PKbPfiPT4_PiiiibPKf
                                        ; -- End function
	.section	.AMDGPU.csdata,"",@progbits
; Kernel info:
; codeLenInByte = 3192
; NumSgprs: 20
; NumVgprs: 37
; ScratchSize: 0
; MemoryBound: 0
; FloatMode: 240
; IeeeMode: 1
; LDSByteSize: 0 bytes/workgroup (compile time only)
; SGPRBlocks: 2
; VGPRBlocks: 4
; NumSGPRsForWavesPerEU: 20
; NumVGPRsForWavesPerEU: 37
; Occupancy: 16
; WaveLimiterHint : 0
; COMPUTE_PGM_RSRC2:SCRATCH_EN: 0
; COMPUTE_PGM_RSRC2:USER_SGPR: 15
; COMPUTE_PGM_RSRC2:TRAP_HANDLER: 0
; COMPUTE_PGM_RSRC2:TGID_X_EN: 1
; COMPUTE_PGM_RSRC2:TGID_Y_EN: 0
; COMPUTE_PGM_RSRC2:TGID_Z_EN: 0
; COMPUTE_PGM_RSRC2:TIDIG_COMP_CNT: 1
	.section	.text._ZN4vllm3moe10topkGatingILi8ELi128ELi4ELi16ELi64El14__hip_bfloat16LNS0_11ScoringFuncE0EEEvPKT5_PKbPfiPT4_PiiiibPKf,"axG",@progbits,_ZN4vllm3moe10topkGatingILi8ELi128ELi4ELi16ELi64El14__hip_bfloat16LNS0_11ScoringFuncE0EEEvPKT5_PKbPfiPT4_PiiiibPKf,comdat
	.protected	_ZN4vllm3moe10topkGatingILi8ELi128ELi4ELi16ELi64El14__hip_bfloat16LNS0_11ScoringFuncE0EEEvPKT5_PKbPfiPT4_PiiiibPKf ; -- Begin function _ZN4vllm3moe10topkGatingILi8ELi128ELi4ELi16ELi64El14__hip_bfloat16LNS0_11ScoringFuncE0EEEvPKT5_PKbPfiPT4_PiiiibPKf
	.globl	_ZN4vllm3moe10topkGatingILi8ELi128ELi4ELi16ELi64El14__hip_bfloat16LNS0_11ScoringFuncE0EEEvPKT5_PKbPfiPT4_PiiiibPKf
	.p2align	8
	.type	_ZN4vllm3moe10topkGatingILi8ELi128ELi4ELi16ELi64El14__hip_bfloat16LNS0_11ScoringFuncE0EEEvPKT5_PKbPfiPT4_PiiiibPKf,@function
_ZN4vllm3moe10topkGatingILi8ELi128ELi4ELi16ELi64El14__hip_bfloat16LNS0_11ScoringFuncE0EEEvPKT5_PKbPfiPT4_PiiiibPKf: ; @_ZN4vllm3moe10topkGatingILi8ELi128ELi4ELi16ELi64El14__hip_bfloat16LNS0_11ScoringFuncE0EEEvPKT5_PKbPfiPT4_PiiiibPKf
; %bb.0:
	s_load_b32 s14, s[0:1], 0x18
	v_bfe_u32 v1, v0, 10, 10
	v_and_b32_e32 v0, 0x3ff, v0
	s_lshl_b32 s2, s15, 4
	s_delay_alu instid0(VALU_DEP_2) | instskip(NEXT) | instid1(VALU_DEP_2)
	v_lshlrev_b32_e32 v1, 2, v1
	v_lshrrev_b32_e32 v2, 4, v0
	s_delay_alu instid0(VALU_DEP_1) | instskip(SKIP_2) | instid1(VALU_DEP_1)
	v_add3_u32 v16, s2, v1, v2
	s_mov_b32 s2, exec_lo
	s_waitcnt lgkmcnt(0)
	v_cmpx_gt_i32_e64 s14, v16
	s_cbranch_execz .LBB182_37
; %bb.1:
	s_clause 0x1
	s_load_b128 s[4:7], s[0:1], 0x0
	s_load_b64 s[12:13], s[0:1], 0x10
	s_mov_b32 s8, -1
	s_mov_b32 s15, -1
	s_waitcnt lgkmcnt(0)
	s_cmp_eq_u64 s[6:7], 0
	s_cbranch_scc1 .LBB182_3
; %bb.2:
	v_ashrrev_i32_e32 v2, 31, v16
	v_add_co_u32 v1, vcc_lo, s6, v16
	s_delay_alu instid0(VALU_DEP_2) | instskip(SKIP_3) | instid1(VALU_DEP_1)
	v_add_co_ci_u32_e32 v2, vcc_lo, s7, v2, vcc_lo
	global_load_u8 v1, v[1:2], off
	s_waitcnt vmcnt(0)
	v_and_b32_e32 v1, 1, v1
	v_cmp_eq_u32_e32 vcc_lo, 1, v1
	s_xor_b32 s2, vcc_lo, -1
	s_delay_alu instid0(SALU_CYCLE_1)
	s_or_not1_b32 s15, s2, exec_lo
.LBB182_3:
	v_lshlrev_b32_e32 v1, 7, v16
	v_and_b32_e32 v17, 15, v0
	v_mbcnt_lo_u32_b32 v5, -1, 0
	s_load_b64 s[2:3], s[0:1], 0x40
	s_delay_alu instid0(VALU_DEP_3) | instskip(NEXT) | instid1(VALU_DEP_2)
	v_ashrrev_i32_e32 v2, 31, v1
	v_xor_b32_e32 v9, 8, v5
	v_and_b32_e32 v8, 16, v5
	v_xor_b32_e32 v12, 4, v5
	s_delay_alu instid0(VALU_DEP_4) | instskip(SKIP_1) | instid1(VALU_DEP_2)
	v_lshlrev_b64 v[0:1], 1, v[1:2]
	v_lshlrev_b32_e32 v2, 4, v17
	v_add_co_u32 v0, vcc_lo, s4, v0
	s_delay_alu instid0(VALU_DEP_3) | instskip(NEXT) | instid1(VALU_DEP_2)
	v_add_co_ci_u32_e32 v1, vcc_lo, s5, v1, vcc_lo
	v_add_co_u32 v0, vcc_lo, v0, v2
	s_delay_alu instid0(VALU_DEP_2)
	v_add_co_ci_u32_e32 v1, vcc_lo, 0, v1, vcc_lo
	s_waitcnt lgkmcnt(0)
	s_cmp_eq_u64 s[2:3], 0
	global_load_b128 v[0:3], v[0:1], off
	s_waitcnt vmcnt(0)
	v_and_b32_e32 v4, 0xffff0000, v0
	v_lshlrev_b32_e32 v0, 16, v0
	v_lshlrev_b32_e32 v10, 16, v1
	s_delay_alu instid0(VALU_DEP_3) | instskip(NEXT) | instid1(VALU_DEP_3)
	v_dual_max_f32 v6, v4, v4 :: v_dual_and_b32 v1, 0xffff0000, v1
	v_max_f32_e32 v7, v0, v0
	s_delay_alu instid0(VALU_DEP_1) | instskip(SKIP_2) | instid1(VALU_DEP_3)
	v_dual_max_f32 v6, v7, v6 :: v_dual_add_nc_u32 v7, 16, v8
	v_lshlrev_b32_e32 v8, 16, v2
	v_and_b32_e32 v2, 0xffff0000, v2
	v_max3_f32 v6, v6, v10, v1
	s_delay_alu instid0(VALU_DEP_4) | instskip(NEXT) | instid1(VALU_DEP_2)
	v_cmp_lt_i32_e32 vcc_lo, v9, v7
	v_max3_f32 v6, v6, v8, v2
	v_cndmask_b32_e32 v9, v5, v9, vcc_lo
	v_cmp_lt_i32_e32 vcc_lo, v12, v7
	v_lshlrev_b32_e32 v11, 16, v3
	s_delay_alu instid0(VALU_DEP_3) | instskip(SKIP_1) | instid1(VALU_DEP_1)
	v_lshlrev_b32_e32 v18, 2, v9
	v_cndmask_b32_e32 v12, v5, v12, vcc_lo
	v_lshlrev_b32_e32 v19, 2, v12
	v_xor_b32_e32 v12, 2, v5
	v_and_b32_e32 v3, 0xffff0000, v3
	s_delay_alu instid0(VALU_DEP_1) | instskip(SKIP_3) | instid1(VALU_DEP_1)
	v_max3_f32 v6, v6, v11, v3
	ds_bpermute_b32 v9, v18, v6
	s_waitcnt lgkmcnt(0)
	v_max_f32_e32 v9, v9, v9
	v_max_f32_e32 v6, v6, v9
	ds_bpermute_b32 v9, v19, v6
	s_waitcnt lgkmcnt(0)
	v_max_f32_e32 v9, v9, v9
	s_delay_alu instid0(VALU_DEP_1) | instskip(SKIP_2) | instid1(VALU_DEP_1)
	v_max_f32_e32 v6, v6, v9
	v_cmp_lt_i32_e32 vcc_lo, v12, v7
	v_cndmask_b32_e32 v12, v5, v12, vcc_lo
	v_lshlrev_b32_e32 v20, 2, v12
	v_xor_b32_e32 v12, 1, v5
	ds_bpermute_b32 v9, v20, v6
	v_cmp_lt_i32_e32 vcc_lo, v12, v7
	v_cndmask_b32_e32 v5, v5, v12, vcc_lo
	s_delay_alu instid0(VALU_DEP_1) | instskip(SKIP_2) | instid1(VALU_DEP_1)
	v_lshlrev_b32_e32 v21, 2, v5
	s_waitcnt lgkmcnt(0)
	v_max_f32_e32 v7, v9, v9
	v_max_f32_e32 v5, v6, v7
	ds_bpermute_b32 v6, v21, v5
	s_waitcnt lgkmcnt(0)
	v_max_f32_e32 v6, v6, v6
	s_delay_alu instid0(VALU_DEP_1) | instskip(NEXT) | instid1(VALU_DEP_1)
	v_max_f32_e32 v5, v5, v6
	v_sub_f32_e32 v7, v8, v5
	v_sub_f32_e32 v3, v3, v5
	v_sub_f32_e32 v4, v4, v5
	v_sub_f32_e32 v0, v0, v5
	v_sub_f32_e32 v2, v2, v5
	v_sub_f32_e32 v1, v1, v5
	v_dual_mul_f32 v15, 0x3fb8aa3b, v3 :: v_dual_sub_f32 v6, v10, v5
	v_dual_sub_f32 v8, v11, v5 :: v_dual_mul_f32 v9, 0x3fb8aa3b, v4
	v_mul_f32_e32 v5, 0x3fb8aa3b, v0
	v_mul_f32_e32 v13, 0x3fb8aa3b, v2
	s_delay_alu instid0(VALU_DEP_4)
	v_mul_f32_e32 v10, 0x3fb8aa3b, v6
	v_cmp_ngt_f32_e32 vcc_lo, 0xc2ce8ed0, v0
	v_fma_f32 v24, 0x3fb8aa3b, v4, -v9
	v_fma_f32 v22, 0x3fb8aa3b, v0, -v5
	v_rndne_f32_e32 v23, v5
	v_rndne_f32_e32 v27, v10
	v_mul_f32_e32 v11, 0x3fb8aa3b, v1
	v_rndne_f32_e32 v25, v9
	v_fma_f32 v26, 0x3fb8aa3b, v6, -v10
	v_dual_fmac_f32 v22, 0x32a5705f, v0 :: v_dual_sub_f32 v5, v5, v23
	s_delay_alu instid0(VALU_DEP_3)
	v_dual_mul_f32 v14, 0x3fb8aa3b, v8 :: v_dual_sub_f32 v9, v9, v25
	v_mul_f32_e32 v12, 0x3fb8aa3b, v7
	v_sub_f32_e32 v10, v10, v27
	v_fma_f32 v28, 0x3fb8aa3b, v1, -v11
	v_rndne_f32_e32 v29, v11
	v_fmac_f32_e32 v24, 0x32a5705f, v4
	v_rndne_f32_e32 v31, v12
	s_delay_alu instid0(VALU_DEP_4) | instskip(SKIP_1) | instid1(VALU_DEP_3)
	v_dual_add_f32 v5, v5, v22 :: v_dual_fmac_f32 v28, 0x32a5705f, v1
	v_fma_f32 v30, 0x3fb8aa3b, v7, -v12
	v_dual_sub_f32 v11, v11, v29 :: v_dual_sub_f32 v12, v12, v31
	v_add_f32_e32 v9, v9, v24
	s_delay_alu instid0(VALU_DEP_4)
	v_exp_f32_e32 v5, v5
	v_cvt_i32_f32_e32 v23, v23
	v_fma_f32 v34, 0x3fb8aa3b, v8, -v14
	v_cvt_i32_f32_e32 v25, v25
	v_exp_f32_e32 v9, v9
	v_fma_f32 v32, 0x3fb8aa3b, v2, -v13
	v_rndne_f32_e32 v33, v13
	v_fma_f32 v36, 0x3fb8aa3b, v3, -v15
	v_rndne_f32_e32 v37, v15
	v_fmac_f32_e32 v26, 0x32a5705f, v6
	v_ldexp_f32 v5, v5, v23
	v_dual_sub_f32 v13, v13, v33 :: v_dual_fmac_f32 v34, 0x32a5705f, v8
	v_rndne_f32_e32 v35, v14
	s_delay_alu instid0(TRANS32_DEP_1) | instskip(NEXT) | instid1(VALU_DEP_4)
	v_ldexp_f32 v9, v9, v25
	v_cndmask_b32_e32 v5, 0, v5, vcc_lo
	v_cmp_ngt_f32_e32 vcc_lo, 0xc2ce8ed0, v4
	v_dual_fmac_f32 v30, 0x32a5705f, v7 :: v_dual_sub_f32 v15, v15, v37
	v_dual_fmac_f32 v32, 0x32a5705f, v2 :: v_dual_add_f32 v11, v11, v28
	v_dual_fmac_f32 v36, 0x32a5705f, v3 :: v_dual_cndmask_b32 v9, 0, v9
	v_add_f32_e32 v10, v10, v26
	s_delay_alu instid0(VALU_DEP_3) | instskip(NEXT) | instid1(VALU_DEP_3)
	v_dual_sub_f32 v14, v14, v35 :: v_dual_add_f32 v13, v13, v32
	v_add_f32_e32 v15, v15, v36
	v_cvt_i32_f32_e32 v27, v27
	s_delay_alu instid0(VALU_DEP_4)
	v_exp_f32_e32 v10, v10
	v_cvt_i32_f32_e32 v33, v33
	v_exp_f32_e32 v13, v13
	v_cmp_ngt_f32_e32 vcc_lo, 0xc2ce8ed0, v6
	v_exp_f32_e32 v11, v11
	v_cvt_i32_f32_e32 v29, v29
	v_cvt_i32_f32_e32 v31, v31
	v_exp_f32_e32 v15, v15
	v_cvt_i32_f32_e32 v24, v37
	v_cvt_i32_f32_e32 v22, v35
	v_ldexp_f32 v10, v10, v27
	s_delay_alu instid0(TRANS32_DEP_3) | instskip(NEXT) | instid1(TRANS32_DEP_2)
	v_ldexp_f32 v13, v13, v33
	v_ldexp_f32 v11, v11, v29
	s_delay_alu instid0(VALU_DEP_3) | instskip(SKIP_1) | instid1(TRANS32_DEP_1)
	v_cndmask_b32_e32 v10, 0, v10, vcc_lo
	v_cmp_nlt_f32_e32 vcc_lo, 0x42b17218, v0
	v_ldexp_f32 v15, v15, v24
	v_cndmask_b32_e32 v0, 0x7f800000, v5, vcc_lo
	v_cmp_nlt_f32_e32 vcc_lo, 0x42b17218, v4
	v_cndmask_b32_e32 v4, 0x7f800000, v9, vcc_lo
	v_cmp_ngt_f32_e32 vcc_lo, 0xc2ce8ed0, v1
	v_add_f32_e32 v12, v12, v30
	s_delay_alu instid0(VALU_DEP_3) | instskip(SKIP_1) | instid1(VALU_DEP_3)
	v_dual_add_f32 v14, v14, v34 :: v_dual_add_f32 v9, v0, v4
	v_cndmask_b32_e32 v5, 0, v11, vcc_lo
	v_exp_f32_e32 v12, v12
	v_cmp_nlt_f32_e32 vcc_lo, 0x42b17218, v6
	s_delay_alu instid0(VALU_DEP_3)
	v_exp_f32_e32 v14, v14
	v_cndmask_b32_e32 v6, 0x7f800000, v10, vcc_lo
	v_cmp_ngt_f32_e32 vcc_lo, 0xc2ce8ed0, v7
	s_waitcnt_depctr 0xfff
	v_ldexp_f32 v12, v12, v31
	v_ldexp_f32 v14, v14, v22
	v_lshlrev_b32_e32 v22, 3, v17
	s_delay_alu instid0(VALU_DEP_3)
	v_cndmask_b32_e32 v10, 0, v12, vcc_lo
	v_cmp_nlt_f32_e32 vcc_lo, 0x42b17218, v1
	v_cndmask_b32_e32 v1, 0x7f800000, v5, vcc_lo
	v_cmp_ngt_f32_e32 vcc_lo, 0xc2ce8ed0, v2
	v_add_f32_e32 v5, v9, v6
	v_cndmask_b32_e32 v9, 0, v13, vcc_lo
	v_cmp_nlt_f32_e32 vcc_lo, 0x42b17218, v7
	s_delay_alu instid0(VALU_DEP_3) | instskip(SKIP_2) | instid1(VALU_DEP_2)
	v_add_f32_e32 v5, v5, v1
	v_cndmask_b32_e32 v7, 0x7f800000, v10, vcc_lo
	v_cmp_ngt_f32_e32 vcc_lo, 0xc2ce8ed0, v8
	v_dual_add_f32 v5, v5, v7 :: v_dual_cndmask_b32 v10, 0, v14
	v_cmp_nlt_f32_e32 vcc_lo, 0x42b17218, v2
	v_cndmask_b32_e32 v2, 0x7f800000, v9, vcc_lo
	v_cmp_ngt_f32_e32 vcc_lo, 0xc2ce8ed0, v3
	s_delay_alu instid0(VALU_DEP_2) | instskip(SKIP_4) | instid1(VALU_DEP_2)
	v_add_f32_e32 v5, v5, v2
	v_cndmask_b32_e32 v9, 0, v15, vcc_lo
	v_cmp_nlt_f32_e32 vcc_lo, 0x42b17218, v8
	v_cndmask_b32_e32 v8, 0x7f800000, v10, vcc_lo
	v_cmp_nlt_f32_e32 vcc_lo, 0x42b17218, v3
	v_add_f32_e32 v5, v5, v8
	v_cndmask_b32_e32 v3, 0x7f800000, v9, vcc_lo
	s_delay_alu instid0(VALU_DEP_1)
	v_add_f32_e32 v5, v5, v3
	ds_bpermute_b32 v9, v18, v5
	s_waitcnt lgkmcnt(0)
	v_add_f32_e32 v5, v5, v9
	ds_bpermute_b32 v9, v19, v5
	s_waitcnt lgkmcnt(0)
	;; [unrolled: 3-line block ×4, first 2 shown]
	v_add_f32_e32 v5, v5, v9
	s_delay_alu instid0(VALU_DEP_1) | instskip(SKIP_1) | instid1(VALU_DEP_2)
	v_div_scale_f32 v9, null, v5, v5, 1.0
	v_div_scale_f32 v12, vcc_lo, 1.0, v5, 1.0
	v_rcp_f32_e32 v10, v9
	s_waitcnt_depctr 0xfff
	v_fma_f32 v11, -v9, v10, 1.0
	s_delay_alu instid0(VALU_DEP_1) | instskip(NEXT) | instid1(VALU_DEP_1)
	v_fmac_f32_e32 v10, v11, v10
	v_mul_f32_e32 v11, v12, v10
	s_delay_alu instid0(VALU_DEP_1) | instskip(NEXT) | instid1(VALU_DEP_1)
	v_fma_f32 v13, -v9, v11, v12
	v_fmac_f32_e32 v11, v13, v10
	s_delay_alu instid0(VALU_DEP_1) | instskip(NEXT) | instid1(VALU_DEP_1)
	v_fma_f32 v9, -v9, v11, v12
	v_div_fmas_f32 v9, v9, v10, v11
	s_delay_alu instid0(VALU_DEP_1) | instskip(NEXT) | instid1(VALU_DEP_1)
	v_div_fixup_f32 v5, v9, v5, 1.0
	v_mul_f32_e32 v4, v5, v4
	v_mul_f32_e32 v0, v5, v0
	;; [unrolled: 1-line block ×6, first 2 shown]
	v_cmp_class_f32_e64 vcc_lo, v0, 0x1f8
	v_cndmask_b32_e32 v0, 0, v0, vcc_lo
	v_cmp_class_f32_e64 vcc_lo, v4, 0x1f8
	v_dual_mul_f32 v6, v5, v6 :: v_dual_cndmask_b32 v1, 0, v4
	s_delay_alu instid0(VALU_DEP_1)
	v_cmp_class_f32_e64 vcc_lo, v6, 0x1f8
	v_cndmask_b32_e32 v2, 0, v6, vcc_lo
	v_cmp_class_f32_e64 vcc_lo, v9, 0x1f8
	v_cndmask_b32_e32 v3, 0, v9, vcc_lo
	;; [unrolled: 2-line block ×3, first 2 shown]
	v_cmp_class_f32_e64 vcc_lo, v10, 0x1f8
	v_dual_mul_f32 v8, v5, v8 :: v_dual_cndmask_b32 v5, 0, v10
	s_delay_alu instid0(VALU_DEP_1)
	v_cmp_class_f32_e64 vcc_lo, v8, 0x1f8
	v_cndmask_b32_e32 v6, 0, v8, vcc_lo
	v_cmp_class_f32_e64 vcc_lo, v11, 0x1f8
	v_cndmask_b32_e32 v7, 0, v11, vcc_lo
	s_cbranch_scc1 .LBB182_31
; %bb.4:
	v_lshlrev_b32_e32 v12, 2, v22
	s_clause 0x1
	global_load_b128 v[8:11], v12, s[2:3]
	global_load_b128 v[12:15], v12, s[2:3] offset:16
	s_waitcnt vmcnt(1)
	v_dual_add_f32 v9, v9, v1 :: v_dual_add_f32 v8, v8, v0
	v_dual_add_f32 v11, v11, v3 :: v_dual_add_f32 v10, v10, v2
	s_waitcnt vmcnt(0)
	v_dual_add_f32 v13, v13, v5 :: v_dual_add_f32 v12, v12, v4
	v_dual_add_f32 v15, v15, v7 :: v_dual_add_f32 v14, v14, v6
	s_cbranch_execnz .LBB182_6
.LBB182_5:
	v_dual_mov_b32 v15, v7 :: v_dual_mov_b32 v14, v6
	v_dual_mov_b32 v13, v5 :: v_dual_mov_b32 v12, v4
	v_dual_mov_b32 v11, v3 :: v_dual_mov_b32 v10, v2
	v_dual_mov_b32 v9, v1 :: v_dual_mov_b32 v8, v0
.LBB182_6:
	s_load_b128 s[4:7], s[0:1], 0x30
	v_cmp_eq_u32_e64 s2, 0, v17
	s_waitcnt lgkmcnt(0)
	s_bitcmp1_b32 s7, 0
	s_mov_b32 s7, 0
	s_cselect_b32 vcc_lo, -1, 0
	s_cmp_gt_i32 s4, 0
	s_cselect_b32 s3, -1, 0
	s_cmp_lt_i32 s4, 1
	s_cbranch_scc1 .LBB182_32
; %bb.7:
	s_load_b128 s[8:11], s[0:1], 0x20
	v_mul_lo_u32 v24, v16, s4
	v_mov_b32_e32 v23, 0
	v_mov_b32_e32 v25, v16
	s_branch .LBB182_10
.LBB182_8:                              ;   in Loop: Header=BB182_10 Depth=1
	s_or_b32 exec_lo, exec_lo, s1
.LBB182_9:                              ;   in Loop: Header=BB182_10 Depth=1
	v_add_nc_u32_e32 v25, s14, v25
	s_cmp_eq_u32 s4, s7
	s_cbranch_scc1 .LBB182_33
.LBB182_10:                             ; =>This Inner Loop Header: Depth=1
	v_cmp_gt_f32_e64 s0, v9, v8
	s_mov_b32 s17, exec_lo
	s_delay_alu instid0(VALU_DEP_1) | instskip(SKIP_2) | instid1(VALU_DEP_3)
	v_cndmask_b32_e64 v26, v8, v9, s0
	v_cndmask_b32_e64 v27, 0, 1, s0
	;; [unrolled: 1-line block ×3, first 2 shown]
	v_cmp_gt_f32_e64 s1, v10, v26
	s_delay_alu instid0(VALU_DEP_1) | instskip(NEXT) | instid1(VALU_DEP_4)
	v_cndmask_b32_e64 v26, v26, v10, s1
	v_cndmask_b32_e64 v27, v27, 2, s1
	s_delay_alu instid0(VALU_DEP_4) | instskip(NEXT) | instid1(VALU_DEP_3)
	v_cndmask_b32_e64 v28, v28, v2, s1
	v_cmp_gt_f32_e64 s0, v11, v26
	s_delay_alu instid0(VALU_DEP_1) | instskip(NEXT) | instid1(VALU_DEP_4)
	v_cndmask_b32_e64 v26, v26, v11, s0
	v_cndmask_b32_e64 v27, v27, 3, s0
	s_delay_alu instid0(VALU_DEP_4) | instskip(NEXT) | instid1(VALU_DEP_3)
	v_cndmask_b32_e64 v28, v28, v3, s0
	v_cmp_gt_f32_e64 s1, v12, v26
	s_delay_alu instid0(VALU_DEP_1) | instskip(NEXT) | instid1(VALU_DEP_4)
	v_cndmask_b32_e64 v26, v26, v12, s1
	v_cndmask_b32_e64 v27, v27, 4, s1
	s_delay_alu instid0(VALU_DEP_4) | instskip(NEXT) | instid1(VALU_DEP_3)
	v_cndmask_b32_e64 v28, v28, v4, s1
	v_cmp_gt_f32_e64 s0, v13, v26
	s_delay_alu instid0(VALU_DEP_1) | instskip(NEXT) | instid1(VALU_DEP_4)
	v_cndmask_b32_e64 v26, v26, v13, s0
	v_cndmask_b32_e64 v27, v27, 5, s0
	s_delay_alu instid0(VALU_DEP_4) | instskip(NEXT) | instid1(VALU_DEP_3)
	v_cndmask_b32_e64 v28, v28, v5, s0
	v_cmp_gt_f32_e64 s1, v14, v26
	s_delay_alu instid0(VALU_DEP_1) | instskip(NEXT) | instid1(VALU_DEP_4)
	v_cndmask_b32_e64 v26, v26, v14, s1
	v_cndmask_b32_e64 v27, v27, 6, s1
	s_waitcnt lgkmcnt(0)
	v_cndmask_b32_e64 v29, v28, v6, s1
	s_delay_alu instid0(VALU_DEP_3) | instskip(NEXT) | instid1(VALU_DEP_1)
	v_cmp_gt_f32_e64 s0, v15, v26
	v_cndmask_b32_e64 v28, v26, v15, s0
	v_cndmask_b32_e64 v26, v27, 7, s0
	s_delay_alu instid0(VALU_DEP_4)
	v_cndmask_b32_e64 v27, v29, v7, s0
	ds_bpermute_b32 v29, v18, v28
	v_or_b32_e32 v26, v22, v26
	ds_bpermute_b32 v31, v18, v27
	ds_bpermute_b32 v30, v18, v26
	s_waitcnt lgkmcnt(0)
	v_cmp_lt_f32_e64 s16, v28, v29
	v_cmpx_nlt_f32_e32 v28, v29
; %bb.11:                               ;   in Loop: Header=BB182_10 Depth=1
	v_cmp_eq_f32_e64 s0, v28, v29
	v_cmp_lt_i32_e64 s1, v30, v26
	s_delay_alu instid0(VALU_DEP_1) | instskip(SKIP_2) | instid1(SALU_CYCLE_1)
	s_and_b32 s0, s0, s1
	s_and_not1_b32 s1, s16, exec_lo
	s_and_b32 s0, s0, exec_lo
	s_or_b32 s16, s1, s0
; %bb.12:                               ;   in Loop: Header=BB182_10 Depth=1
	s_or_b32 exec_lo, exec_lo, s17
	s_and_saveexec_b32 s0, s16
; %bb.13:                               ;   in Loop: Header=BB182_10 Depth=1
	v_dual_mov_b32 v27, v31 :: v_dual_mov_b32 v28, v29
	v_mov_b32_e32 v26, v30
; %bb.14:                               ;   in Loop: Header=BB182_10 Depth=1
	s_or_b32 exec_lo, exec_lo, s0
	ds_bpermute_b32 v30, v19, v28
	ds_bpermute_b32 v31, v19, v27
	;; [unrolled: 1-line block ×3, first 2 shown]
	s_mov_b32 s17, exec_lo
	s_waitcnt lgkmcnt(2)
	v_cmp_lt_f32_e64 s16, v28, v30
	v_cmpx_nlt_f32_e32 v28, v30
	s_cbranch_execz .LBB182_16
; %bb.15:                               ;   in Loop: Header=BB182_10 Depth=1
	v_cmp_eq_f32_e64 s0, v28, v30
	s_waitcnt lgkmcnt(0)
	v_cmp_lt_i32_e64 s1, v29, v26
	s_delay_alu instid0(VALU_DEP_1) | instskip(SKIP_2) | instid1(SALU_CYCLE_1)
	s_and_b32 s0, s0, s1
	s_and_not1_b32 s1, s16, exec_lo
	s_and_b32 s0, s0, exec_lo
	s_or_b32 s16, s1, s0
.LBB182_16:                             ;   in Loop: Header=BB182_10 Depth=1
	s_or_b32 exec_lo, exec_lo, s17
	s_delay_alu instid0(VALU_DEP_2)
	s_and_saveexec_b32 s0, s16
	s_cbranch_execz .LBB182_18
; %bb.17:                               ;   in Loop: Header=BB182_10 Depth=1
	s_waitcnt lgkmcnt(1)
	v_dual_mov_b32 v27, v31 :: v_dual_mov_b32 v28, v30
	s_waitcnt lgkmcnt(0)
	v_mov_b32_e32 v26, v29
.LBB182_18:                             ;   in Loop: Header=BB182_10 Depth=1
	s_or_b32 exec_lo, exec_lo, s0
	ds_bpermute_b32 v30, v20, v28
	s_waitcnt lgkmcnt(2)
	ds_bpermute_b32 v31, v20, v27
	s_waitcnt lgkmcnt(2)
	ds_bpermute_b32 v29, v20, v26
	s_mov_b32 s17, exec_lo
	s_waitcnt lgkmcnt(2)
	v_cmp_lt_f32_e64 s16, v28, v30
	v_cmpx_nlt_f32_e32 v28, v30
	s_cbranch_execz .LBB182_20
; %bb.19:                               ;   in Loop: Header=BB182_10 Depth=1
	v_cmp_eq_f32_e64 s0, v28, v30
	s_waitcnt lgkmcnt(0)
	v_cmp_lt_i32_e64 s1, v29, v26
	s_delay_alu instid0(VALU_DEP_1) | instskip(SKIP_2) | instid1(SALU_CYCLE_1)
	s_and_b32 s0, s0, s1
	s_and_not1_b32 s1, s16, exec_lo
	s_and_b32 s0, s0, exec_lo
	s_or_b32 s16, s1, s0
.LBB182_20:                             ;   in Loop: Header=BB182_10 Depth=1
	s_or_b32 exec_lo, exec_lo, s17
	s_delay_alu instid0(VALU_DEP_2)
	s_and_saveexec_b32 s0, s16
	s_cbranch_execz .LBB182_22
; %bb.21:                               ;   in Loop: Header=BB182_10 Depth=1
	s_waitcnt lgkmcnt(1)
	v_dual_mov_b32 v27, v31 :: v_dual_mov_b32 v28, v30
	s_waitcnt lgkmcnt(0)
	v_mov_b32_e32 v26, v29
.LBB182_22:                             ;   in Loop: Header=BB182_10 Depth=1
	s_or_b32 exec_lo, exec_lo, s0
	s_waitcnt lgkmcnt(1)
	ds_bpermute_b32 v31, v21, v28
	ds_bpermute_b32 v30, v21, v27
	s_waitcnt lgkmcnt(2)
	ds_bpermute_b32 v29, v21, v26
	s_mov_b32 s17, exec_lo
	s_waitcnt lgkmcnt(2)
	v_cmp_lt_f32_e64 s16, v28, v31
	v_cmpx_nlt_f32_e32 v28, v31
	s_cbranch_execnz .LBB182_26
; %bb.23:                               ;   in Loop: Header=BB182_10 Depth=1
	s_or_b32 exec_lo, exec_lo, s17
	s_delay_alu instid0(VALU_DEP_2)
	s_and_saveexec_b32 s0, s16
	s_cbranch_execnz .LBB182_27
.LBB182_24:                             ;   in Loop: Header=BB182_10 Depth=1
	s_or_b32 exec_lo, exec_lo, s0
	s_and_saveexec_b32 s16, s2
	s_cbranch_execnz .LBB182_28
.LBB182_25:                             ;   in Loop: Header=BB182_10 Depth=1
	s_or_b32 exec_lo, exec_lo, s16
	s_add_i32 s7, s7, 1
	s_delay_alu instid0(SALU_CYCLE_1)
	s_cmp_ge_i32 s7, s4
	s_cbranch_scc1 .LBB182_9
	s_branch .LBB182_29
.LBB182_26:                             ;   in Loop: Header=BB182_10 Depth=1
	v_cmp_eq_f32_e64 s0, v28, v31
	s_waitcnt lgkmcnt(0)
	v_cmp_lt_i32_e64 s1, v29, v26
	s_delay_alu instid0(VALU_DEP_1) | instskip(SKIP_2) | instid1(SALU_CYCLE_1)
	s_and_b32 s0, s0, s1
	s_and_not1_b32 s1, s16, exec_lo
	s_and_b32 s0, s0, exec_lo
	s_or_b32 s16, s1, s0
	s_or_b32 exec_lo, exec_lo, s17
	s_and_saveexec_b32 s0, s16
	s_cbranch_execz .LBB182_24
.LBB182_27:                             ;   in Loop: Header=BB182_10 Depth=1
	s_waitcnt lgkmcnt(0)
	v_dual_mov_b32 v27, v30 :: v_dual_mov_b32 v26, v29
	s_or_b32 exec_lo, exec_lo, s0
	s_and_saveexec_b32 s16, s2
	s_cbranch_execz .LBB182_25
.LBB182_28:                             ;   in Loop: Header=BB182_10 Depth=1
	v_add_nc_u32_e32 v28, s7, v24
	v_subrev_nc_u32_e32 v32, s5, v26
	v_cmp_le_i32_e64 s0, s5, v26
	v_cmp_gt_i32_e64 s1, s6, v26
	v_add_f32_e32 v36, v23, v27
	s_waitcnt lgkmcnt(0)
	v_ashrrev_i32_e32 v29, 31, v28
	v_ashrrev_i32_e32 v33, 31, v32
	s_and_b32 s0, s0, s1
	v_cndmask_b32_e32 v23, v23, v36, vcc_lo
	s_delay_alu instid0(VALU_DEP_3) | instskip(SKIP_2) | instid1(SALU_CYCLE_1)
	v_lshlrev_b64 v[30:31], 2, v[28:29]
	v_lshlrev_b64 v[28:29], 3, v[28:29]
	s_and_b32 s0, s15, s0
	v_cndmask_b32_e64 v33, 0, v33, s0
	v_cndmask_b32_e64 v32, 0x80, v32, s0
	s_delay_alu instid0(VALU_DEP_4) | instskip(NEXT) | instid1(VALU_DEP_1)
	v_add_co_u32 v34, s0, s12, v30
	v_add_co_ci_u32_e64 v35, s0, s13, v31, s0
	v_add_co_u32 v28, s0, s8, v28
	s_delay_alu instid0(VALU_DEP_1) | instskip(SKIP_1) | instid1(VALU_DEP_1)
	v_add_co_ci_u32_e64 v29, s0, s9, v29, s0
	v_add_co_u32 v30, s0, s10, v30
	v_add_co_ci_u32_e64 v31, s0, s11, v31, s0
	global_store_b32 v[34:35], v27, off
	global_store_b64 v[28:29], v[32:33], off
	global_store_b32 v[30:31], v25, off
	s_or_b32 exec_lo, exec_lo, s16
	s_add_i32 s7, s7, 1
	s_delay_alu instid0(SALU_CYCLE_1)
	s_cmp_ge_i32 s7, s4
	s_cbranch_scc1 .LBB182_9
.LBB182_29:                             ;   in Loop: Header=BB182_10 Depth=1
	v_ashrrev_i32_e32 v28, 31, v26
	s_mov_b32 s1, exec_lo
	s_delay_alu instid0(VALU_DEP_1) | instskip(NEXT) | instid1(VALU_DEP_1)
	v_lshrrev_b32_e32 v27, 29, v28
	v_add_nc_u32_e32 v27, v26, v27
	s_delay_alu instid0(VALU_DEP_1) | instskip(SKIP_1) | instid1(VALU_DEP_1)
	v_ashrrev_i32_e32 v27, 3, v27
	s_waitcnt lgkmcnt(0)
	v_lshrrev_b32_e32 v29, 28, v27
	s_delay_alu instid0(VALU_DEP_1) | instskip(NEXT) | instid1(VALU_DEP_1)
	v_add_nc_u32_e32 v29, v27, v29
	v_and_b32_e32 v29, -16, v29
	s_delay_alu instid0(VALU_DEP_1) | instskip(NEXT) | instid1(VALU_DEP_1)
	v_sub_nc_u32_e32 v29, v27, v29
	v_cmpx_eq_u32_e64 v17, v29
	s_cbranch_execz .LBB182_8
; %bb.30:                               ;   in Loop: Header=BB182_10 Depth=1
	v_lshrrev_b32_e32 v28, 25, v28
	v_lshlrev_b32_e32 v27, 3, v27
	s_delay_alu instid0(VALU_DEP_2) | instskip(NEXT) | instid1(VALU_DEP_2)
	v_add_nc_u32_e32 v28, v26, v28
	v_sub_nc_u32_e32 v26, v26, v27
	s_delay_alu instid0(VALU_DEP_2) | instskip(NEXT) | instid1(VALU_DEP_1)
	v_ashrrev_i32_e32 v27, 7, v28
	v_lshl_add_u32 v26, v27, 3, v26
	s_delay_alu instid0(VALU_DEP_1) | instskip(NEXT) | instid1(VALU_DEP_1)
	v_cmp_ne_u32_e64 s0, 7, v26
	v_cndmask_b32_e64 v15, 0xc61c4000, v15, s0
	v_cmp_ne_u32_e64 s0, 6, v26
	s_delay_alu instid0(VALU_DEP_1) | instskip(SKIP_1) | instid1(VALU_DEP_1)
	v_cndmask_b32_e64 v14, 0xc61c4000, v14, s0
	v_cmp_ne_u32_e64 s0, 5, v26
	v_cndmask_b32_e64 v13, 0xc61c4000, v13, s0
	v_cmp_ne_u32_e64 s0, 4, v26
	s_delay_alu instid0(VALU_DEP_1) | instskip(SKIP_1) | instid1(VALU_DEP_1)
	v_cndmask_b32_e64 v12, 0xc61c4000, v12, s0
	;; [unrolled: 5-line block ×3, first 2 shown]
	v_cmp_ne_u32_e64 s0, 1, v26
	v_cndmask_b32_e64 v9, 0xc61c4000, v9, s0
	v_cmp_ne_u32_e64 s0, 0, v26
	s_delay_alu instid0(VALU_DEP_1)
	v_cndmask_b32_e64 v8, 0xc61c4000, v8, s0
	s_branch .LBB182_8
.LBB182_31:
                                        ; implicit-def: $vgpr8_vgpr9_vgpr10_vgpr11_vgpr12_vgpr13_vgpr14_vgpr15
	s_and_not1_b32 vcc_lo, exec_lo, s8
	s_cbranch_vccz .LBB182_5
	s_branch .LBB182_6
.LBB182_32:
	v_mov_b32_e32 v23, 0
.LBB182_33:
	v_cmp_eq_u32_e64 s0, 0, v17
	s_delay_alu instid0(VALU_DEP_1) | instskip(NEXT) | instid1(SALU_CYCLE_1)
	s_and_b32 s0, s0, vcc_lo
	s_and_b32 exec_lo, exec_lo, s0
	s_cbranch_execz .LBB182_37
; %bb.34:
	s_and_not1_b32 vcc_lo, exec_lo, s3
	s_cbranch_vccnz .LBB182_37
; %bb.35:
	v_mul_lo_u32 v0, v16, s4
	v_cmp_lt_f32_e32 vcc_lo, 0, v23
	v_cndmask_b32_e32 v2, 1.0, v23, vcc_lo
	s_delay_alu instid0(VALU_DEP_3) | instskip(NEXT) | instid1(VALU_DEP_1)
	v_ashrrev_i32_e32 v1, 31, v0
	v_lshlrev_b64 v[0:1], 2, v[0:1]
	s_delay_alu instid0(VALU_DEP_1) | instskip(NEXT) | instid1(VALU_DEP_2)
	v_add_co_u32 v0, vcc_lo, s12, v0
	v_add_co_ci_u32_e32 v1, vcc_lo, s13, v1, vcc_lo
	.p2align	6
.LBB182_36:                             ; =>This Inner Loop Header: Depth=1
	global_load_b32 v3, v[0:1], off
	s_add_i32 s4, s4, -1
	s_delay_alu instid0(SALU_CYCLE_1) | instskip(SKIP_3) | instid1(VALU_DEP_2)
	s_cmp_lg_u32 s4, 0
	s_waitcnt vmcnt(0)
	v_div_scale_f32 v4, null, v2, v2, v3
	v_div_scale_f32 v7, vcc_lo, v3, v2, v3
	v_rcp_f32_e32 v5, v4
	s_waitcnt_depctr 0xfff
	v_fma_f32 v6, -v4, v5, 1.0
	s_delay_alu instid0(VALU_DEP_1) | instskip(NEXT) | instid1(VALU_DEP_1)
	v_fmac_f32_e32 v5, v6, v5
	v_mul_f32_e32 v6, v7, v5
	s_delay_alu instid0(VALU_DEP_1) | instskip(NEXT) | instid1(VALU_DEP_1)
	v_fma_f32 v8, -v4, v6, v7
	v_fmac_f32_e32 v6, v8, v5
	s_delay_alu instid0(VALU_DEP_1) | instskip(NEXT) | instid1(VALU_DEP_1)
	v_fma_f32 v4, -v4, v6, v7
	v_div_fmas_f32 v4, v4, v5, v6
	s_delay_alu instid0(VALU_DEP_1)
	v_div_fixup_f32 v3, v4, v2, v3
	global_store_b32 v[0:1], v3, off
	v_add_co_u32 v0, vcc_lo, v0, 4
	v_add_co_ci_u32_e32 v1, vcc_lo, 0, v1, vcc_lo
	s_cbranch_scc1 .LBB182_36
.LBB182_37:
	s_nop 0
	s_sendmsg sendmsg(MSG_DEALLOC_VGPRS)
	s_endpgm
	.section	.rodata,"a",@progbits
	.p2align	6, 0x0
	.amdhsa_kernel _ZN4vllm3moe10topkGatingILi8ELi128ELi4ELi16ELi64El14__hip_bfloat16LNS0_11ScoringFuncE0EEEvPKT5_PKbPfiPT4_PiiiibPKf
		.amdhsa_group_segment_fixed_size 0
		.amdhsa_private_segment_fixed_size 0
		.amdhsa_kernarg_size 72
		.amdhsa_user_sgpr_count 15
		.amdhsa_user_sgpr_dispatch_ptr 0
		.amdhsa_user_sgpr_queue_ptr 0
		.amdhsa_user_sgpr_kernarg_segment_ptr 1
		.amdhsa_user_sgpr_dispatch_id 0
		.amdhsa_user_sgpr_private_segment_size 0
		.amdhsa_wavefront_size32 1
		.amdhsa_uses_dynamic_stack 0
		.amdhsa_enable_private_segment 0
		.amdhsa_system_sgpr_workgroup_id_x 1
		.amdhsa_system_sgpr_workgroup_id_y 0
		.amdhsa_system_sgpr_workgroup_id_z 0
		.amdhsa_system_sgpr_workgroup_info 0
		.amdhsa_system_vgpr_workitem_id 1
		.amdhsa_next_free_vgpr 38
		.amdhsa_next_free_sgpr 18
		.amdhsa_reserve_vcc 1
		.amdhsa_float_round_mode_32 0
		.amdhsa_float_round_mode_16_64 0
		.amdhsa_float_denorm_mode_32 3
		.amdhsa_float_denorm_mode_16_64 3
		.amdhsa_dx10_clamp 1
		.amdhsa_ieee_mode 1
		.amdhsa_fp16_overflow 0
		.amdhsa_workgroup_processor_mode 1
		.amdhsa_memory_ordered 1
		.amdhsa_forward_progress 0
		.amdhsa_shared_vgpr_count 0
		.amdhsa_exception_fp_ieee_invalid_op 0
		.amdhsa_exception_fp_denorm_src 0
		.amdhsa_exception_fp_ieee_div_zero 0
		.amdhsa_exception_fp_ieee_overflow 0
		.amdhsa_exception_fp_ieee_underflow 0
		.amdhsa_exception_fp_ieee_inexact 0
		.amdhsa_exception_int_div_zero 0
	.end_amdhsa_kernel
	.section	.text._ZN4vllm3moe10topkGatingILi8ELi128ELi4ELi16ELi64El14__hip_bfloat16LNS0_11ScoringFuncE0EEEvPKT5_PKbPfiPT4_PiiiibPKf,"axG",@progbits,_ZN4vllm3moe10topkGatingILi8ELi128ELi4ELi16ELi64El14__hip_bfloat16LNS0_11ScoringFuncE0EEEvPKT5_PKbPfiPT4_PiiiibPKf,comdat
.Lfunc_end182:
	.size	_ZN4vllm3moe10topkGatingILi8ELi128ELi4ELi16ELi64El14__hip_bfloat16LNS0_11ScoringFuncE0EEEvPKT5_PKbPfiPT4_PiiiibPKf, .Lfunc_end182-_ZN4vllm3moe10topkGatingILi8ELi128ELi4ELi16ELi64El14__hip_bfloat16LNS0_11ScoringFuncE0EEEvPKT5_PKbPfiPT4_PiiiibPKf
                                        ; -- End function
	.section	.AMDGPU.csdata,"",@progbits
; Kernel info:
; codeLenInByte = 3416
; NumSgprs: 20
; NumVgprs: 38
; ScratchSize: 0
; MemoryBound: 0
; FloatMode: 240
; IeeeMode: 1
; LDSByteSize: 0 bytes/workgroup (compile time only)
; SGPRBlocks: 2
; VGPRBlocks: 4
; NumSGPRsForWavesPerEU: 20
; NumVGPRsForWavesPerEU: 38
; Occupancy: 16
; WaveLimiterHint : 0
; COMPUTE_PGM_RSRC2:SCRATCH_EN: 0
; COMPUTE_PGM_RSRC2:USER_SGPR: 15
; COMPUTE_PGM_RSRC2:TRAP_HANDLER: 0
; COMPUTE_PGM_RSRC2:TGID_X_EN: 1
; COMPUTE_PGM_RSRC2:TGID_Y_EN: 0
; COMPUTE_PGM_RSRC2:TGID_Z_EN: 0
; COMPUTE_PGM_RSRC2:TIDIG_COMP_CNT: 1
	.section	.text._ZN4vllm3moe10topkGatingILi8ELi128ELi4ELi16ELi32El14__hip_bfloat16LNS0_11ScoringFuncE0EEEvPKT5_PKbPfiPT4_PiiiibPKf,"axG",@progbits,_ZN4vllm3moe10topkGatingILi8ELi128ELi4ELi16ELi32El14__hip_bfloat16LNS0_11ScoringFuncE0EEEvPKT5_PKbPfiPT4_PiiiibPKf,comdat
	.protected	_ZN4vllm3moe10topkGatingILi8ELi128ELi4ELi16ELi32El14__hip_bfloat16LNS0_11ScoringFuncE0EEEvPKT5_PKbPfiPT4_PiiiibPKf ; -- Begin function _ZN4vllm3moe10topkGatingILi8ELi128ELi4ELi16ELi32El14__hip_bfloat16LNS0_11ScoringFuncE0EEEvPKT5_PKbPfiPT4_PiiiibPKf
	.globl	_ZN4vllm3moe10topkGatingILi8ELi128ELi4ELi16ELi32El14__hip_bfloat16LNS0_11ScoringFuncE0EEEvPKT5_PKbPfiPT4_PiiiibPKf
	.p2align	8
	.type	_ZN4vllm3moe10topkGatingILi8ELi128ELi4ELi16ELi32El14__hip_bfloat16LNS0_11ScoringFuncE0EEEvPKT5_PKbPfiPT4_PiiiibPKf,@function
_ZN4vllm3moe10topkGatingILi8ELi128ELi4ELi16ELi32El14__hip_bfloat16LNS0_11ScoringFuncE0EEEvPKT5_PKbPfiPT4_PiiiibPKf: ; @_ZN4vllm3moe10topkGatingILi8ELi128ELi4ELi16ELi32El14__hip_bfloat16LNS0_11ScoringFuncE0EEEvPKT5_PKbPfiPT4_PiiiibPKf
; %bb.0:
	s_load_b32 s14, s[0:1], 0x18
	v_bfe_u32 v1, v0, 10, 10
	v_and_b32_e32 v0, 0x3ff, v0
	s_lshl_b32 s2, s15, 3
	s_delay_alu instid0(VALU_DEP_2) | instskip(NEXT) | instid1(VALU_DEP_2)
	v_lshlrev_b32_e32 v1, 1, v1
	v_lshrrev_b32_e32 v2, 4, v0
	s_delay_alu instid0(VALU_DEP_1) | instskip(SKIP_2) | instid1(VALU_DEP_1)
	v_add3_u32 v16, s2, v1, v2
	s_mov_b32 s2, exec_lo
	s_waitcnt lgkmcnt(0)
	v_cmpx_gt_i32_e64 s14, v16
	s_cbranch_execz .LBB183_37
; %bb.1:
	s_clause 0x1
	s_load_b128 s[4:7], s[0:1], 0x0
	s_load_b64 s[12:13], s[0:1], 0x10
	s_mov_b32 s8, -1
	s_mov_b32 s15, -1
	s_waitcnt lgkmcnt(0)
	s_cmp_eq_u64 s[6:7], 0
	s_cbranch_scc1 .LBB183_3
; %bb.2:
	v_ashrrev_i32_e32 v2, 31, v16
	v_add_co_u32 v1, vcc_lo, s6, v16
	s_delay_alu instid0(VALU_DEP_2) | instskip(SKIP_3) | instid1(VALU_DEP_1)
	v_add_co_ci_u32_e32 v2, vcc_lo, s7, v2, vcc_lo
	global_load_u8 v1, v[1:2], off
	s_waitcnt vmcnt(0)
	v_and_b32_e32 v1, 1, v1
	v_cmp_eq_u32_e32 vcc_lo, 1, v1
	s_xor_b32 s2, vcc_lo, -1
	s_delay_alu instid0(SALU_CYCLE_1)
	s_or_not1_b32 s15, s2, exec_lo
.LBB183_3:
	v_lshlrev_b32_e32 v1, 7, v16
	v_and_b32_e32 v17, 15, v0
	v_mbcnt_lo_u32_b32 v5, -1, 0
	s_load_b64 s[2:3], s[0:1], 0x40
	s_delay_alu instid0(VALU_DEP_3) | instskip(NEXT) | instid1(VALU_DEP_2)
	v_ashrrev_i32_e32 v2, 31, v1
	v_xor_b32_e32 v9, 8, v5
	v_and_b32_e32 v8, 16, v5
	v_xor_b32_e32 v12, 4, v5
	s_delay_alu instid0(VALU_DEP_4) | instskip(SKIP_1) | instid1(VALU_DEP_2)
	v_lshlrev_b64 v[0:1], 1, v[1:2]
	v_lshlrev_b32_e32 v2, 4, v17
	v_add_co_u32 v0, vcc_lo, s4, v0
	s_delay_alu instid0(VALU_DEP_3) | instskip(NEXT) | instid1(VALU_DEP_2)
	v_add_co_ci_u32_e32 v1, vcc_lo, s5, v1, vcc_lo
	v_add_co_u32 v0, vcc_lo, v0, v2
	s_delay_alu instid0(VALU_DEP_2)
	v_add_co_ci_u32_e32 v1, vcc_lo, 0, v1, vcc_lo
	s_waitcnt lgkmcnt(0)
	s_cmp_eq_u64 s[2:3], 0
	global_load_b128 v[0:3], v[0:1], off
	s_waitcnt vmcnt(0)
	v_and_b32_e32 v4, 0xffff0000, v0
	v_lshlrev_b32_e32 v0, 16, v0
	v_lshlrev_b32_e32 v10, 16, v1
	s_delay_alu instid0(VALU_DEP_3) | instskip(NEXT) | instid1(VALU_DEP_3)
	v_dual_max_f32 v6, v4, v4 :: v_dual_and_b32 v1, 0xffff0000, v1
	v_max_f32_e32 v7, v0, v0
	s_delay_alu instid0(VALU_DEP_1) | instskip(SKIP_2) | instid1(VALU_DEP_3)
	v_dual_max_f32 v6, v7, v6 :: v_dual_add_nc_u32 v7, 16, v8
	v_lshlrev_b32_e32 v8, 16, v2
	v_and_b32_e32 v2, 0xffff0000, v2
	v_max3_f32 v6, v6, v10, v1
	s_delay_alu instid0(VALU_DEP_4) | instskip(NEXT) | instid1(VALU_DEP_2)
	v_cmp_lt_i32_e32 vcc_lo, v9, v7
	v_max3_f32 v6, v6, v8, v2
	v_cndmask_b32_e32 v9, v5, v9, vcc_lo
	v_cmp_lt_i32_e32 vcc_lo, v12, v7
	v_lshlrev_b32_e32 v11, 16, v3
	s_delay_alu instid0(VALU_DEP_3) | instskip(SKIP_1) | instid1(VALU_DEP_1)
	v_lshlrev_b32_e32 v18, 2, v9
	v_cndmask_b32_e32 v12, v5, v12, vcc_lo
	v_lshlrev_b32_e32 v19, 2, v12
	v_xor_b32_e32 v12, 2, v5
	v_and_b32_e32 v3, 0xffff0000, v3
	s_delay_alu instid0(VALU_DEP_1) | instskip(SKIP_3) | instid1(VALU_DEP_1)
	v_max3_f32 v6, v6, v11, v3
	ds_bpermute_b32 v9, v18, v6
	s_waitcnt lgkmcnt(0)
	v_max_f32_e32 v9, v9, v9
	v_max_f32_e32 v6, v6, v9
	ds_bpermute_b32 v9, v19, v6
	s_waitcnt lgkmcnt(0)
	v_max_f32_e32 v9, v9, v9
	s_delay_alu instid0(VALU_DEP_1) | instskip(SKIP_2) | instid1(VALU_DEP_1)
	v_max_f32_e32 v6, v6, v9
	v_cmp_lt_i32_e32 vcc_lo, v12, v7
	v_cndmask_b32_e32 v12, v5, v12, vcc_lo
	v_lshlrev_b32_e32 v20, 2, v12
	v_xor_b32_e32 v12, 1, v5
	ds_bpermute_b32 v9, v20, v6
	v_cmp_lt_i32_e32 vcc_lo, v12, v7
	v_cndmask_b32_e32 v5, v5, v12, vcc_lo
	s_delay_alu instid0(VALU_DEP_1) | instskip(SKIP_2) | instid1(VALU_DEP_1)
	v_lshlrev_b32_e32 v21, 2, v5
	s_waitcnt lgkmcnt(0)
	v_max_f32_e32 v7, v9, v9
	v_max_f32_e32 v5, v6, v7
	ds_bpermute_b32 v6, v21, v5
	s_waitcnt lgkmcnt(0)
	v_max_f32_e32 v6, v6, v6
	s_delay_alu instid0(VALU_DEP_1) | instskip(NEXT) | instid1(VALU_DEP_1)
	v_max_f32_e32 v5, v5, v6
	v_sub_f32_e32 v7, v8, v5
	v_sub_f32_e32 v3, v3, v5
	;; [unrolled: 1-line block ×6, first 2 shown]
	v_dual_mul_f32 v15, 0x3fb8aa3b, v3 :: v_dual_sub_f32 v6, v10, v5
	v_dual_sub_f32 v8, v11, v5 :: v_dual_mul_f32 v9, 0x3fb8aa3b, v4
	v_mul_f32_e32 v5, 0x3fb8aa3b, v0
	v_mul_f32_e32 v13, 0x3fb8aa3b, v2
	s_delay_alu instid0(VALU_DEP_4)
	v_mul_f32_e32 v10, 0x3fb8aa3b, v6
	v_cmp_ngt_f32_e32 vcc_lo, 0xc2ce8ed0, v0
	v_fma_f32 v24, 0x3fb8aa3b, v4, -v9
	v_fma_f32 v22, 0x3fb8aa3b, v0, -v5
	v_rndne_f32_e32 v23, v5
	v_rndne_f32_e32 v27, v10
	v_mul_f32_e32 v11, 0x3fb8aa3b, v1
	v_rndne_f32_e32 v25, v9
	v_fma_f32 v26, 0x3fb8aa3b, v6, -v10
	v_dual_fmac_f32 v22, 0x32a5705f, v0 :: v_dual_sub_f32 v5, v5, v23
	s_delay_alu instid0(VALU_DEP_3)
	v_dual_mul_f32 v14, 0x3fb8aa3b, v8 :: v_dual_sub_f32 v9, v9, v25
	v_mul_f32_e32 v12, 0x3fb8aa3b, v7
	v_sub_f32_e32 v10, v10, v27
	v_fma_f32 v28, 0x3fb8aa3b, v1, -v11
	v_rndne_f32_e32 v29, v11
	v_fmac_f32_e32 v24, 0x32a5705f, v4
	v_rndne_f32_e32 v31, v12
	s_delay_alu instid0(VALU_DEP_4) | instskip(SKIP_1) | instid1(VALU_DEP_3)
	v_dual_add_f32 v5, v5, v22 :: v_dual_fmac_f32 v28, 0x32a5705f, v1
	v_fma_f32 v30, 0x3fb8aa3b, v7, -v12
	v_dual_sub_f32 v11, v11, v29 :: v_dual_sub_f32 v12, v12, v31
	v_add_f32_e32 v9, v9, v24
	s_delay_alu instid0(VALU_DEP_4)
	v_exp_f32_e32 v5, v5
	v_cvt_i32_f32_e32 v23, v23
	v_fma_f32 v34, 0x3fb8aa3b, v8, -v14
	v_cvt_i32_f32_e32 v25, v25
	v_exp_f32_e32 v9, v9
	v_fma_f32 v32, 0x3fb8aa3b, v2, -v13
	v_rndne_f32_e32 v33, v13
	v_fma_f32 v36, 0x3fb8aa3b, v3, -v15
	v_rndne_f32_e32 v37, v15
	v_fmac_f32_e32 v26, 0x32a5705f, v6
	v_ldexp_f32 v5, v5, v23
	v_dual_sub_f32 v13, v13, v33 :: v_dual_fmac_f32 v34, 0x32a5705f, v8
	v_rndne_f32_e32 v35, v14
	s_delay_alu instid0(TRANS32_DEP_1) | instskip(NEXT) | instid1(VALU_DEP_4)
	v_ldexp_f32 v9, v9, v25
	v_cndmask_b32_e32 v5, 0, v5, vcc_lo
	v_cmp_ngt_f32_e32 vcc_lo, 0xc2ce8ed0, v4
	v_dual_fmac_f32 v30, 0x32a5705f, v7 :: v_dual_sub_f32 v15, v15, v37
	v_dual_fmac_f32 v32, 0x32a5705f, v2 :: v_dual_add_f32 v11, v11, v28
	v_dual_fmac_f32 v36, 0x32a5705f, v3 :: v_dual_cndmask_b32 v9, 0, v9
	v_add_f32_e32 v10, v10, v26
	s_delay_alu instid0(VALU_DEP_3) | instskip(NEXT) | instid1(VALU_DEP_3)
	v_dual_sub_f32 v14, v14, v35 :: v_dual_add_f32 v13, v13, v32
	v_add_f32_e32 v15, v15, v36
	v_cvt_i32_f32_e32 v27, v27
	s_delay_alu instid0(VALU_DEP_4)
	v_exp_f32_e32 v10, v10
	v_cvt_i32_f32_e32 v33, v33
	v_exp_f32_e32 v13, v13
	v_cmp_ngt_f32_e32 vcc_lo, 0xc2ce8ed0, v6
	v_exp_f32_e32 v11, v11
	v_cvt_i32_f32_e32 v29, v29
	v_cvt_i32_f32_e32 v31, v31
	v_exp_f32_e32 v15, v15
	v_cvt_i32_f32_e32 v24, v37
	v_cvt_i32_f32_e32 v22, v35
	v_ldexp_f32 v10, v10, v27
	s_delay_alu instid0(TRANS32_DEP_3) | instskip(NEXT) | instid1(TRANS32_DEP_2)
	v_ldexp_f32 v13, v13, v33
	v_ldexp_f32 v11, v11, v29
	s_delay_alu instid0(VALU_DEP_3) | instskip(SKIP_1) | instid1(TRANS32_DEP_1)
	v_cndmask_b32_e32 v10, 0, v10, vcc_lo
	v_cmp_nlt_f32_e32 vcc_lo, 0x42b17218, v0
	v_ldexp_f32 v15, v15, v24
	v_cndmask_b32_e32 v0, 0x7f800000, v5, vcc_lo
	v_cmp_nlt_f32_e32 vcc_lo, 0x42b17218, v4
	v_cndmask_b32_e32 v4, 0x7f800000, v9, vcc_lo
	v_cmp_ngt_f32_e32 vcc_lo, 0xc2ce8ed0, v1
	v_add_f32_e32 v12, v12, v30
	s_delay_alu instid0(VALU_DEP_3) | instskip(SKIP_1) | instid1(VALU_DEP_3)
	v_dual_add_f32 v14, v14, v34 :: v_dual_add_f32 v9, v0, v4
	v_cndmask_b32_e32 v5, 0, v11, vcc_lo
	v_exp_f32_e32 v12, v12
	v_cmp_nlt_f32_e32 vcc_lo, 0x42b17218, v6
	s_delay_alu instid0(VALU_DEP_3)
	v_exp_f32_e32 v14, v14
	v_cndmask_b32_e32 v6, 0x7f800000, v10, vcc_lo
	v_cmp_ngt_f32_e32 vcc_lo, 0xc2ce8ed0, v7
	s_waitcnt_depctr 0xfff
	v_ldexp_f32 v12, v12, v31
	v_ldexp_f32 v14, v14, v22
	v_lshlrev_b32_e32 v22, 3, v17
	s_delay_alu instid0(VALU_DEP_3)
	v_cndmask_b32_e32 v10, 0, v12, vcc_lo
	v_cmp_nlt_f32_e32 vcc_lo, 0x42b17218, v1
	v_cndmask_b32_e32 v1, 0x7f800000, v5, vcc_lo
	v_cmp_ngt_f32_e32 vcc_lo, 0xc2ce8ed0, v2
	v_add_f32_e32 v5, v9, v6
	v_cndmask_b32_e32 v9, 0, v13, vcc_lo
	v_cmp_nlt_f32_e32 vcc_lo, 0x42b17218, v7
	s_delay_alu instid0(VALU_DEP_3) | instskip(SKIP_2) | instid1(VALU_DEP_2)
	v_add_f32_e32 v5, v5, v1
	v_cndmask_b32_e32 v7, 0x7f800000, v10, vcc_lo
	v_cmp_ngt_f32_e32 vcc_lo, 0xc2ce8ed0, v8
	v_dual_add_f32 v5, v5, v7 :: v_dual_cndmask_b32 v10, 0, v14
	v_cmp_nlt_f32_e32 vcc_lo, 0x42b17218, v2
	v_cndmask_b32_e32 v2, 0x7f800000, v9, vcc_lo
	v_cmp_ngt_f32_e32 vcc_lo, 0xc2ce8ed0, v3
	s_delay_alu instid0(VALU_DEP_2) | instskip(SKIP_4) | instid1(VALU_DEP_2)
	v_add_f32_e32 v5, v5, v2
	v_cndmask_b32_e32 v9, 0, v15, vcc_lo
	v_cmp_nlt_f32_e32 vcc_lo, 0x42b17218, v8
	v_cndmask_b32_e32 v8, 0x7f800000, v10, vcc_lo
	v_cmp_nlt_f32_e32 vcc_lo, 0x42b17218, v3
	v_add_f32_e32 v5, v5, v8
	v_cndmask_b32_e32 v3, 0x7f800000, v9, vcc_lo
	s_delay_alu instid0(VALU_DEP_1)
	v_add_f32_e32 v5, v5, v3
	ds_bpermute_b32 v9, v18, v5
	s_waitcnt lgkmcnt(0)
	v_add_f32_e32 v5, v5, v9
	ds_bpermute_b32 v9, v19, v5
	s_waitcnt lgkmcnt(0)
	;; [unrolled: 3-line block ×4, first 2 shown]
	v_add_f32_e32 v5, v5, v9
	s_delay_alu instid0(VALU_DEP_1) | instskip(SKIP_1) | instid1(VALU_DEP_2)
	v_div_scale_f32 v9, null, v5, v5, 1.0
	v_div_scale_f32 v12, vcc_lo, 1.0, v5, 1.0
	v_rcp_f32_e32 v10, v9
	s_waitcnt_depctr 0xfff
	v_fma_f32 v11, -v9, v10, 1.0
	s_delay_alu instid0(VALU_DEP_1) | instskip(NEXT) | instid1(VALU_DEP_1)
	v_fmac_f32_e32 v10, v11, v10
	v_mul_f32_e32 v11, v12, v10
	s_delay_alu instid0(VALU_DEP_1) | instskip(NEXT) | instid1(VALU_DEP_1)
	v_fma_f32 v13, -v9, v11, v12
	v_fmac_f32_e32 v11, v13, v10
	s_delay_alu instid0(VALU_DEP_1) | instskip(NEXT) | instid1(VALU_DEP_1)
	v_fma_f32 v9, -v9, v11, v12
	v_div_fmas_f32 v9, v9, v10, v11
	s_delay_alu instid0(VALU_DEP_1) | instskip(NEXT) | instid1(VALU_DEP_1)
	v_div_fixup_f32 v5, v9, v5, 1.0
	v_mul_f32_e32 v4, v5, v4
	v_mul_f32_e32 v0, v5, v0
	;; [unrolled: 1-line block ×6, first 2 shown]
	v_cmp_class_f32_e64 vcc_lo, v0, 0x1f8
	v_cndmask_b32_e32 v0, 0, v0, vcc_lo
	v_cmp_class_f32_e64 vcc_lo, v4, 0x1f8
	v_dual_mul_f32 v6, v5, v6 :: v_dual_cndmask_b32 v1, 0, v4
	s_delay_alu instid0(VALU_DEP_1)
	v_cmp_class_f32_e64 vcc_lo, v6, 0x1f8
	v_cndmask_b32_e32 v2, 0, v6, vcc_lo
	v_cmp_class_f32_e64 vcc_lo, v9, 0x1f8
	v_cndmask_b32_e32 v3, 0, v9, vcc_lo
	;; [unrolled: 2-line block ×3, first 2 shown]
	v_cmp_class_f32_e64 vcc_lo, v10, 0x1f8
	v_dual_mul_f32 v8, v5, v8 :: v_dual_cndmask_b32 v5, 0, v10
	s_delay_alu instid0(VALU_DEP_1)
	v_cmp_class_f32_e64 vcc_lo, v8, 0x1f8
	v_cndmask_b32_e32 v6, 0, v8, vcc_lo
	v_cmp_class_f32_e64 vcc_lo, v11, 0x1f8
	v_cndmask_b32_e32 v7, 0, v11, vcc_lo
	s_cbranch_scc1 .LBB183_31
; %bb.4:
	v_lshlrev_b32_e32 v12, 2, v22
	s_clause 0x1
	global_load_b128 v[8:11], v12, s[2:3]
	global_load_b128 v[12:15], v12, s[2:3] offset:16
	s_waitcnt vmcnt(1)
	v_dual_add_f32 v9, v9, v1 :: v_dual_add_f32 v8, v8, v0
	v_dual_add_f32 v11, v11, v3 :: v_dual_add_f32 v10, v10, v2
	s_waitcnt vmcnt(0)
	v_dual_add_f32 v13, v13, v5 :: v_dual_add_f32 v12, v12, v4
	v_dual_add_f32 v15, v15, v7 :: v_dual_add_f32 v14, v14, v6
	s_cbranch_execnz .LBB183_6
.LBB183_5:
	v_dual_mov_b32 v15, v7 :: v_dual_mov_b32 v14, v6
	v_dual_mov_b32 v13, v5 :: v_dual_mov_b32 v12, v4
	;; [unrolled: 1-line block ×4, first 2 shown]
.LBB183_6:
	s_load_b128 s[4:7], s[0:1], 0x30
	v_cmp_eq_u32_e64 s2, 0, v17
	s_waitcnt lgkmcnt(0)
	s_bitcmp1_b32 s7, 0
	s_mov_b32 s7, 0
	s_cselect_b32 vcc_lo, -1, 0
	s_cmp_gt_i32 s4, 0
	s_cselect_b32 s3, -1, 0
	s_cmp_lt_i32 s4, 1
	s_cbranch_scc1 .LBB183_32
; %bb.7:
	s_load_b128 s[8:11], s[0:1], 0x20
	v_mul_lo_u32 v24, v16, s4
	v_mov_b32_e32 v23, 0
	v_mov_b32_e32 v25, v16
	s_branch .LBB183_10
.LBB183_8:                              ;   in Loop: Header=BB183_10 Depth=1
	s_or_b32 exec_lo, exec_lo, s1
.LBB183_9:                              ;   in Loop: Header=BB183_10 Depth=1
	v_add_nc_u32_e32 v25, s14, v25
	s_cmp_eq_u32 s4, s7
	s_cbranch_scc1 .LBB183_33
.LBB183_10:                             ; =>This Inner Loop Header: Depth=1
	v_cmp_gt_f32_e64 s0, v9, v8
	s_mov_b32 s17, exec_lo
	s_delay_alu instid0(VALU_DEP_1) | instskip(SKIP_2) | instid1(VALU_DEP_3)
	v_cndmask_b32_e64 v26, v8, v9, s0
	v_cndmask_b32_e64 v27, 0, 1, s0
	;; [unrolled: 1-line block ×3, first 2 shown]
	v_cmp_gt_f32_e64 s1, v10, v26
	s_delay_alu instid0(VALU_DEP_1) | instskip(NEXT) | instid1(VALU_DEP_4)
	v_cndmask_b32_e64 v26, v26, v10, s1
	v_cndmask_b32_e64 v27, v27, 2, s1
	s_delay_alu instid0(VALU_DEP_4) | instskip(NEXT) | instid1(VALU_DEP_3)
	v_cndmask_b32_e64 v28, v28, v2, s1
	v_cmp_gt_f32_e64 s0, v11, v26
	s_delay_alu instid0(VALU_DEP_1) | instskip(NEXT) | instid1(VALU_DEP_4)
	v_cndmask_b32_e64 v26, v26, v11, s0
	v_cndmask_b32_e64 v27, v27, 3, s0
	s_delay_alu instid0(VALU_DEP_4) | instskip(NEXT) | instid1(VALU_DEP_3)
	v_cndmask_b32_e64 v28, v28, v3, s0
	v_cmp_gt_f32_e64 s1, v12, v26
	s_delay_alu instid0(VALU_DEP_1) | instskip(NEXT) | instid1(VALU_DEP_4)
	v_cndmask_b32_e64 v26, v26, v12, s1
	v_cndmask_b32_e64 v27, v27, 4, s1
	s_delay_alu instid0(VALU_DEP_4) | instskip(NEXT) | instid1(VALU_DEP_3)
	v_cndmask_b32_e64 v28, v28, v4, s1
	v_cmp_gt_f32_e64 s0, v13, v26
	s_delay_alu instid0(VALU_DEP_1) | instskip(NEXT) | instid1(VALU_DEP_4)
	v_cndmask_b32_e64 v26, v26, v13, s0
	v_cndmask_b32_e64 v27, v27, 5, s0
	s_delay_alu instid0(VALU_DEP_4) | instskip(NEXT) | instid1(VALU_DEP_3)
	v_cndmask_b32_e64 v28, v28, v5, s0
	v_cmp_gt_f32_e64 s1, v14, v26
	s_delay_alu instid0(VALU_DEP_1) | instskip(NEXT) | instid1(VALU_DEP_4)
	v_cndmask_b32_e64 v26, v26, v14, s1
	v_cndmask_b32_e64 v27, v27, 6, s1
	s_waitcnt lgkmcnt(0)
	v_cndmask_b32_e64 v29, v28, v6, s1
	s_delay_alu instid0(VALU_DEP_3) | instskip(NEXT) | instid1(VALU_DEP_1)
	v_cmp_gt_f32_e64 s0, v15, v26
	v_cndmask_b32_e64 v28, v26, v15, s0
	v_cndmask_b32_e64 v26, v27, 7, s0
	s_delay_alu instid0(VALU_DEP_4)
	v_cndmask_b32_e64 v27, v29, v7, s0
	ds_bpermute_b32 v29, v18, v28
	v_or_b32_e32 v26, v22, v26
	ds_bpermute_b32 v31, v18, v27
	ds_bpermute_b32 v30, v18, v26
	s_waitcnt lgkmcnt(0)
	v_cmp_lt_f32_e64 s16, v28, v29
	v_cmpx_nlt_f32_e32 v28, v29
; %bb.11:                               ;   in Loop: Header=BB183_10 Depth=1
	v_cmp_eq_f32_e64 s0, v28, v29
	v_cmp_lt_i32_e64 s1, v30, v26
	s_delay_alu instid0(VALU_DEP_1) | instskip(SKIP_2) | instid1(SALU_CYCLE_1)
	s_and_b32 s0, s0, s1
	s_and_not1_b32 s1, s16, exec_lo
	s_and_b32 s0, s0, exec_lo
	s_or_b32 s16, s1, s0
; %bb.12:                               ;   in Loop: Header=BB183_10 Depth=1
	s_or_b32 exec_lo, exec_lo, s17
	s_and_saveexec_b32 s0, s16
; %bb.13:                               ;   in Loop: Header=BB183_10 Depth=1
	v_dual_mov_b32 v27, v31 :: v_dual_mov_b32 v28, v29
	v_mov_b32_e32 v26, v30
; %bb.14:                               ;   in Loop: Header=BB183_10 Depth=1
	s_or_b32 exec_lo, exec_lo, s0
	ds_bpermute_b32 v30, v19, v28
	ds_bpermute_b32 v31, v19, v27
	;; [unrolled: 1-line block ×3, first 2 shown]
	s_mov_b32 s17, exec_lo
	s_waitcnt lgkmcnt(2)
	v_cmp_lt_f32_e64 s16, v28, v30
	v_cmpx_nlt_f32_e32 v28, v30
	s_cbranch_execz .LBB183_16
; %bb.15:                               ;   in Loop: Header=BB183_10 Depth=1
	v_cmp_eq_f32_e64 s0, v28, v30
	s_waitcnt lgkmcnt(0)
	v_cmp_lt_i32_e64 s1, v29, v26
	s_delay_alu instid0(VALU_DEP_1) | instskip(SKIP_2) | instid1(SALU_CYCLE_1)
	s_and_b32 s0, s0, s1
	s_and_not1_b32 s1, s16, exec_lo
	s_and_b32 s0, s0, exec_lo
	s_or_b32 s16, s1, s0
.LBB183_16:                             ;   in Loop: Header=BB183_10 Depth=1
	s_or_b32 exec_lo, exec_lo, s17
	s_delay_alu instid0(VALU_DEP_2)
	s_and_saveexec_b32 s0, s16
	s_cbranch_execz .LBB183_18
; %bb.17:                               ;   in Loop: Header=BB183_10 Depth=1
	s_waitcnt lgkmcnt(1)
	v_dual_mov_b32 v27, v31 :: v_dual_mov_b32 v28, v30
	s_waitcnt lgkmcnt(0)
	v_mov_b32_e32 v26, v29
.LBB183_18:                             ;   in Loop: Header=BB183_10 Depth=1
	s_or_b32 exec_lo, exec_lo, s0
	ds_bpermute_b32 v30, v20, v28
	s_waitcnt lgkmcnt(2)
	ds_bpermute_b32 v31, v20, v27
	s_waitcnt lgkmcnt(2)
	ds_bpermute_b32 v29, v20, v26
	s_mov_b32 s17, exec_lo
	s_waitcnt lgkmcnt(2)
	v_cmp_lt_f32_e64 s16, v28, v30
	v_cmpx_nlt_f32_e32 v28, v30
	s_cbranch_execz .LBB183_20
; %bb.19:                               ;   in Loop: Header=BB183_10 Depth=1
	v_cmp_eq_f32_e64 s0, v28, v30
	s_waitcnt lgkmcnt(0)
	v_cmp_lt_i32_e64 s1, v29, v26
	s_delay_alu instid0(VALU_DEP_1) | instskip(SKIP_2) | instid1(SALU_CYCLE_1)
	s_and_b32 s0, s0, s1
	s_and_not1_b32 s1, s16, exec_lo
	s_and_b32 s0, s0, exec_lo
	s_or_b32 s16, s1, s0
.LBB183_20:                             ;   in Loop: Header=BB183_10 Depth=1
	s_or_b32 exec_lo, exec_lo, s17
	s_delay_alu instid0(VALU_DEP_2)
	s_and_saveexec_b32 s0, s16
	s_cbranch_execz .LBB183_22
; %bb.21:                               ;   in Loop: Header=BB183_10 Depth=1
	s_waitcnt lgkmcnt(1)
	v_dual_mov_b32 v27, v31 :: v_dual_mov_b32 v28, v30
	s_waitcnt lgkmcnt(0)
	v_mov_b32_e32 v26, v29
.LBB183_22:                             ;   in Loop: Header=BB183_10 Depth=1
	s_or_b32 exec_lo, exec_lo, s0
	s_waitcnt lgkmcnt(1)
	ds_bpermute_b32 v31, v21, v28
	ds_bpermute_b32 v30, v21, v27
	s_waitcnt lgkmcnt(2)
	ds_bpermute_b32 v29, v21, v26
	s_mov_b32 s17, exec_lo
	s_waitcnt lgkmcnt(2)
	v_cmp_lt_f32_e64 s16, v28, v31
	v_cmpx_nlt_f32_e32 v28, v31
	s_cbranch_execnz .LBB183_26
; %bb.23:                               ;   in Loop: Header=BB183_10 Depth=1
	s_or_b32 exec_lo, exec_lo, s17
	s_delay_alu instid0(VALU_DEP_2)
	s_and_saveexec_b32 s0, s16
	s_cbranch_execnz .LBB183_27
.LBB183_24:                             ;   in Loop: Header=BB183_10 Depth=1
	s_or_b32 exec_lo, exec_lo, s0
	s_and_saveexec_b32 s16, s2
	s_cbranch_execnz .LBB183_28
.LBB183_25:                             ;   in Loop: Header=BB183_10 Depth=1
	s_or_b32 exec_lo, exec_lo, s16
	s_add_i32 s7, s7, 1
	s_delay_alu instid0(SALU_CYCLE_1)
	s_cmp_ge_i32 s7, s4
	s_cbranch_scc1 .LBB183_9
	s_branch .LBB183_29
.LBB183_26:                             ;   in Loop: Header=BB183_10 Depth=1
	v_cmp_eq_f32_e64 s0, v28, v31
	s_waitcnt lgkmcnt(0)
	v_cmp_lt_i32_e64 s1, v29, v26
	s_delay_alu instid0(VALU_DEP_1) | instskip(SKIP_2) | instid1(SALU_CYCLE_1)
	s_and_b32 s0, s0, s1
	s_and_not1_b32 s1, s16, exec_lo
	s_and_b32 s0, s0, exec_lo
	s_or_b32 s16, s1, s0
	s_or_b32 exec_lo, exec_lo, s17
	s_and_saveexec_b32 s0, s16
	s_cbranch_execz .LBB183_24
.LBB183_27:                             ;   in Loop: Header=BB183_10 Depth=1
	s_waitcnt lgkmcnt(0)
	v_dual_mov_b32 v27, v30 :: v_dual_mov_b32 v26, v29
	s_or_b32 exec_lo, exec_lo, s0
	s_and_saveexec_b32 s16, s2
	s_cbranch_execz .LBB183_25
.LBB183_28:                             ;   in Loop: Header=BB183_10 Depth=1
	v_add_nc_u32_e32 v28, s7, v24
	v_subrev_nc_u32_e32 v32, s5, v26
	v_cmp_le_i32_e64 s0, s5, v26
	v_cmp_gt_i32_e64 s1, s6, v26
	v_add_f32_e32 v36, v23, v27
	s_waitcnt lgkmcnt(0)
	v_ashrrev_i32_e32 v29, 31, v28
	v_ashrrev_i32_e32 v33, 31, v32
	s_and_b32 s0, s0, s1
	v_cndmask_b32_e32 v23, v23, v36, vcc_lo
	s_delay_alu instid0(VALU_DEP_3) | instskip(SKIP_2) | instid1(SALU_CYCLE_1)
	v_lshlrev_b64 v[30:31], 2, v[28:29]
	v_lshlrev_b64 v[28:29], 3, v[28:29]
	s_and_b32 s0, s15, s0
	v_cndmask_b32_e64 v33, 0, v33, s0
	v_cndmask_b32_e64 v32, 0x80, v32, s0
	s_delay_alu instid0(VALU_DEP_4) | instskip(NEXT) | instid1(VALU_DEP_1)
	v_add_co_u32 v34, s0, s12, v30
	v_add_co_ci_u32_e64 v35, s0, s13, v31, s0
	v_add_co_u32 v28, s0, s8, v28
	s_delay_alu instid0(VALU_DEP_1) | instskip(SKIP_1) | instid1(VALU_DEP_1)
	v_add_co_ci_u32_e64 v29, s0, s9, v29, s0
	v_add_co_u32 v30, s0, s10, v30
	v_add_co_ci_u32_e64 v31, s0, s11, v31, s0
	global_store_b32 v[34:35], v27, off
	global_store_b64 v[28:29], v[32:33], off
	global_store_b32 v[30:31], v25, off
	s_or_b32 exec_lo, exec_lo, s16
	s_add_i32 s7, s7, 1
	s_delay_alu instid0(SALU_CYCLE_1)
	s_cmp_ge_i32 s7, s4
	s_cbranch_scc1 .LBB183_9
.LBB183_29:                             ;   in Loop: Header=BB183_10 Depth=1
	v_ashrrev_i32_e32 v28, 31, v26
	s_mov_b32 s1, exec_lo
	s_delay_alu instid0(VALU_DEP_1) | instskip(NEXT) | instid1(VALU_DEP_1)
	v_lshrrev_b32_e32 v27, 29, v28
	v_add_nc_u32_e32 v27, v26, v27
	s_delay_alu instid0(VALU_DEP_1) | instskip(SKIP_1) | instid1(VALU_DEP_1)
	v_ashrrev_i32_e32 v27, 3, v27
	s_waitcnt lgkmcnt(0)
	v_lshrrev_b32_e32 v29, 28, v27
	s_delay_alu instid0(VALU_DEP_1) | instskip(NEXT) | instid1(VALU_DEP_1)
	v_add_nc_u32_e32 v29, v27, v29
	v_and_b32_e32 v29, -16, v29
	s_delay_alu instid0(VALU_DEP_1) | instskip(NEXT) | instid1(VALU_DEP_1)
	v_sub_nc_u32_e32 v29, v27, v29
	v_cmpx_eq_u32_e64 v17, v29
	s_cbranch_execz .LBB183_8
; %bb.30:                               ;   in Loop: Header=BB183_10 Depth=1
	v_lshrrev_b32_e32 v28, 25, v28
	v_lshlrev_b32_e32 v27, 3, v27
	s_delay_alu instid0(VALU_DEP_2) | instskip(NEXT) | instid1(VALU_DEP_2)
	v_add_nc_u32_e32 v28, v26, v28
	v_sub_nc_u32_e32 v26, v26, v27
	s_delay_alu instid0(VALU_DEP_2) | instskip(NEXT) | instid1(VALU_DEP_1)
	v_ashrrev_i32_e32 v27, 7, v28
	v_lshl_add_u32 v26, v27, 3, v26
	s_delay_alu instid0(VALU_DEP_1) | instskip(NEXT) | instid1(VALU_DEP_1)
	v_cmp_ne_u32_e64 s0, 7, v26
	v_cndmask_b32_e64 v15, 0xc61c4000, v15, s0
	v_cmp_ne_u32_e64 s0, 6, v26
	s_delay_alu instid0(VALU_DEP_1) | instskip(SKIP_1) | instid1(VALU_DEP_1)
	v_cndmask_b32_e64 v14, 0xc61c4000, v14, s0
	v_cmp_ne_u32_e64 s0, 5, v26
	v_cndmask_b32_e64 v13, 0xc61c4000, v13, s0
	v_cmp_ne_u32_e64 s0, 4, v26
	s_delay_alu instid0(VALU_DEP_1) | instskip(SKIP_1) | instid1(VALU_DEP_1)
	v_cndmask_b32_e64 v12, 0xc61c4000, v12, s0
	;; [unrolled: 5-line block ×3, first 2 shown]
	v_cmp_ne_u32_e64 s0, 1, v26
	v_cndmask_b32_e64 v9, 0xc61c4000, v9, s0
	v_cmp_ne_u32_e64 s0, 0, v26
	s_delay_alu instid0(VALU_DEP_1)
	v_cndmask_b32_e64 v8, 0xc61c4000, v8, s0
	s_branch .LBB183_8
.LBB183_31:
                                        ; implicit-def: $vgpr8_vgpr9_vgpr10_vgpr11_vgpr12_vgpr13_vgpr14_vgpr15
	s_and_not1_b32 vcc_lo, exec_lo, s8
	s_cbranch_vccz .LBB183_5
	s_branch .LBB183_6
.LBB183_32:
	v_mov_b32_e32 v23, 0
.LBB183_33:
	v_cmp_eq_u32_e64 s0, 0, v17
	s_delay_alu instid0(VALU_DEP_1) | instskip(NEXT) | instid1(SALU_CYCLE_1)
	s_and_b32 s0, s0, vcc_lo
	s_and_b32 exec_lo, exec_lo, s0
	s_cbranch_execz .LBB183_37
; %bb.34:
	s_and_not1_b32 vcc_lo, exec_lo, s3
	s_cbranch_vccnz .LBB183_37
; %bb.35:
	v_mul_lo_u32 v0, v16, s4
	v_cmp_lt_f32_e32 vcc_lo, 0, v23
	v_cndmask_b32_e32 v2, 1.0, v23, vcc_lo
	s_delay_alu instid0(VALU_DEP_3) | instskip(NEXT) | instid1(VALU_DEP_1)
	v_ashrrev_i32_e32 v1, 31, v0
	v_lshlrev_b64 v[0:1], 2, v[0:1]
	s_delay_alu instid0(VALU_DEP_1) | instskip(NEXT) | instid1(VALU_DEP_2)
	v_add_co_u32 v0, vcc_lo, s12, v0
	v_add_co_ci_u32_e32 v1, vcc_lo, s13, v1, vcc_lo
	.p2align	6
.LBB183_36:                             ; =>This Inner Loop Header: Depth=1
	global_load_b32 v3, v[0:1], off
	s_add_i32 s4, s4, -1
	s_delay_alu instid0(SALU_CYCLE_1) | instskip(SKIP_3) | instid1(VALU_DEP_2)
	s_cmp_lg_u32 s4, 0
	s_waitcnt vmcnt(0)
	v_div_scale_f32 v4, null, v2, v2, v3
	v_div_scale_f32 v7, vcc_lo, v3, v2, v3
	v_rcp_f32_e32 v5, v4
	s_waitcnt_depctr 0xfff
	v_fma_f32 v6, -v4, v5, 1.0
	s_delay_alu instid0(VALU_DEP_1) | instskip(NEXT) | instid1(VALU_DEP_1)
	v_fmac_f32_e32 v5, v6, v5
	v_mul_f32_e32 v6, v7, v5
	s_delay_alu instid0(VALU_DEP_1) | instskip(NEXT) | instid1(VALU_DEP_1)
	v_fma_f32 v8, -v4, v6, v7
	v_fmac_f32_e32 v6, v8, v5
	s_delay_alu instid0(VALU_DEP_1) | instskip(NEXT) | instid1(VALU_DEP_1)
	v_fma_f32 v4, -v4, v6, v7
	v_div_fmas_f32 v4, v4, v5, v6
	s_delay_alu instid0(VALU_DEP_1)
	v_div_fixup_f32 v3, v4, v2, v3
	global_store_b32 v[0:1], v3, off
	v_add_co_u32 v0, vcc_lo, v0, 4
	v_add_co_ci_u32_e32 v1, vcc_lo, 0, v1, vcc_lo
	s_cbranch_scc1 .LBB183_36
.LBB183_37:
	s_nop 0
	s_sendmsg sendmsg(MSG_DEALLOC_VGPRS)
	s_endpgm
	.section	.rodata,"a",@progbits
	.p2align	6, 0x0
	.amdhsa_kernel _ZN4vllm3moe10topkGatingILi8ELi128ELi4ELi16ELi32El14__hip_bfloat16LNS0_11ScoringFuncE0EEEvPKT5_PKbPfiPT4_PiiiibPKf
		.amdhsa_group_segment_fixed_size 0
		.amdhsa_private_segment_fixed_size 0
		.amdhsa_kernarg_size 72
		.amdhsa_user_sgpr_count 15
		.amdhsa_user_sgpr_dispatch_ptr 0
		.amdhsa_user_sgpr_queue_ptr 0
		.amdhsa_user_sgpr_kernarg_segment_ptr 1
		.amdhsa_user_sgpr_dispatch_id 0
		.amdhsa_user_sgpr_private_segment_size 0
		.amdhsa_wavefront_size32 1
		.amdhsa_uses_dynamic_stack 0
		.amdhsa_enable_private_segment 0
		.amdhsa_system_sgpr_workgroup_id_x 1
		.amdhsa_system_sgpr_workgroup_id_y 0
		.amdhsa_system_sgpr_workgroup_id_z 0
		.amdhsa_system_sgpr_workgroup_info 0
		.amdhsa_system_vgpr_workitem_id 1
		.amdhsa_next_free_vgpr 38
		.amdhsa_next_free_sgpr 18
		.amdhsa_reserve_vcc 1
		.amdhsa_float_round_mode_32 0
		.amdhsa_float_round_mode_16_64 0
		.amdhsa_float_denorm_mode_32 3
		.amdhsa_float_denorm_mode_16_64 3
		.amdhsa_dx10_clamp 1
		.amdhsa_ieee_mode 1
		.amdhsa_fp16_overflow 0
		.amdhsa_workgroup_processor_mode 1
		.amdhsa_memory_ordered 1
		.amdhsa_forward_progress 0
		.amdhsa_shared_vgpr_count 0
		.amdhsa_exception_fp_ieee_invalid_op 0
		.amdhsa_exception_fp_denorm_src 0
		.amdhsa_exception_fp_ieee_div_zero 0
		.amdhsa_exception_fp_ieee_overflow 0
		.amdhsa_exception_fp_ieee_underflow 0
		.amdhsa_exception_fp_ieee_inexact 0
		.amdhsa_exception_int_div_zero 0
	.end_amdhsa_kernel
	.section	.text._ZN4vllm3moe10topkGatingILi8ELi128ELi4ELi16ELi32El14__hip_bfloat16LNS0_11ScoringFuncE0EEEvPKT5_PKbPfiPT4_PiiiibPKf,"axG",@progbits,_ZN4vllm3moe10topkGatingILi8ELi128ELi4ELi16ELi32El14__hip_bfloat16LNS0_11ScoringFuncE0EEEvPKT5_PKbPfiPT4_PiiiibPKf,comdat
.Lfunc_end183:
	.size	_ZN4vllm3moe10topkGatingILi8ELi128ELi4ELi16ELi32El14__hip_bfloat16LNS0_11ScoringFuncE0EEEvPKT5_PKbPfiPT4_PiiiibPKf, .Lfunc_end183-_ZN4vllm3moe10topkGatingILi8ELi128ELi4ELi16ELi32El14__hip_bfloat16LNS0_11ScoringFuncE0EEEvPKT5_PKbPfiPT4_PiiiibPKf
                                        ; -- End function
	.section	.AMDGPU.csdata,"",@progbits
; Kernel info:
; codeLenInByte = 3416
; NumSgprs: 20
; NumVgprs: 38
; ScratchSize: 0
; MemoryBound: 0
; FloatMode: 240
; IeeeMode: 1
; LDSByteSize: 0 bytes/workgroup (compile time only)
; SGPRBlocks: 2
; VGPRBlocks: 4
; NumSGPRsForWavesPerEU: 20
; NumVGPRsForWavesPerEU: 38
; Occupancy: 16
; WaveLimiterHint : 0
; COMPUTE_PGM_RSRC2:SCRATCH_EN: 0
; COMPUTE_PGM_RSRC2:USER_SGPR: 15
; COMPUTE_PGM_RSRC2:TRAP_HANDLER: 0
; COMPUTE_PGM_RSRC2:TGID_X_EN: 1
; COMPUTE_PGM_RSRC2:TGID_Y_EN: 0
; COMPUTE_PGM_RSRC2:TGID_Z_EN: 0
; COMPUTE_PGM_RSRC2:TIDIG_COMP_CNT: 1
	.section	.text._ZN4vllm3moe10topkGatingILi8ELi256ELi4ELi16ELi64El14__hip_bfloat16LNS0_11ScoringFuncE0EEEvPKT5_PKbPfiPT4_PiiiibPKf,"axG",@progbits,_ZN4vllm3moe10topkGatingILi8ELi256ELi4ELi16ELi64El14__hip_bfloat16LNS0_11ScoringFuncE0EEEvPKT5_PKbPfiPT4_PiiiibPKf,comdat
	.protected	_ZN4vllm3moe10topkGatingILi8ELi256ELi4ELi16ELi64El14__hip_bfloat16LNS0_11ScoringFuncE0EEEvPKT5_PKbPfiPT4_PiiiibPKf ; -- Begin function _ZN4vllm3moe10topkGatingILi8ELi256ELi4ELi16ELi64El14__hip_bfloat16LNS0_11ScoringFuncE0EEEvPKT5_PKbPfiPT4_PiiiibPKf
	.globl	_ZN4vllm3moe10topkGatingILi8ELi256ELi4ELi16ELi64El14__hip_bfloat16LNS0_11ScoringFuncE0EEEvPKT5_PKbPfiPT4_PiiiibPKf
	.p2align	8
	.type	_ZN4vllm3moe10topkGatingILi8ELi256ELi4ELi16ELi64El14__hip_bfloat16LNS0_11ScoringFuncE0EEEvPKT5_PKbPfiPT4_PiiiibPKf,@function
_ZN4vllm3moe10topkGatingILi8ELi256ELi4ELi16ELi64El14__hip_bfloat16LNS0_11ScoringFuncE0EEEvPKT5_PKbPfiPT4_PiiiibPKf: ; @_ZN4vllm3moe10topkGatingILi8ELi256ELi4ELi16ELi64El14__hip_bfloat16LNS0_11ScoringFuncE0EEEvPKT5_PKbPfiPT4_PiiiibPKf
; %bb.0:
	s_load_b32 s14, s[0:1], 0x18
	v_bfe_u32 v1, v0, 10, 10
	v_and_b32_e32 v0, 0x3ff, v0
	s_lshl_b32 s2, s15, 3
	s_delay_alu instid0(VALU_DEP_2) | instskip(NEXT) | instid1(VALU_DEP_2)
	v_lshlrev_b32_e32 v1, 1, v1
	v_lshrrev_b32_e32 v2, 5, v0
	s_delay_alu instid0(VALU_DEP_1) | instskip(SKIP_2) | instid1(VALU_DEP_1)
	v_add3_u32 v16, s2, v1, v2
	s_mov_b32 s2, exec_lo
	s_waitcnt lgkmcnt(0)
	v_cmpx_gt_i32_e64 s14, v16
	s_cbranch_execz .LBB184_41
; %bb.1:
	s_clause 0x1
	s_load_b128 s[4:7], s[0:1], 0x0
	s_load_b64 s[12:13], s[0:1], 0x10
	s_mov_b32 s8, -1
	s_mov_b32 s15, -1
	s_waitcnt lgkmcnt(0)
	s_cmp_eq_u64 s[6:7], 0
	s_cbranch_scc1 .LBB184_3
; %bb.2:
	v_ashrrev_i32_e32 v2, 31, v16
	v_add_co_u32 v1, vcc_lo, s6, v16
	s_delay_alu instid0(VALU_DEP_2) | instskip(SKIP_3) | instid1(VALU_DEP_1)
	v_add_co_ci_u32_e32 v2, vcc_lo, s7, v2, vcc_lo
	global_load_u8 v1, v[1:2], off
	s_waitcnt vmcnt(0)
	v_and_b32_e32 v1, 1, v1
	v_cmp_eq_u32_e32 vcc_lo, 1, v1
	s_xor_b32 s2, vcc_lo, -1
	s_delay_alu instid0(SALU_CYCLE_1)
	s_or_not1_b32 s15, s2, exec_lo
.LBB184_3:
	v_mbcnt_lo_u32_b32 v7, -1, 0
	v_lshlrev_b32_e32 v1, 8, v16
	v_and_b32_e32 v17, 31, v0
	s_load_b64 s[2:3], s[0:1], 0x40
	s_delay_alu instid0(VALU_DEP_3) | instskip(NEXT) | instid1(VALU_DEP_3)
	v_xor_b32_e32 v11, 8, v7
	v_ashrrev_i32_e32 v2, 31, v1
	s_delay_alu instid0(VALU_DEP_1) | instskip(SKIP_1) | instid1(VALU_DEP_2)
	v_lshlrev_b64 v[0:1], 1, v[1:2]
	v_lshlrev_b32_e32 v2, 4, v17
	v_add_co_u32 v0, vcc_lo, s4, v0
	s_delay_alu instid0(VALU_DEP_3) | instskip(NEXT) | instid1(VALU_DEP_2)
	v_add_co_ci_u32_e32 v1, vcc_lo, s5, v1, vcc_lo
	v_add_co_u32 v0, vcc_lo, v0, v2
	s_delay_alu instid0(VALU_DEP_2)
	v_add_co_ci_u32_e32 v1, vcc_lo, 0, v1, vcc_lo
	s_waitcnt lgkmcnt(0)
	s_cmp_eq_u64 s[2:3], 0
	global_load_b128 v[0:3], v[0:1], off
	s_waitcnt vmcnt(0)
	v_and_b32_e32 v4, 0xffff0000, v0
	v_lshlrev_b32_e32 v0, 16, v0
	v_lshlrev_b32_e32 v8, 16, v1
	;; [unrolled: 1-line block ×3, first 2 shown]
	v_and_b32_e32 v1, 0xffff0000, v1
	v_max_f32_e32 v5, v4, v4
	v_dual_max_f32 v6, v0, v0 :: v_dual_and_b32 v3, 0xffff0000, v3
	s_delay_alu instid0(VALU_DEP_1) | instskip(SKIP_1) | instid1(VALU_DEP_2)
	v_max_f32_e32 v5, v6, v5
	v_xor_b32_e32 v6, 16, v7
	v_max3_f32 v5, v5, v8, v1
	s_delay_alu instid0(VALU_DEP_2) | instskip(SKIP_4) | instid1(VALU_DEP_2)
	v_cmp_gt_i32_e32 vcc_lo, 32, v6
	v_cndmask_b32_e32 v6, v7, v6, vcc_lo
	v_cmp_gt_i32_e32 vcc_lo, 32, v11
	v_cndmask_b32_e32 v11, v7, v11, vcc_lo
	v_lshlrev_b32_e32 v9, 16, v2
	v_lshlrev_b32_e32 v19, 2, v11
	v_xor_b32_e32 v11, 4, v7
	s_delay_alu instid0(VALU_DEP_1) | instskip(SKIP_1) | instid1(VALU_DEP_1)
	v_cmp_gt_i32_e32 vcc_lo, 32, v11
	v_dual_cndmask_b32 v11, v7, v11 :: v_dual_and_b32 v2, 0xffff0000, v2
	v_max3_f32 v5, v5, v9, v2
	s_delay_alu instid0(VALU_DEP_2) | instskip(SKIP_1) | instid1(VALU_DEP_3)
	v_lshlrev_b32_e32 v20, 2, v11
	v_xor_b32_e32 v11, 2, v7
	v_max3_f32 v5, v5, v10, v3
	s_delay_alu instid0(VALU_DEP_2) | instskip(SKIP_4) | instid1(VALU_DEP_1)
	v_cmp_gt_i32_e32 vcc_lo, 32, v11
	v_dual_cndmask_b32 v11, v7, v11 :: v_dual_lshlrev_b32 v18, 2, v6
	ds_bpermute_b32 v6, v18, v5
	v_lshlrev_b32_e32 v21, 2, v11
	v_xor_b32_e32 v11, 1, v7
	v_cmp_gt_i32_e32 vcc_lo, 32, v11
	s_waitcnt lgkmcnt(0)
	v_dual_cndmask_b32 v7, v7, v11 :: v_dual_max_f32 v6, v6, v6
	s_delay_alu instid0(VALU_DEP_1) | instskip(SKIP_3) | instid1(VALU_DEP_1)
	v_max_f32_e32 v5, v5, v6
	ds_bpermute_b32 v6, v19, v5
	s_waitcnt lgkmcnt(0)
	v_max_f32_e32 v6, v6, v6
	v_max_f32_e32 v5, v5, v6
	ds_bpermute_b32 v6, v20, v5
	s_waitcnt lgkmcnt(0)
	v_max_f32_e32 v6, v6, v6
	s_delay_alu instid0(VALU_DEP_1) | instskip(SKIP_3) | instid1(VALU_DEP_1)
	v_max_f32_e32 v5, v5, v6
	ds_bpermute_b32 v6, v21, v5
	s_waitcnt lgkmcnt(0)
	v_max_f32_e32 v6, v6, v6
	v_dual_max_f32 v5, v5, v6 :: v_dual_lshlrev_b32 v22, 2, v7
	ds_bpermute_b32 v6, v22, v5
	s_waitcnt lgkmcnt(0)
	v_max_f32_e32 v6, v6, v6
	s_delay_alu instid0(VALU_DEP_1) | instskip(NEXT) | instid1(VALU_DEP_1)
	v_max_f32_e32 v5, v5, v6
	v_sub_f32_e32 v0, v0, v5
	v_sub_f32_e32 v7, v9, v5
	s_delay_alu instid0(VALU_DEP_2) | instskip(NEXT) | instid1(VALU_DEP_2)
	v_cmp_ngt_f32_e32 vcc_lo, 0xc2ce8ed0, v0
	v_dual_mul_f32 v12, 0x3fb8aa3b, v7 :: v_dual_sub_f32 v3, v3, v5
	v_sub_f32_e32 v4, v4, v5
	v_sub_f32_e32 v6, v8, v5
	;; [unrolled: 1-line block ×4, first 2 shown]
	v_dual_mul_f32 v15, 0x3fb8aa3b, v3 :: v_dual_sub_f32 v8, v10, v5
	v_mul_f32_e32 v5, 0x3fb8aa3b, v0
	s_delay_alu instid0(VALU_DEP_4)
	v_mul_f32_e32 v13, 0x3fb8aa3b, v2
	v_rndne_f32_e32 v32, v12
	v_mul_f32_e32 v9, 0x3fb8aa3b, v4
	v_mul_f32_e32 v14, 0x3fb8aa3b, v8
	v_fma_f32 v31, 0x3fb8aa3b, v7, -v12
	v_dual_mul_f32 v10, 0x3fb8aa3b, v6 :: v_dual_mul_f32 v11, 0x3fb8aa3b, v1
	v_sub_f32_e32 v12, v12, v32
	v_rndne_f32_e32 v24, v5
	s_delay_alu instid0(VALU_DEP_4) | instskip(SKIP_3) | instid1(VALU_DEP_4)
	v_fmac_f32_e32 v31, 0x32a5705f, v7
	v_fma_f32 v23, 0x3fb8aa3b, v0, -v5
	v_fma_f32 v27, 0x3fb8aa3b, v6, -v10
	v_rndne_f32_e32 v28, v10
	v_dual_sub_f32 v5, v5, v24 :: v_dual_add_f32 v12, v12, v31
	v_cvt_i32_f32_e32 v32, v32
	v_fma_f32 v25, 0x3fb8aa3b, v4, -v9
	v_rndne_f32_e32 v26, v9
	v_fma_f32 v35, 0x3fb8aa3b, v8, -v14
	v_exp_f32_e32 v12, v12
	v_rndne_f32_e32 v36, v14
	s_delay_alu instid0(VALU_DEP_3) | instskip(NEXT) | instid1(VALU_DEP_3)
	v_dual_sub_f32 v10, v10, v28 :: v_dual_sub_f32 v9, v9, v26
	v_fmac_f32_e32 v35, 0x32a5705f, v8
	v_cvt_i32_f32_e32 v24, v24
	s_delay_alu instid0(VALU_DEP_4) | instskip(SKIP_3) | instid1(TRANS32_DEP_1)
	v_sub_f32_e32 v14, v14, v36
	v_fmac_f32_e32 v25, 0x32a5705f, v4
	v_cvt_i32_f32_e32 v26, v26
	v_cvt_i32_f32_e32 v28, v28
	v_ldexp_f32 v12, v12, v32
	v_dual_add_f32 v14, v14, v35 :: v_dual_fmac_f32 v27, 0x32a5705f, v6
	v_fmac_f32_e32 v23, 0x32a5705f, v0
	v_add_f32_e32 v9, v9, v25
	v_fma_f32 v29, 0x3fb8aa3b, v1, -v11
	v_rndne_f32_e32 v30, v11
	v_add_f32_e32 v10, v10, v27
	v_add_f32_e32 v5, v5, v23
	v_exp_f32_e32 v9, v9
	v_fma_f32 v33, 0x3fb8aa3b, v2, -v13
	v_rndne_f32_e32 v34, v13
	v_exp_f32_e32 v10, v10
	v_exp_f32_e32 v5, v5
	;; [unrolled: 1-line block ×3, first 2 shown]
	v_cvt_i32_f32_e32 v23, v36
	v_fma_f32 v37, 0x3fb8aa3b, v3, -v15
	v_rndne_f32_e32 v38, v15
	v_ldexp_f32 v9, v9, v26
	s_delay_alu instid0(TRANS32_DEP_3) | instskip(NEXT) | instid1(TRANS32_DEP_2)
	v_ldexp_f32 v10, v10, v28
	v_ldexp_f32 v5, v5, v24
	s_delay_alu instid0(TRANS32_DEP_1) | instskip(SKIP_2) | instid1(VALU_DEP_4)
	v_ldexp_f32 v14, v14, v23
	v_cvt_i32_f32_e32 v25, v38
	v_lshlrev_b32_e32 v23, 3, v17
	v_cndmask_b32_e32 v5, 0, v5, vcc_lo
	v_cmp_ngt_f32_e32 vcc_lo, 0xc2ce8ed0, v4
	v_cndmask_b32_e32 v9, 0, v9, vcc_lo
	v_cmp_ngt_f32_e32 vcc_lo, 0xc2ce8ed0, v6
	v_dual_fmac_f32 v29, 0x32a5705f, v1 :: v_dual_cndmask_b32 v10, 0, v10
	v_cmp_nlt_f32_e32 vcc_lo, 0x42b17218, v0
	v_sub_f32_e32 v11, v11, v30
	v_cvt_i32_f32_e32 v30, v30
	v_cndmask_b32_e32 v0, 0x7f800000, v5, vcc_lo
	s_delay_alu instid0(VALU_DEP_3)
	v_add_f32_e32 v11, v11, v29
	v_cmp_nlt_f32_e32 vcc_lo, 0x42b17218, v4
	v_fmac_f32_e32 v33, 0x32a5705f, v2
	v_sub_f32_e32 v13, v13, v34
	v_cvt_i32_f32_e32 v34, v34
	v_exp_f32_e32 v11, v11
	v_cndmask_b32_e32 v4, 0x7f800000, v9, vcc_lo
	v_cmp_ngt_f32_e32 vcc_lo, 0xc2ce8ed0, v1
	v_add_f32_e32 v13, v13, v33
	v_fmac_f32_e32 v37, 0x32a5705f, v3
	s_delay_alu instid0(VALU_DEP_4) | instskip(NEXT) | instid1(VALU_DEP_3)
	v_add_f32_e32 v9, v0, v4
	v_exp_f32_e32 v13, v13
	s_delay_alu instid0(TRANS32_DEP_2) | instskip(NEXT) | instid1(VALU_DEP_1)
	v_ldexp_f32 v11, v11, v30
	v_cndmask_b32_e32 v5, 0, v11, vcc_lo
	v_cmp_nlt_f32_e32 vcc_lo, 0x42b17218, v6
	s_waitcnt_depctr 0xfff
	v_ldexp_f32 v13, v13, v34
	v_cndmask_b32_e32 v6, 0x7f800000, v10, vcc_lo
	v_cmp_ngt_f32_e32 vcc_lo, 0xc2ce8ed0, v7
	v_cndmask_b32_e32 v10, 0, v12, vcc_lo
	v_cmp_nlt_f32_e32 vcc_lo, 0x42b17218, v1
	v_cndmask_b32_e32 v1, 0x7f800000, v5, vcc_lo
	v_cmp_ngt_f32_e32 vcc_lo, 0xc2ce8ed0, v2
	v_add_f32_e32 v5, v9, v6
	v_cndmask_b32_e32 v9, 0, v13, vcc_lo
	v_cmp_nlt_f32_e32 vcc_lo, 0x42b17218, v7
	s_delay_alu instid0(VALU_DEP_3) | instskip(SKIP_2) | instid1(VALU_DEP_2)
	v_add_f32_e32 v5, v5, v1
	v_cndmask_b32_e32 v7, 0x7f800000, v10, vcc_lo
	v_cmp_ngt_f32_e32 vcc_lo, 0xc2ce8ed0, v8
	v_dual_add_f32 v5, v5, v7 :: v_dual_cndmask_b32 v10, 0, v14
	v_cmp_nlt_f32_e32 vcc_lo, 0x42b17218, v2
	v_dual_sub_f32 v15, v15, v38 :: v_dual_cndmask_b32 v2, 0x7f800000, v9
	s_delay_alu instid0(VALU_DEP_1) | instskip(SKIP_1) | instid1(VALU_DEP_3)
	v_add_f32_e32 v15, v15, v37
	v_cmp_ngt_f32_e32 vcc_lo, 0xc2ce8ed0, v3
	v_add_f32_e32 v5, v5, v2
	s_delay_alu instid0(VALU_DEP_3) | instskip(SKIP_2) | instid1(VALU_DEP_1)
	v_exp_f32_e32 v15, v15
	s_waitcnt_depctr 0xfff
	v_ldexp_f32 v15, v15, v25
	v_cndmask_b32_e32 v9, 0, v15, vcc_lo
	v_cmp_nlt_f32_e32 vcc_lo, 0x42b17218, v8
	v_cndmask_b32_e32 v8, 0x7f800000, v10, vcc_lo
	v_cmp_nlt_f32_e32 vcc_lo, 0x42b17218, v3
	s_delay_alu instid0(VALU_DEP_2) | instskip(SKIP_1) | instid1(VALU_DEP_1)
	v_add_f32_e32 v5, v5, v8
	v_cndmask_b32_e32 v3, 0x7f800000, v9, vcc_lo
	v_add_f32_e32 v5, v5, v3
	ds_bpermute_b32 v9, v18, v5
	s_waitcnt lgkmcnt(0)
	v_add_f32_e32 v5, v5, v9
	ds_bpermute_b32 v9, v19, v5
	s_waitcnt lgkmcnt(0)
	;; [unrolled: 3-line block ×5, first 2 shown]
	v_add_f32_e32 v5, v5, v9
	s_delay_alu instid0(VALU_DEP_1) | instskip(SKIP_1) | instid1(VALU_DEP_2)
	v_div_scale_f32 v9, null, v5, v5, 1.0
	v_div_scale_f32 v12, vcc_lo, 1.0, v5, 1.0
	v_rcp_f32_e32 v10, v9
	s_waitcnt_depctr 0xfff
	v_fma_f32 v11, -v9, v10, 1.0
	s_delay_alu instid0(VALU_DEP_1) | instskip(NEXT) | instid1(VALU_DEP_1)
	v_fmac_f32_e32 v10, v11, v10
	v_mul_f32_e32 v11, v12, v10
	s_delay_alu instid0(VALU_DEP_1) | instskip(NEXT) | instid1(VALU_DEP_1)
	v_fma_f32 v13, -v9, v11, v12
	v_fmac_f32_e32 v11, v13, v10
	s_delay_alu instid0(VALU_DEP_1) | instskip(NEXT) | instid1(VALU_DEP_1)
	v_fma_f32 v9, -v9, v11, v12
	v_div_fmas_f32 v9, v9, v10, v11
	s_delay_alu instid0(VALU_DEP_1) | instskip(NEXT) | instid1(VALU_DEP_1)
	v_div_fixup_f32 v5, v9, v5, 1.0
	v_mul_f32_e32 v10, v5, v2
	v_mul_f32_e32 v0, v5, v0
	;; [unrolled: 1-line block ×6, first 2 shown]
	v_cmp_class_f32_e64 vcc_lo, v0, 0x1f8
	v_mul_f32_e32 v11, v5, v3
	v_mul_f32_e32 v8, v5, v8
	v_cndmask_b32_e32 v0, 0, v0, vcc_lo
	v_cmp_class_f32_e64 vcc_lo, v4, 0x1f8
	v_cndmask_b32_e32 v1, 0, v4, vcc_lo
	v_cmp_class_f32_e64 vcc_lo, v6, 0x1f8
	;; [unrolled: 2-line block ×7, first 2 shown]
	v_cndmask_b32_e32 v7, 0, v11, vcc_lo
	s_cbranch_scc1 .LBB184_35
; %bb.4:
	v_lshlrev_b32_e32 v12, 2, v23
	s_clause 0x1
	global_load_b128 v[8:11], v12, s[2:3]
	global_load_b128 v[12:15], v12, s[2:3] offset:16
	s_waitcnt vmcnt(1)
	v_dual_add_f32 v9, v9, v1 :: v_dual_add_f32 v8, v8, v0
	v_dual_add_f32 v11, v11, v3 :: v_dual_add_f32 v10, v10, v2
	s_waitcnt vmcnt(0)
	v_dual_add_f32 v13, v13, v5 :: v_dual_add_f32 v12, v12, v4
	v_dual_add_f32 v15, v15, v7 :: v_dual_add_f32 v14, v14, v6
	s_cbranch_execnz .LBB184_6
.LBB184_5:
	v_dual_mov_b32 v15, v7 :: v_dual_mov_b32 v14, v6
	v_dual_mov_b32 v13, v5 :: v_dual_mov_b32 v12, v4
	;; [unrolled: 1-line block ×4, first 2 shown]
.LBB184_6:
	s_load_b128 s[4:7], s[0:1], 0x30
	v_cmp_eq_u32_e64 s2, 0, v17
	s_waitcnt lgkmcnt(0)
	s_bitcmp1_b32 s7, 0
	s_mov_b32 s7, 0
	s_cselect_b32 vcc_lo, -1, 0
	s_cmp_gt_i32 s4, 0
	s_cselect_b32 s3, -1, 0
	s_cmp_lt_i32 s4, 1
	s_cbranch_scc1 .LBB184_36
; %bb.7:
	s_load_b128 s[8:11], s[0:1], 0x20
	v_mul_lo_u32 v25, v16, s4
	v_mov_b32_e32 v24, 0
	v_mov_b32_e32 v26, v16
	s_branch .LBB184_10
.LBB184_8:                              ;   in Loop: Header=BB184_10 Depth=1
	s_or_b32 exec_lo, exec_lo, s1
.LBB184_9:                              ;   in Loop: Header=BB184_10 Depth=1
	v_add_nc_u32_e32 v26, s14, v26
	s_cmp_eq_u32 s4, s7
	s_cbranch_scc1 .LBB184_37
.LBB184_10:                             ; =>This Inner Loop Header: Depth=1
	v_cmp_gt_f32_e64 s0, v9, v8
	s_mov_b32 s17, exec_lo
	s_delay_alu instid0(VALU_DEP_1) | instskip(SKIP_2) | instid1(VALU_DEP_3)
	v_cndmask_b32_e64 v27, v8, v9, s0
	v_cndmask_b32_e64 v28, 0, 1, s0
	;; [unrolled: 1-line block ×3, first 2 shown]
	v_cmp_gt_f32_e64 s1, v10, v27
	s_delay_alu instid0(VALU_DEP_1) | instskip(NEXT) | instid1(VALU_DEP_4)
	v_cndmask_b32_e64 v27, v27, v10, s1
	v_cndmask_b32_e64 v28, v28, 2, s1
	s_delay_alu instid0(VALU_DEP_4) | instskip(NEXT) | instid1(VALU_DEP_3)
	v_cndmask_b32_e64 v29, v29, v2, s1
	v_cmp_gt_f32_e64 s0, v11, v27
	s_delay_alu instid0(VALU_DEP_1) | instskip(NEXT) | instid1(VALU_DEP_4)
	v_cndmask_b32_e64 v27, v27, v11, s0
	v_cndmask_b32_e64 v28, v28, 3, s0
	s_delay_alu instid0(VALU_DEP_4) | instskip(NEXT) | instid1(VALU_DEP_3)
	v_cndmask_b32_e64 v29, v29, v3, s0
	;; [unrolled: 6-line block ×4, first 2 shown]
	v_cmp_gt_f32_e64 s1, v14, v27
	s_delay_alu instid0(VALU_DEP_1) | instskip(NEXT) | instid1(VALU_DEP_4)
	v_cndmask_b32_e64 v27, v27, v14, s1
	v_cndmask_b32_e64 v28, v28, 6, s1
	s_waitcnt lgkmcnt(0)
	v_cndmask_b32_e64 v30, v29, v6, s1
	s_delay_alu instid0(VALU_DEP_3) | instskip(NEXT) | instid1(VALU_DEP_1)
	v_cmp_gt_f32_e64 s0, v15, v27
	v_cndmask_b32_e64 v29, v27, v15, s0
	v_cndmask_b32_e64 v27, v28, 7, s0
	s_delay_alu instid0(VALU_DEP_4)
	v_cndmask_b32_e64 v28, v30, v7, s0
	ds_bpermute_b32 v30, v18, v29
	v_or_b32_e32 v27, v23, v27
	ds_bpermute_b32 v32, v18, v28
	ds_bpermute_b32 v31, v18, v27
	s_waitcnt lgkmcnt(0)
	v_cmp_lt_f32_e64 s16, v29, v30
	v_cmpx_nlt_f32_e32 v29, v30
; %bb.11:                               ;   in Loop: Header=BB184_10 Depth=1
	v_cmp_eq_f32_e64 s0, v29, v30
	v_cmp_lt_i32_e64 s1, v31, v27
	s_delay_alu instid0(VALU_DEP_1) | instskip(SKIP_2) | instid1(SALU_CYCLE_1)
	s_and_b32 s0, s0, s1
	s_and_not1_b32 s1, s16, exec_lo
	s_and_b32 s0, s0, exec_lo
	s_or_b32 s16, s1, s0
; %bb.12:                               ;   in Loop: Header=BB184_10 Depth=1
	s_or_b32 exec_lo, exec_lo, s17
	s_and_saveexec_b32 s0, s16
; %bb.13:                               ;   in Loop: Header=BB184_10 Depth=1
	v_dual_mov_b32 v28, v32 :: v_dual_mov_b32 v29, v30
	v_mov_b32_e32 v27, v31
; %bb.14:                               ;   in Loop: Header=BB184_10 Depth=1
	s_or_b32 exec_lo, exec_lo, s0
	ds_bpermute_b32 v31, v19, v29
	ds_bpermute_b32 v32, v19, v28
	;; [unrolled: 1-line block ×3, first 2 shown]
	s_mov_b32 s17, exec_lo
	s_waitcnt lgkmcnt(2)
	v_cmp_lt_f32_e64 s16, v29, v31
	v_cmpx_nlt_f32_e32 v29, v31
	s_cbranch_execz .LBB184_16
; %bb.15:                               ;   in Loop: Header=BB184_10 Depth=1
	v_cmp_eq_f32_e64 s0, v29, v31
	s_waitcnt lgkmcnt(0)
	v_cmp_lt_i32_e64 s1, v30, v27
	s_delay_alu instid0(VALU_DEP_1) | instskip(SKIP_2) | instid1(SALU_CYCLE_1)
	s_and_b32 s0, s0, s1
	s_and_not1_b32 s1, s16, exec_lo
	s_and_b32 s0, s0, exec_lo
	s_or_b32 s16, s1, s0
.LBB184_16:                             ;   in Loop: Header=BB184_10 Depth=1
	s_or_b32 exec_lo, exec_lo, s17
	s_delay_alu instid0(VALU_DEP_2)
	s_and_saveexec_b32 s0, s16
	s_cbranch_execz .LBB184_18
; %bb.17:                               ;   in Loop: Header=BB184_10 Depth=1
	s_waitcnt lgkmcnt(1)
	v_dual_mov_b32 v28, v32 :: v_dual_mov_b32 v29, v31
	s_waitcnt lgkmcnt(0)
	v_mov_b32_e32 v27, v30
.LBB184_18:                             ;   in Loop: Header=BB184_10 Depth=1
	s_or_b32 exec_lo, exec_lo, s0
	ds_bpermute_b32 v31, v20, v29
	s_waitcnt lgkmcnt(2)
	ds_bpermute_b32 v32, v20, v28
	s_waitcnt lgkmcnt(2)
	ds_bpermute_b32 v30, v20, v27
	s_mov_b32 s17, exec_lo
	s_waitcnt lgkmcnt(2)
	v_cmp_lt_f32_e64 s16, v29, v31
	v_cmpx_nlt_f32_e32 v29, v31
	s_cbranch_execz .LBB184_20
; %bb.19:                               ;   in Loop: Header=BB184_10 Depth=1
	v_cmp_eq_f32_e64 s0, v29, v31
	s_waitcnt lgkmcnt(0)
	v_cmp_lt_i32_e64 s1, v30, v27
	s_delay_alu instid0(VALU_DEP_1) | instskip(SKIP_2) | instid1(SALU_CYCLE_1)
	s_and_b32 s0, s0, s1
	s_and_not1_b32 s1, s16, exec_lo
	s_and_b32 s0, s0, exec_lo
	s_or_b32 s16, s1, s0
.LBB184_20:                             ;   in Loop: Header=BB184_10 Depth=1
	s_or_b32 exec_lo, exec_lo, s17
	s_delay_alu instid0(VALU_DEP_2)
	s_and_saveexec_b32 s0, s16
	s_cbranch_execz .LBB184_22
; %bb.21:                               ;   in Loop: Header=BB184_10 Depth=1
	s_waitcnt lgkmcnt(1)
	v_dual_mov_b32 v28, v32 :: v_dual_mov_b32 v29, v31
	s_waitcnt lgkmcnt(0)
	v_mov_b32_e32 v27, v30
.LBB184_22:                             ;   in Loop: Header=BB184_10 Depth=1
	s_or_b32 exec_lo, exec_lo, s0
	ds_bpermute_b32 v31, v21, v29
	s_waitcnt lgkmcnt(2)
	ds_bpermute_b32 v32, v21, v28
	s_waitcnt lgkmcnt(2)
	ds_bpermute_b32 v30, v21, v27
	s_mov_b32 s17, exec_lo
	s_waitcnt lgkmcnt(2)
	v_cmp_lt_f32_e64 s16, v29, v31
	v_cmpx_nlt_f32_e32 v29, v31
	s_cbranch_execz .LBB184_24
; %bb.23:                               ;   in Loop: Header=BB184_10 Depth=1
	v_cmp_eq_f32_e64 s0, v29, v31
	s_waitcnt lgkmcnt(0)
	v_cmp_lt_i32_e64 s1, v30, v27
	s_delay_alu instid0(VALU_DEP_1) | instskip(SKIP_2) | instid1(SALU_CYCLE_1)
	s_and_b32 s0, s0, s1
	s_and_not1_b32 s1, s16, exec_lo
	s_and_b32 s0, s0, exec_lo
	s_or_b32 s16, s1, s0
.LBB184_24:                             ;   in Loop: Header=BB184_10 Depth=1
	s_or_b32 exec_lo, exec_lo, s17
	s_delay_alu instid0(VALU_DEP_2)
	s_and_saveexec_b32 s0, s16
	s_cbranch_execz .LBB184_26
; %bb.25:                               ;   in Loop: Header=BB184_10 Depth=1
	s_waitcnt lgkmcnt(1)
	v_dual_mov_b32 v28, v32 :: v_dual_mov_b32 v29, v31
	s_waitcnt lgkmcnt(0)
	v_mov_b32_e32 v27, v30
.LBB184_26:                             ;   in Loop: Header=BB184_10 Depth=1
	s_or_b32 exec_lo, exec_lo, s0
	s_waitcnt lgkmcnt(1)
	ds_bpermute_b32 v32, v22, v29
	ds_bpermute_b32 v31, v22, v28
	s_waitcnt lgkmcnt(2)
	ds_bpermute_b32 v30, v22, v27
	s_mov_b32 s17, exec_lo
	s_waitcnt lgkmcnt(2)
	v_cmp_lt_f32_e64 s16, v29, v32
	v_cmpx_nlt_f32_e32 v29, v32
	s_cbranch_execnz .LBB184_30
; %bb.27:                               ;   in Loop: Header=BB184_10 Depth=1
	s_or_b32 exec_lo, exec_lo, s17
	s_delay_alu instid0(VALU_DEP_2)
	s_and_saveexec_b32 s0, s16
	s_cbranch_execnz .LBB184_31
.LBB184_28:                             ;   in Loop: Header=BB184_10 Depth=1
	s_or_b32 exec_lo, exec_lo, s0
	s_and_saveexec_b32 s16, s2
	s_cbranch_execnz .LBB184_32
.LBB184_29:                             ;   in Loop: Header=BB184_10 Depth=1
	s_or_b32 exec_lo, exec_lo, s16
	s_add_i32 s7, s7, 1
	s_delay_alu instid0(SALU_CYCLE_1)
	s_cmp_ge_i32 s7, s4
	s_cbranch_scc1 .LBB184_9
	s_branch .LBB184_33
.LBB184_30:                             ;   in Loop: Header=BB184_10 Depth=1
	v_cmp_eq_f32_e64 s0, v29, v32
	s_waitcnt lgkmcnt(0)
	v_cmp_lt_i32_e64 s1, v30, v27
	s_delay_alu instid0(VALU_DEP_1) | instskip(SKIP_2) | instid1(SALU_CYCLE_1)
	s_and_b32 s0, s0, s1
	s_and_not1_b32 s1, s16, exec_lo
	s_and_b32 s0, s0, exec_lo
	s_or_b32 s16, s1, s0
	s_or_b32 exec_lo, exec_lo, s17
	s_and_saveexec_b32 s0, s16
	s_cbranch_execz .LBB184_28
.LBB184_31:                             ;   in Loop: Header=BB184_10 Depth=1
	s_waitcnt lgkmcnt(0)
	v_dual_mov_b32 v28, v31 :: v_dual_mov_b32 v27, v30
	s_or_b32 exec_lo, exec_lo, s0
	s_and_saveexec_b32 s16, s2
	s_cbranch_execz .LBB184_29
.LBB184_32:                             ;   in Loop: Header=BB184_10 Depth=1
	v_add_nc_u32_e32 v29, s7, v25
	v_subrev_nc_u32_e32 v33, s5, v27
	v_cmp_le_i32_e64 s0, s5, v27
	v_cmp_gt_i32_e64 s1, s6, v27
	v_add_f32_e32 v37, v24, v28
	s_waitcnt lgkmcnt(0)
	v_ashrrev_i32_e32 v30, 31, v29
	v_ashrrev_i32_e32 v34, 31, v33
	s_and_b32 s0, s0, s1
	v_cndmask_b32_e32 v24, v24, v37, vcc_lo
	s_delay_alu instid0(VALU_DEP_3) | instskip(SKIP_2) | instid1(SALU_CYCLE_1)
	v_lshlrev_b64 v[31:32], 2, v[29:30]
	v_lshlrev_b64 v[29:30], 3, v[29:30]
	s_and_b32 s0, s15, s0
	v_cndmask_b32_e64 v34, 0, v34, s0
	v_cndmask_b32_e64 v33, 0x100, v33, s0
	s_delay_alu instid0(VALU_DEP_4) | instskip(NEXT) | instid1(VALU_DEP_1)
	v_add_co_u32 v35, s0, s12, v31
	v_add_co_ci_u32_e64 v36, s0, s13, v32, s0
	v_add_co_u32 v29, s0, s8, v29
	s_delay_alu instid0(VALU_DEP_1) | instskip(SKIP_1) | instid1(VALU_DEP_1)
	v_add_co_ci_u32_e64 v30, s0, s9, v30, s0
	v_add_co_u32 v31, s0, s10, v31
	v_add_co_ci_u32_e64 v32, s0, s11, v32, s0
	global_store_b32 v[35:36], v28, off
	global_store_b64 v[29:30], v[33:34], off
	global_store_b32 v[31:32], v26, off
	s_or_b32 exec_lo, exec_lo, s16
	s_add_i32 s7, s7, 1
	s_delay_alu instid0(SALU_CYCLE_1)
	s_cmp_ge_i32 s7, s4
	s_cbranch_scc1 .LBB184_9
.LBB184_33:                             ;   in Loop: Header=BB184_10 Depth=1
	v_ashrrev_i32_e32 v28, 31, v27
	s_mov_b32 s1, exec_lo
	s_delay_alu instid0(VALU_DEP_1) | instskip(NEXT) | instid1(VALU_DEP_1)
	v_lshrrev_b32_e32 v29, 29, v28
	v_add_nc_u32_e32 v29, v27, v29
	s_waitcnt lgkmcnt(0)
	s_delay_alu instid0(VALU_DEP_1) | instskip(SKIP_1) | instid1(VALU_DEP_2)
	v_ashrrev_i32_e32 v30, 31, v29
	v_ashrrev_i32_e32 v29, 3, v29
	v_lshrrev_b32_e32 v30, 27, v30
	s_delay_alu instid0(VALU_DEP_1) | instskip(NEXT) | instid1(VALU_DEP_1)
	v_add_nc_u32_e32 v30, v29, v30
	v_and_b32_e32 v30, 0xffffffe0, v30
	s_delay_alu instid0(VALU_DEP_1) | instskip(NEXT) | instid1(VALU_DEP_1)
	v_sub_nc_u32_e32 v30, v29, v30
	v_cmpx_eq_u32_e64 v17, v30
	s_cbranch_execz .LBB184_8
; %bb.34:                               ;   in Loop: Header=BB184_10 Depth=1
	v_lshrrev_b32_e32 v28, 24, v28
	v_lshlrev_b32_e32 v29, 3, v29
	s_delay_alu instid0(VALU_DEP_2) | instskip(NEXT) | instid1(VALU_DEP_2)
	v_add_nc_u32_e32 v28, v27, v28
	v_sub_nc_u32_e32 v27, v27, v29
	s_delay_alu instid0(VALU_DEP_2) | instskip(NEXT) | instid1(VALU_DEP_1)
	v_ashrrev_i32_e32 v28, 8, v28
	v_lshl_add_u32 v27, v28, 3, v27
	s_delay_alu instid0(VALU_DEP_1) | instskip(NEXT) | instid1(VALU_DEP_1)
	v_cmp_ne_u32_e64 s0, 7, v27
	v_cndmask_b32_e64 v15, 0xc61c4000, v15, s0
	v_cmp_ne_u32_e64 s0, 6, v27
	s_delay_alu instid0(VALU_DEP_1) | instskip(SKIP_1) | instid1(VALU_DEP_1)
	v_cndmask_b32_e64 v14, 0xc61c4000, v14, s0
	v_cmp_ne_u32_e64 s0, 5, v27
	v_cndmask_b32_e64 v13, 0xc61c4000, v13, s0
	v_cmp_ne_u32_e64 s0, 4, v27
	s_delay_alu instid0(VALU_DEP_1) | instskip(SKIP_1) | instid1(VALU_DEP_1)
	v_cndmask_b32_e64 v12, 0xc61c4000, v12, s0
	;; [unrolled: 5-line block ×3, first 2 shown]
	v_cmp_ne_u32_e64 s0, 1, v27
	v_cndmask_b32_e64 v9, 0xc61c4000, v9, s0
	v_cmp_ne_u32_e64 s0, 0, v27
	s_delay_alu instid0(VALU_DEP_1)
	v_cndmask_b32_e64 v8, 0xc61c4000, v8, s0
	s_branch .LBB184_8
.LBB184_35:
                                        ; implicit-def: $vgpr8_vgpr9_vgpr10_vgpr11_vgpr12_vgpr13_vgpr14_vgpr15
	s_and_not1_b32 vcc_lo, exec_lo, s8
	s_cbranch_vccz .LBB184_5
	s_branch .LBB184_6
.LBB184_36:
	v_mov_b32_e32 v24, 0
.LBB184_37:
	v_cmp_eq_u32_e64 s0, 0, v17
	s_delay_alu instid0(VALU_DEP_1) | instskip(NEXT) | instid1(SALU_CYCLE_1)
	s_and_b32 s0, s0, vcc_lo
	s_and_b32 exec_lo, exec_lo, s0
	s_cbranch_execz .LBB184_41
; %bb.38:
	s_and_not1_b32 vcc_lo, exec_lo, s3
	s_cbranch_vccnz .LBB184_41
; %bb.39:
	v_mul_lo_u32 v0, v16, s4
	v_cmp_lt_f32_e32 vcc_lo, 0, v24
	v_cndmask_b32_e32 v2, 1.0, v24, vcc_lo
	s_delay_alu instid0(VALU_DEP_3) | instskip(NEXT) | instid1(VALU_DEP_1)
	v_ashrrev_i32_e32 v1, 31, v0
	v_lshlrev_b64 v[0:1], 2, v[0:1]
	s_delay_alu instid0(VALU_DEP_1) | instskip(NEXT) | instid1(VALU_DEP_2)
	v_add_co_u32 v0, vcc_lo, s12, v0
	v_add_co_ci_u32_e32 v1, vcc_lo, s13, v1, vcc_lo
	.p2align	6
.LBB184_40:                             ; =>This Inner Loop Header: Depth=1
	global_load_b32 v3, v[0:1], off
	s_add_i32 s4, s4, -1
	s_delay_alu instid0(SALU_CYCLE_1) | instskip(SKIP_3) | instid1(VALU_DEP_2)
	s_cmp_lg_u32 s4, 0
	s_waitcnt vmcnt(0)
	v_div_scale_f32 v4, null, v2, v2, v3
	v_div_scale_f32 v7, vcc_lo, v3, v2, v3
	v_rcp_f32_e32 v5, v4
	s_waitcnt_depctr 0xfff
	v_fma_f32 v6, -v4, v5, 1.0
	s_delay_alu instid0(VALU_DEP_1) | instskip(NEXT) | instid1(VALU_DEP_1)
	v_fmac_f32_e32 v5, v6, v5
	v_mul_f32_e32 v6, v7, v5
	s_delay_alu instid0(VALU_DEP_1) | instskip(NEXT) | instid1(VALU_DEP_1)
	v_fma_f32 v8, -v4, v6, v7
	v_fmac_f32_e32 v6, v8, v5
	s_delay_alu instid0(VALU_DEP_1) | instskip(NEXT) | instid1(VALU_DEP_1)
	v_fma_f32 v4, -v4, v6, v7
	v_div_fmas_f32 v4, v4, v5, v6
	s_delay_alu instid0(VALU_DEP_1)
	v_div_fixup_f32 v3, v4, v2, v3
	global_store_b32 v[0:1], v3, off
	v_add_co_u32 v0, vcc_lo, v0, 4
	v_add_co_ci_u32_e32 v1, vcc_lo, 0, v1, vcc_lo
	s_cbranch_scc1 .LBB184_40
.LBB184_41:
	s_nop 0
	s_sendmsg sendmsg(MSG_DEALLOC_VGPRS)
	s_endpgm
	.section	.rodata,"a",@progbits
	.p2align	6, 0x0
	.amdhsa_kernel _ZN4vllm3moe10topkGatingILi8ELi256ELi4ELi16ELi64El14__hip_bfloat16LNS0_11ScoringFuncE0EEEvPKT5_PKbPfiPT4_PiiiibPKf
		.amdhsa_group_segment_fixed_size 0
		.amdhsa_private_segment_fixed_size 0
		.amdhsa_kernarg_size 72
		.amdhsa_user_sgpr_count 15
		.amdhsa_user_sgpr_dispatch_ptr 0
		.amdhsa_user_sgpr_queue_ptr 0
		.amdhsa_user_sgpr_kernarg_segment_ptr 1
		.amdhsa_user_sgpr_dispatch_id 0
		.amdhsa_user_sgpr_private_segment_size 0
		.amdhsa_wavefront_size32 1
		.amdhsa_uses_dynamic_stack 0
		.amdhsa_enable_private_segment 0
		.amdhsa_system_sgpr_workgroup_id_x 1
		.amdhsa_system_sgpr_workgroup_id_y 0
		.amdhsa_system_sgpr_workgroup_id_z 0
		.amdhsa_system_sgpr_workgroup_info 0
		.amdhsa_system_vgpr_workitem_id 1
		.amdhsa_next_free_vgpr 39
		.amdhsa_next_free_sgpr 18
		.amdhsa_reserve_vcc 1
		.amdhsa_float_round_mode_32 0
		.amdhsa_float_round_mode_16_64 0
		.amdhsa_float_denorm_mode_32 3
		.amdhsa_float_denorm_mode_16_64 3
		.amdhsa_dx10_clamp 1
		.amdhsa_ieee_mode 1
		.amdhsa_fp16_overflow 0
		.amdhsa_workgroup_processor_mode 1
		.amdhsa_memory_ordered 1
		.amdhsa_forward_progress 0
		.amdhsa_shared_vgpr_count 0
		.amdhsa_exception_fp_ieee_invalid_op 0
		.amdhsa_exception_fp_denorm_src 0
		.amdhsa_exception_fp_ieee_div_zero 0
		.amdhsa_exception_fp_ieee_overflow 0
		.amdhsa_exception_fp_ieee_underflow 0
		.amdhsa_exception_fp_ieee_inexact 0
		.amdhsa_exception_int_div_zero 0
	.end_amdhsa_kernel
	.section	.text._ZN4vllm3moe10topkGatingILi8ELi256ELi4ELi16ELi64El14__hip_bfloat16LNS0_11ScoringFuncE0EEEvPKT5_PKbPfiPT4_PiiiibPKf,"axG",@progbits,_ZN4vllm3moe10topkGatingILi8ELi256ELi4ELi16ELi64El14__hip_bfloat16LNS0_11ScoringFuncE0EEEvPKT5_PKbPfiPT4_PiiiibPKf,comdat
.Lfunc_end184:
	.size	_ZN4vllm3moe10topkGatingILi8ELi256ELi4ELi16ELi64El14__hip_bfloat16LNS0_11ScoringFuncE0EEEvPKT5_PKbPfiPT4_PiiiibPKf, .Lfunc_end184-_ZN4vllm3moe10topkGatingILi8ELi256ELi4ELi16ELi64El14__hip_bfloat16LNS0_11ScoringFuncE0EEEvPKT5_PKbPfiPT4_PiiiibPKf
                                        ; -- End function
	.section	.AMDGPU.csdata,"",@progbits
; Kernel info:
; codeLenInByte = 3592
; NumSgprs: 20
; NumVgprs: 39
; ScratchSize: 0
; MemoryBound: 0
; FloatMode: 240
; IeeeMode: 1
; LDSByteSize: 0 bytes/workgroup (compile time only)
; SGPRBlocks: 2
; VGPRBlocks: 4
; NumSGPRsForWavesPerEU: 20
; NumVGPRsForWavesPerEU: 39
; Occupancy: 16
; WaveLimiterHint : 0
; COMPUTE_PGM_RSRC2:SCRATCH_EN: 0
; COMPUTE_PGM_RSRC2:USER_SGPR: 15
; COMPUTE_PGM_RSRC2:TRAP_HANDLER: 0
; COMPUTE_PGM_RSRC2:TGID_X_EN: 1
; COMPUTE_PGM_RSRC2:TGID_Y_EN: 0
; COMPUTE_PGM_RSRC2:TGID_Z_EN: 0
; COMPUTE_PGM_RSRC2:TIDIG_COMP_CNT: 1
	.section	.text._ZN4vllm3moe10topkGatingILi8ELi256ELi4ELi16ELi32El14__hip_bfloat16LNS0_11ScoringFuncE0EEEvPKT5_PKbPfiPT4_PiiiibPKf,"axG",@progbits,_ZN4vllm3moe10topkGatingILi8ELi256ELi4ELi16ELi32El14__hip_bfloat16LNS0_11ScoringFuncE0EEEvPKT5_PKbPfiPT4_PiiiibPKf,comdat
	.protected	_ZN4vllm3moe10topkGatingILi8ELi256ELi4ELi16ELi32El14__hip_bfloat16LNS0_11ScoringFuncE0EEEvPKT5_PKbPfiPT4_PiiiibPKf ; -- Begin function _ZN4vllm3moe10topkGatingILi8ELi256ELi4ELi16ELi32El14__hip_bfloat16LNS0_11ScoringFuncE0EEEvPKT5_PKbPfiPT4_PiiiibPKf
	.globl	_ZN4vllm3moe10topkGatingILi8ELi256ELi4ELi16ELi32El14__hip_bfloat16LNS0_11ScoringFuncE0EEEvPKT5_PKbPfiPT4_PiiiibPKf
	.p2align	8
	.type	_ZN4vllm3moe10topkGatingILi8ELi256ELi4ELi16ELi32El14__hip_bfloat16LNS0_11ScoringFuncE0EEEvPKT5_PKbPfiPT4_PiiiibPKf,@function
_ZN4vllm3moe10topkGatingILi8ELi256ELi4ELi16ELi32El14__hip_bfloat16LNS0_11ScoringFuncE0EEEvPKT5_PKbPfiPT4_PiiiibPKf: ; @_ZN4vllm3moe10topkGatingILi8ELi256ELi4ELi16ELi32El14__hip_bfloat16LNS0_11ScoringFuncE0EEEvPKT5_PKbPfiPT4_PiiiibPKf
; %bb.0:
	s_load_b32 s14, s[0:1], 0x18
	v_and_b32_e32 v1, 0x3ff, v0
	v_bfe_u32 v0, v0, 10, 10
	s_lshl_b32 s2, s15, 2
	s_delay_alu instid0(VALU_DEP_2) | instskip(NEXT) | instid1(VALU_DEP_1)
	v_lshrrev_b32_e32 v2, 5, v1
	v_add3_u32 v16, s2, v0, v2
	s_mov_b32 s2, exec_lo
	s_waitcnt lgkmcnt(0)
	s_delay_alu instid0(VALU_DEP_1)
	v_cmpx_gt_i32_e64 s14, v16
	s_cbranch_execz .LBB185_41
; %bb.1:
	s_clause 0x1
	s_load_b128 s[4:7], s[0:1], 0x0
	s_load_b64 s[12:13], s[0:1], 0x10
	s_mov_b32 s8, -1
	s_mov_b32 s15, -1
	s_waitcnt lgkmcnt(0)
	s_cmp_eq_u64 s[6:7], 0
	s_cbranch_scc1 .LBB185_3
; %bb.2:
	v_ashrrev_i32_e32 v0, 31, v16
	v_add_co_u32 v2, vcc_lo, s6, v16
	s_delay_alu instid0(VALU_DEP_2) | instskip(SKIP_3) | instid1(VALU_DEP_1)
	v_add_co_ci_u32_e32 v3, vcc_lo, s7, v0, vcc_lo
	global_load_u8 v0, v[2:3], off
	s_waitcnt vmcnt(0)
	v_and_b32_e32 v0, 1, v0
	v_cmp_eq_u32_e32 vcc_lo, 1, v0
	s_xor_b32 s2, vcc_lo, -1
	s_delay_alu instid0(SALU_CYCLE_1)
	s_or_not1_b32 s15, s2, exec_lo
.LBB185_3:
	v_lshlrev_b32_e32 v2, 8, v16
	v_and_b32_e32 v17, 31, v1
	v_mbcnt_lo_u32_b32 v7, -1, 0
	s_load_b64 s[2:3], s[0:1], 0x40
	s_delay_alu instid0(VALU_DEP_3) | instskip(NEXT) | instid1(VALU_DEP_2)
	v_ashrrev_i32_e32 v3, 31, v2
	v_xor_b32_e32 v11, 8, v7
	s_delay_alu instid0(VALU_DEP_2) | instskip(SKIP_1) | instid1(VALU_DEP_2)
	v_lshlrev_b64 v[0:1], 1, v[2:3]
	v_lshlrev_b32_e32 v2, 4, v17
	v_add_co_u32 v0, vcc_lo, s4, v0
	s_delay_alu instid0(VALU_DEP_3) | instskip(NEXT) | instid1(VALU_DEP_2)
	v_add_co_ci_u32_e32 v1, vcc_lo, s5, v1, vcc_lo
	v_add_co_u32 v0, vcc_lo, v0, v2
	s_delay_alu instid0(VALU_DEP_2)
	v_add_co_ci_u32_e32 v1, vcc_lo, 0, v1, vcc_lo
	s_waitcnt lgkmcnt(0)
	s_cmp_eq_u64 s[2:3], 0
	global_load_b128 v[0:3], v[0:1], off
	s_waitcnt vmcnt(0)
	v_and_b32_e32 v4, 0xffff0000, v0
	v_lshlrev_b32_e32 v0, 16, v0
	v_lshlrev_b32_e32 v9, 16, v2
	;; [unrolled: 1-line block ×3, first 2 shown]
	v_and_b32_e32 v3, 0xffff0000, v3
	v_max_f32_e32 v5, v4, v4
	v_max_f32_e32 v6, v0, v0
	s_delay_alu instid0(VALU_DEP_1) | instskip(SKIP_1) | instid1(VALU_DEP_1)
	v_max_f32_e32 v5, v6, v5
	v_xor_b32_e32 v6, 16, v7
	v_cmp_gt_i32_e32 vcc_lo, 32, v6
	v_cndmask_b32_e32 v6, v7, v6, vcc_lo
	v_cmp_gt_i32_e32 vcc_lo, 32, v11
	v_cndmask_b32_e32 v11, v7, v11, vcc_lo
	s_delay_alu instid0(VALU_DEP_1) | instskip(SKIP_1) | instid1(VALU_DEP_1)
	v_lshlrev_b32_e32 v19, 2, v11
	v_xor_b32_e32 v11, 4, v7
	v_cmp_gt_i32_e32 vcc_lo, 32, v11
	v_lshlrev_b32_e32 v8, 16, v1
	v_and_b32_e32 v1, 0xffff0000, v1
	v_cndmask_b32_e32 v11, v7, v11, vcc_lo
	s_delay_alu instid0(VALU_DEP_2) | instskip(NEXT) | instid1(VALU_DEP_2)
	v_max3_f32 v5, v5, v8, v1
	v_lshlrev_b32_e32 v20, 2, v11
	v_xor_b32_e32 v11, 2, v7
	s_delay_alu instid0(VALU_DEP_1) | instskip(SKIP_1) | instid1(VALU_DEP_1)
	v_cmp_gt_i32_e32 vcc_lo, 32, v11
	v_dual_cndmask_b32 v11, v7, v11 :: v_dual_and_b32 v2, 0xffff0000, v2
	v_max3_f32 v5, v5, v9, v2
	s_delay_alu instid0(VALU_DEP_2) | instskip(SKIP_1) | instid1(VALU_DEP_3)
	v_lshlrev_b32_e32 v21, 2, v11
	v_xor_b32_e32 v11, 1, v7
	v_max3_f32 v5, v5, v10, v3
	s_delay_alu instid0(VALU_DEP_2) | instskip(SKIP_4) | instid1(VALU_DEP_1)
	v_cmp_gt_i32_e32 vcc_lo, 32, v11
	v_dual_cndmask_b32 v7, v7, v11 :: v_dual_lshlrev_b32 v18, 2, v6
	ds_bpermute_b32 v6, v18, v5
	s_waitcnt lgkmcnt(0)
	v_max_f32_e32 v6, v6, v6
	v_max_f32_e32 v5, v5, v6
	ds_bpermute_b32 v6, v19, v5
	s_waitcnt lgkmcnt(0)
	v_max_f32_e32 v6, v6, v6
	s_delay_alu instid0(VALU_DEP_1) | instskip(SKIP_3) | instid1(VALU_DEP_1)
	v_max_f32_e32 v5, v5, v6
	ds_bpermute_b32 v6, v20, v5
	s_waitcnt lgkmcnt(0)
	v_max_f32_e32 v6, v6, v6
	v_max_f32_e32 v5, v5, v6
	ds_bpermute_b32 v6, v21, v5
	s_waitcnt lgkmcnt(0)
	v_max_f32_e32 v6, v6, v6
	s_delay_alu instid0(VALU_DEP_1) | instskip(SKIP_3) | instid1(VALU_DEP_1)
	v_dual_max_f32 v5, v5, v6 :: v_dual_lshlrev_b32 v22, 2, v7
	ds_bpermute_b32 v6, v22, v5
	s_waitcnt lgkmcnt(0)
	v_max_f32_e32 v6, v6, v6
	v_max_f32_e32 v5, v5, v6
	s_delay_alu instid0(VALU_DEP_1) | instskip(SKIP_1) | instid1(VALU_DEP_2)
	v_sub_f32_e32 v0, v0, v5
	v_sub_f32_e32 v7, v9, v5
	v_cmp_ngt_f32_e32 vcc_lo, 0xc2ce8ed0, v0
	s_delay_alu instid0(VALU_DEP_2)
	v_mul_f32_e32 v12, 0x3fb8aa3b, v7
	v_sub_f32_e32 v4, v4, v5
	v_sub_f32_e32 v6, v8, v5
	;; [unrolled: 1-line block ×5, first 2 shown]
	v_rndne_f32_e32 v32, v12
	v_fma_f32 v31, 0x3fb8aa3b, v7, -v12
	v_dual_mul_f32 v15, 0x3fb8aa3b, v3 :: v_dual_sub_f32 v8, v10, v5
	s_delay_alu instid0(VALU_DEP_4) | instskip(SKIP_4) | instid1(VALU_DEP_3)
	v_mul_f32_e32 v13, 0x3fb8aa3b, v2
	v_mul_f32_e32 v5, 0x3fb8aa3b, v0
	v_dual_mul_f32 v9, 0x3fb8aa3b, v4 :: v_dual_mul_f32 v10, 0x3fb8aa3b, v6
	v_dual_sub_f32 v12, v12, v32 :: v_dual_mul_f32 v11, 0x3fb8aa3b, v1
	v_mul_f32_e32 v14, 0x3fb8aa3b, v8
	v_rndne_f32_e32 v26, v9
	s_delay_alu instid0(VALU_DEP_4) | instskip(SKIP_4) | instid1(VALU_DEP_4)
	v_fma_f32 v27, 0x3fb8aa3b, v6, -v10
	v_rndne_f32_e32 v28, v10
	v_fma_f32 v23, 0x3fb8aa3b, v0, -v5
	v_fma_f32 v25, 0x3fb8aa3b, v4, -v9
	v_sub_f32_e32 v9, v9, v26
	v_dual_fmac_f32 v27, 0x32a5705f, v6 :: v_dual_sub_f32 v10, v10, v28
	s_delay_alu instid0(VALU_DEP_4)
	v_fmac_f32_e32 v23, 0x32a5705f, v0
	v_rndne_f32_e32 v24, v5
	v_cvt_i32_f32_e32 v28, v28
	v_fma_f32 v29, 0x3fb8aa3b, v1, -v11
	v_add_f32_e32 v10, v10, v27
	v_fma_f32 v35, 0x3fb8aa3b, v8, -v14
	v_rndne_f32_e32 v36, v14
	v_cvt_i32_f32_e32 v26, v26
	v_fmac_f32_e32 v29, 0x32a5705f, v1
	v_exp_f32_e32 v10, v10
	v_fmac_f32_e32 v35, 0x32a5705f, v8
	v_sub_f32_e32 v14, v14, v36
	v_fmac_f32_e32 v25, 0x32a5705f, v4
	v_rndne_f32_e32 v30, v11
	v_rndne_f32_e32 v34, v13
	v_fma_f32 v33, 0x3fb8aa3b, v2, -v13
	s_delay_alu instid0(VALU_DEP_4) | instskip(SKIP_1) | instid1(TRANS32_DEP_1)
	v_dual_add_f32 v14, v14, v35 :: v_dual_add_f32 v9, v9, v25
	v_cvt_i32_f32_e32 v32, v32
	v_ldexp_f32 v10, v10, v28
	v_fmac_f32_e32 v31, 0x32a5705f, v7
	v_sub_f32_e32 v5, v5, v24
	v_cvt_i32_f32_e32 v24, v24
	v_exp_f32_e32 v9, v9
	v_exp_f32_e32 v14, v14
	v_add_f32_e32 v12, v12, v31
	v_add_f32_e32 v5, v5, v23
	v_cvt_i32_f32_e32 v23, v36
	v_fma_f32 v37, 0x3fb8aa3b, v3, -v15
	v_rndne_f32_e32 v38, v15
	v_exp_f32_e32 v12, v12
	v_exp_f32_e32 v5, v5
	v_ldexp_f32 v9, v9, v26
	s_delay_alu instid0(TRANS32_DEP_3) | instskip(SKIP_3) | instid1(TRANS32_DEP_2)
	v_ldexp_f32 v14, v14, v23
	v_fmac_f32_e32 v37, 0x32a5705f, v3
	v_cvt_i32_f32_e32 v25, v38
	v_lshlrev_b32_e32 v23, 3, v17
	v_ldexp_f32 v12, v12, v32
	s_delay_alu instid0(TRANS32_DEP_1) | instskip(NEXT) | instid1(VALU_DEP_1)
	v_ldexp_f32 v5, v5, v24
	v_cndmask_b32_e32 v5, 0, v5, vcc_lo
	v_cmp_ngt_f32_e32 vcc_lo, 0xc2ce8ed0, v4
	v_cndmask_b32_e32 v9, 0, v9, vcc_lo
	v_cmp_ngt_f32_e32 vcc_lo, 0xc2ce8ed0, v6
	v_cndmask_b32_e32 v10, 0, v10, vcc_lo
	v_cmp_nlt_f32_e32 vcc_lo, 0x42b17218, v0
	v_sub_f32_e32 v11, v11, v30
	v_cvt_i32_f32_e32 v30, v30
	v_cndmask_b32_e32 v0, 0x7f800000, v5, vcc_lo
	s_delay_alu instid0(VALU_DEP_3) | instskip(SKIP_3) | instid1(VALU_DEP_4)
	v_add_f32_e32 v11, v11, v29
	v_cmp_nlt_f32_e32 vcc_lo, 0x42b17218, v4
	v_sub_f32_e32 v13, v13, v34
	v_cvt_i32_f32_e32 v34, v34
	v_exp_f32_e32 v11, v11
	v_cndmask_b32_e32 v4, 0x7f800000, v9, vcc_lo
	v_cmp_ngt_f32_e32 vcc_lo, 0xc2ce8ed0, v1
	s_delay_alu instid0(VALU_DEP_2) | instskip(SKIP_2) | instid1(VALU_DEP_1)
	v_add_f32_e32 v9, v0, v4
	s_waitcnt_depctr 0xfff
	v_ldexp_f32 v11, v11, v30
	v_cndmask_b32_e32 v5, 0, v11, vcc_lo
	v_cmp_nlt_f32_e32 vcc_lo, 0x42b17218, v6
	v_cndmask_b32_e32 v6, 0x7f800000, v10, vcc_lo
	v_cmp_ngt_f32_e32 vcc_lo, 0xc2ce8ed0, v7
	v_dual_fmac_f32 v33, 0x32a5705f, v2 :: v_dual_cndmask_b32 v10, 0, v12
	s_delay_alu instid0(VALU_DEP_1) | instskip(SKIP_1) | instid1(VALU_DEP_2)
	v_add_f32_e32 v13, v13, v33
	v_cmp_nlt_f32_e32 vcc_lo, 0x42b17218, v1
	v_exp_f32_e32 v13, v13
	v_cndmask_b32_e32 v1, 0x7f800000, v5, vcc_lo
	v_cmp_ngt_f32_e32 vcc_lo, 0xc2ce8ed0, v2
	v_add_f32_e32 v5, v9, v6
	s_delay_alu instid0(VALU_DEP_1) | instskip(SKIP_2) | instid1(VALU_DEP_1)
	v_add_f32_e32 v5, v5, v1
	s_waitcnt_depctr 0xfff
	v_ldexp_f32 v13, v13, v34
	v_cndmask_b32_e32 v9, 0, v13, vcc_lo
	v_cmp_nlt_f32_e32 vcc_lo, 0x42b17218, v7
	v_cndmask_b32_e32 v7, 0x7f800000, v10, vcc_lo
	v_cmp_ngt_f32_e32 vcc_lo, 0xc2ce8ed0, v8
	s_delay_alu instid0(VALU_DEP_2) | instskip(SKIP_2) | instid1(VALU_DEP_1)
	v_dual_add_f32 v5, v5, v7 :: v_dual_cndmask_b32 v10, 0, v14
	v_cmp_nlt_f32_e32 vcc_lo, 0x42b17218, v2
	v_dual_sub_f32 v15, v15, v38 :: v_dual_cndmask_b32 v2, 0x7f800000, v9
	v_add_f32_e32 v15, v15, v37
	v_cmp_ngt_f32_e32 vcc_lo, 0xc2ce8ed0, v3
	s_delay_alu instid0(VALU_DEP_3) | instskip(NEXT) | instid1(VALU_DEP_3)
	v_add_f32_e32 v5, v5, v2
	v_exp_f32_e32 v15, v15
	s_waitcnt_depctr 0xfff
	v_ldexp_f32 v15, v15, v25
	s_delay_alu instid0(VALU_DEP_1) | instskip(SKIP_3) | instid1(VALU_DEP_2)
	v_cndmask_b32_e32 v9, 0, v15, vcc_lo
	v_cmp_nlt_f32_e32 vcc_lo, 0x42b17218, v8
	v_cndmask_b32_e32 v8, 0x7f800000, v10, vcc_lo
	v_cmp_nlt_f32_e32 vcc_lo, 0x42b17218, v3
	v_add_f32_e32 v5, v5, v8
	v_cndmask_b32_e32 v3, 0x7f800000, v9, vcc_lo
	s_delay_alu instid0(VALU_DEP_1)
	v_add_f32_e32 v5, v5, v3
	ds_bpermute_b32 v9, v18, v5
	s_waitcnt lgkmcnt(0)
	v_add_f32_e32 v5, v5, v9
	ds_bpermute_b32 v9, v19, v5
	s_waitcnt lgkmcnt(0)
	;; [unrolled: 3-line block ×5, first 2 shown]
	v_add_f32_e32 v5, v5, v9
	s_delay_alu instid0(VALU_DEP_1) | instskip(SKIP_1) | instid1(VALU_DEP_2)
	v_div_scale_f32 v9, null, v5, v5, 1.0
	v_div_scale_f32 v12, vcc_lo, 1.0, v5, 1.0
	v_rcp_f32_e32 v10, v9
	s_waitcnt_depctr 0xfff
	v_fma_f32 v11, -v9, v10, 1.0
	s_delay_alu instid0(VALU_DEP_1) | instskip(NEXT) | instid1(VALU_DEP_1)
	v_fmac_f32_e32 v10, v11, v10
	v_mul_f32_e32 v11, v12, v10
	s_delay_alu instid0(VALU_DEP_1) | instskip(NEXT) | instid1(VALU_DEP_1)
	v_fma_f32 v13, -v9, v11, v12
	v_fmac_f32_e32 v11, v13, v10
	s_delay_alu instid0(VALU_DEP_1) | instskip(NEXT) | instid1(VALU_DEP_1)
	v_fma_f32 v9, -v9, v11, v12
	v_div_fmas_f32 v9, v9, v10, v11
	s_delay_alu instid0(VALU_DEP_1) | instskip(NEXT) | instid1(VALU_DEP_1)
	v_div_fixup_f32 v5, v9, v5, 1.0
	v_mul_f32_e32 v4, v5, v4
	v_mul_f32_e32 v0, v5, v0
	;; [unrolled: 1-line block ×6, first 2 shown]
	v_cmp_class_f32_e64 vcc_lo, v0, 0x1f8
	v_mul_f32_e32 v10, v5, v2
	v_dual_mul_f32 v11, v5, v3 :: v_dual_cndmask_b32 v0, 0, v0
	v_cmp_class_f32_e64 vcc_lo, v4, 0x1f8
	v_cndmask_b32_e32 v1, 0, v4, vcc_lo
	v_cmp_class_f32_e64 vcc_lo, v6, 0x1f8
	v_cndmask_b32_e32 v2, 0, v6, vcc_lo
	;; [unrolled: 2-line block ×7, first 2 shown]
	s_cbranch_scc1 .LBB185_35
; %bb.4:
	v_lshlrev_b32_e32 v12, 2, v23
	s_clause 0x1
	global_load_b128 v[8:11], v12, s[2:3]
	global_load_b128 v[12:15], v12, s[2:3] offset:16
	s_waitcnt vmcnt(1)
	v_dual_add_f32 v9, v9, v1 :: v_dual_add_f32 v8, v8, v0
	v_dual_add_f32 v11, v11, v3 :: v_dual_add_f32 v10, v10, v2
	s_waitcnt vmcnt(0)
	v_dual_add_f32 v13, v13, v5 :: v_dual_add_f32 v12, v12, v4
	v_dual_add_f32 v15, v15, v7 :: v_dual_add_f32 v14, v14, v6
	s_cbranch_execnz .LBB185_6
.LBB185_5:
	v_dual_mov_b32 v15, v7 :: v_dual_mov_b32 v14, v6
	v_dual_mov_b32 v13, v5 :: v_dual_mov_b32 v12, v4
	;; [unrolled: 1-line block ×4, first 2 shown]
.LBB185_6:
	s_load_b128 s[4:7], s[0:1], 0x30
	v_cmp_eq_u32_e64 s2, 0, v17
	s_waitcnt lgkmcnt(0)
	s_bitcmp1_b32 s7, 0
	s_mov_b32 s7, 0
	s_cselect_b32 vcc_lo, -1, 0
	s_cmp_gt_i32 s4, 0
	s_cselect_b32 s3, -1, 0
	s_cmp_lt_i32 s4, 1
	s_cbranch_scc1 .LBB185_36
; %bb.7:
	s_load_b128 s[8:11], s[0:1], 0x20
	v_mul_lo_u32 v25, v16, s4
	v_mov_b32_e32 v24, 0
	v_mov_b32_e32 v26, v16
	s_branch .LBB185_10
.LBB185_8:                              ;   in Loop: Header=BB185_10 Depth=1
	s_or_b32 exec_lo, exec_lo, s1
.LBB185_9:                              ;   in Loop: Header=BB185_10 Depth=1
	v_add_nc_u32_e32 v26, s14, v26
	s_cmp_eq_u32 s4, s7
	s_cbranch_scc1 .LBB185_37
.LBB185_10:                             ; =>This Inner Loop Header: Depth=1
	v_cmp_gt_f32_e64 s0, v9, v8
	s_mov_b32 s17, exec_lo
	s_delay_alu instid0(VALU_DEP_1) | instskip(SKIP_2) | instid1(VALU_DEP_3)
	v_cndmask_b32_e64 v27, v8, v9, s0
	v_cndmask_b32_e64 v28, 0, 1, s0
	;; [unrolled: 1-line block ×3, first 2 shown]
	v_cmp_gt_f32_e64 s1, v10, v27
	s_delay_alu instid0(VALU_DEP_1) | instskip(NEXT) | instid1(VALU_DEP_4)
	v_cndmask_b32_e64 v27, v27, v10, s1
	v_cndmask_b32_e64 v28, v28, 2, s1
	s_delay_alu instid0(VALU_DEP_4) | instskip(NEXT) | instid1(VALU_DEP_3)
	v_cndmask_b32_e64 v29, v29, v2, s1
	v_cmp_gt_f32_e64 s0, v11, v27
	s_delay_alu instid0(VALU_DEP_1) | instskip(NEXT) | instid1(VALU_DEP_4)
	v_cndmask_b32_e64 v27, v27, v11, s0
	v_cndmask_b32_e64 v28, v28, 3, s0
	s_delay_alu instid0(VALU_DEP_4) | instskip(NEXT) | instid1(VALU_DEP_3)
	v_cndmask_b32_e64 v29, v29, v3, s0
	;; [unrolled: 6-line block ×4, first 2 shown]
	v_cmp_gt_f32_e64 s1, v14, v27
	s_delay_alu instid0(VALU_DEP_1) | instskip(NEXT) | instid1(VALU_DEP_4)
	v_cndmask_b32_e64 v27, v27, v14, s1
	v_cndmask_b32_e64 v28, v28, 6, s1
	s_waitcnt lgkmcnt(0)
	v_cndmask_b32_e64 v30, v29, v6, s1
	s_delay_alu instid0(VALU_DEP_3) | instskip(NEXT) | instid1(VALU_DEP_1)
	v_cmp_gt_f32_e64 s0, v15, v27
	v_cndmask_b32_e64 v29, v27, v15, s0
	v_cndmask_b32_e64 v27, v28, 7, s0
	s_delay_alu instid0(VALU_DEP_4)
	v_cndmask_b32_e64 v28, v30, v7, s0
	ds_bpermute_b32 v30, v18, v29
	v_or_b32_e32 v27, v23, v27
	ds_bpermute_b32 v32, v18, v28
	ds_bpermute_b32 v31, v18, v27
	s_waitcnt lgkmcnt(0)
	v_cmp_lt_f32_e64 s16, v29, v30
	v_cmpx_nlt_f32_e32 v29, v30
; %bb.11:                               ;   in Loop: Header=BB185_10 Depth=1
	v_cmp_eq_f32_e64 s0, v29, v30
	v_cmp_lt_i32_e64 s1, v31, v27
	s_delay_alu instid0(VALU_DEP_1) | instskip(SKIP_2) | instid1(SALU_CYCLE_1)
	s_and_b32 s0, s0, s1
	s_and_not1_b32 s1, s16, exec_lo
	s_and_b32 s0, s0, exec_lo
	s_or_b32 s16, s1, s0
; %bb.12:                               ;   in Loop: Header=BB185_10 Depth=1
	s_or_b32 exec_lo, exec_lo, s17
	s_and_saveexec_b32 s0, s16
; %bb.13:                               ;   in Loop: Header=BB185_10 Depth=1
	v_dual_mov_b32 v28, v32 :: v_dual_mov_b32 v29, v30
	v_mov_b32_e32 v27, v31
; %bb.14:                               ;   in Loop: Header=BB185_10 Depth=1
	s_or_b32 exec_lo, exec_lo, s0
	ds_bpermute_b32 v31, v19, v29
	ds_bpermute_b32 v32, v19, v28
	;; [unrolled: 1-line block ×3, first 2 shown]
	s_mov_b32 s17, exec_lo
	s_waitcnt lgkmcnt(2)
	v_cmp_lt_f32_e64 s16, v29, v31
	v_cmpx_nlt_f32_e32 v29, v31
	s_cbranch_execz .LBB185_16
; %bb.15:                               ;   in Loop: Header=BB185_10 Depth=1
	v_cmp_eq_f32_e64 s0, v29, v31
	s_waitcnt lgkmcnt(0)
	v_cmp_lt_i32_e64 s1, v30, v27
	s_delay_alu instid0(VALU_DEP_1) | instskip(SKIP_2) | instid1(SALU_CYCLE_1)
	s_and_b32 s0, s0, s1
	s_and_not1_b32 s1, s16, exec_lo
	s_and_b32 s0, s0, exec_lo
	s_or_b32 s16, s1, s0
.LBB185_16:                             ;   in Loop: Header=BB185_10 Depth=1
	s_or_b32 exec_lo, exec_lo, s17
	s_delay_alu instid0(VALU_DEP_2)
	s_and_saveexec_b32 s0, s16
	s_cbranch_execz .LBB185_18
; %bb.17:                               ;   in Loop: Header=BB185_10 Depth=1
	s_waitcnt lgkmcnt(1)
	v_dual_mov_b32 v28, v32 :: v_dual_mov_b32 v29, v31
	s_waitcnt lgkmcnt(0)
	v_mov_b32_e32 v27, v30
.LBB185_18:                             ;   in Loop: Header=BB185_10 Depth=1
	s_or_b32 exec_lo, exec_lo, s0
	ds_bpermute_b32 v31, v20, v29
	s_waitcnt lgkmcnt(2)
	ds_bpermute_b32 v32, v20, v28
	s_waitcnt lgkmcnt(2)
	ds_bpermute_b32 v30, v20, v27
	s_mov_b32 s17, exec_lo
	s_waitcnt lgkmcnt(2)
	v_cmp_lt_f32_e64 s16, v29, v31
	v_cmpx_nlt_f32_e32 v29, v31
	s_cbranch_execz .LBB185_20
; %bb.19:                               ;   in Loop: Header=BB185_10 Depth=1
	v_cmp_eq_f32_e64 s0, v29, v31
	s_waitcnt lgkmcnt(0)
	v_cmp_lt_i32_e64 s1, v30, v27
	s_delay_alu instid0(VALU_DEP_1) | instskip(SKIP_2) | instid1(SALU_CYCLE_1)
	s_and_b32 s0, s0, s1
	s_and_not1_b32 s1, s16, exec_lo
	s_and_b32 s0, s0, exec_lo
	s_or_b32 s16, s1, s0
.LBB185_20:                             ;   in Loop: Header=BB185_10 Depth=1
	s_or_b32 exec_lo, exec_lo, s17
	s_delay_alu instid0(VALU_DEP_2)
	s_and_saveexec_b32 s0, s16
	s_cbranch_execz .LBB185_22
; %bb.21:                               ;   in Loop: Header=BB185_10 Depth=1
	s_waitcnt lgkmcnt(1)
	v_dual_mov_b32 v28, v32 :: v_dual_mov_b32 v29, v31
	s_waitcnt lgkmcnt(0)
	v_mov_b32_e32 v27, v30
.LBB185_22:                             ;   in Loop: Header=BB185_10 Depth=1
	s_or_b32 exec_lo, exec_lo, s0
	ds_bpermute_b32 v31, v21, v29
	s_waitcnt lgkmcnt(2)
	ds_bpermute_b32 v32, v21, v28
	s_waitcnt lgkmcnt(2)
	ds_bpermute_b32 v30, v21, v27
	s_mov_b32 s17, exec_lo
	s_waitcnt lgkmcnt(2)
	v_cmp_lt_f32_e64 s16, v29, v31
	v_cmpx_nlt_f32_e32 v29, v31
	s_cbranch_execz .LBB185_24
; %bb.23:                               ;   in Loop: Header=BB185_10 Depth=1
	v_cmp_eq_f32_e64 s0, v29, v31
	s_waitcnt lgkmcnt(0)
	v_cmp_lt_i32_e64 s1, v30, v27
	s_delay_alu instid0(VALU_DEP_1) | instskip(SKIP_2) | instid1(SALU_CYCLE_1)
	s_and_b32 s0, s0, s1
	s_and_not1_b32 s1, s16, exec_lo
	s_and_b32 s0, s0, exec_lo
	s_or_b32 s16, s1, s0
.LBB185_24:                             ;   in Loop: Header=BB185_10 Depth=1
	s_or_b32 exec_lo, exec_lo, s17
	s_delay_alu instid0(VALU_DEP_2)
	s_and_saveexec_b32 s0, s16
	s_cbranch_execz .LBB185_26
; %bb.25:                               ;   in Loop: Header=BB185_10 Depth=1
	s_waitcnt lgkmcnt(1)
	v_dual_mov_b32 v28, v32 :: v_dual_mov_b32 v29, v31
	s_waitcnt lgkmcnt(0)
	v_mov_b32_e32 v27, v30
.LBB185_26:                             ;   in Loop: Header=BB185_10 Depth=1
	s_or_b32 exec_lo, exec_lo, s0
	s_waitcnt lgkmcnt(1)
	ds_bpermute_b32 v32, v22, v29
	ds_bpermute_b32 v31, v22, v28
	s_waitcnt lgkmcnt(2)
	ds_bpermute_b32 v30, v22, v27
	s_mov_b32 s17, exec_lo
	s_waitcnt lgkmcnt(2)
	v_cmp_lt_f32_e64 s16, v29, v32
	v_cmpx_nlt_f32_e32 v29, v32
	s_cbranch_execnz .LBB185_30
; %bb.27:                               ;   in Loop: Header=BB185_10 Depth=1
	s_or_b32 exec_lo, exec_lo, s17
	s_delay_alu instid0(VALU_DEP_2)
	s_and_saveexec_b32 s0, s16
	s_cbranch_execnz .LBB185_31
.LBB185_28:                             ;   in Loop: Header=BB185_10 Depth=1
	s_or_b32 exec_lo, exec_lo, s0
	s_and_saveexec_b32 s16, s2
	s_cbranch_execnz .LBB185_32
.LBB185_29:                             ;   in Loop: Header=BB185_10 Depth=1
	s_or_b32 exec_lo, exec_lo, s16
	s_add_i32 s7, s7, 1
	s_delay_alu instid0(SALU_CYCLE_1)
	s_cmp_ge_i32 s7, s4
	s_cbranch_scc1 .LBB185_9
	s_branch .LBB185_33
.LBB185_30:                             ;   in Loop: Header=BB185_10 Depth=1
	v_cmp_eq_f32_e64 s0, v29, v32
	s_waitcnt lgkmcnt(0)
	v_cmp_lt_i32_e64 s1, v30, v27
	s_delay_alu instid0(VALU_DEP_1) | instskip(SKIP_2) | instid1(SALU_CYCLE_1)
	s_and_b32 s0, s0, s1
	s_and_not1_b32 s1, s16, exec_lo
	s_and_b32 s0, s0, exec_lo
	s_or_b32 s16, s1, s0
	s_or_b32 exec_lo, exec_lo, s17
	s_and_saveexec_b32 s0, s16
	s_cbranch_execz .LBB185_28
.LBB185_31:                             ;   in Loop: Header=BB185_10 Depth=1
	s_waitcnt lgkmcnt(0)
	v_dual_mov_b32 v28, v31 :: v_dual_mov_b32 v27, v30
	s_or_b32 exec_lo, exec_lo, s0
	s_and_saveexec_b32 s16, s2
	s_cbranch_execz .LBB185_29
.LBB185_32:                             ;   in Loop: Header=BB185_10 Depth=1
	v_add_nc_u32_e32 v29, s7, v25
	v_subrev_nc_u32_e32 v33, s5, v27
	v_cmp_le_i32_e64 s0, s5, v27
	v_cmp_gt_i32_e64 s1, s6, v27
	v_add_f32_e32 v37, v24, v28
	s_waitcnt lgkmcnt(0)
	v_ashrrev_i32_e32 v30, 31, v29
	v_ashrrev_i32_e32 v34, 31, v33
	s_and_b32 s0, s0, s1
	v_cndmask_b32_e32 v24, v24, v37, vcc_lo
	s_delay_alu instid0(VALU_DEP_3) | instskip(SKIP_2) | instid1(SALU_CYCLE_1)
	v_lshlrev_b64 v[31:32], 2, v[29:30]
	v_lshlrev_b64 v[29:30], 3, v[29:30]
	s_and_b32 s0, s15, s0
	v_cndmask_b32_e64 v34, 0, v34, s0
	v_cndmask_b32_e64 v33, 0x100, v33, s0
	s_delay_alu instid0(VALU_DEP_4) | instskip(NEXT) | instid1(VALU_DEP_1)
	v_add_co_u32 v35, s0, s12, v31
	v_add_co_ci_u32_e64 v36, s0, s13, v32, s0
	v_add_co_u32 v29, s0, s8, v29
	s_delay_alu instid0(VALU_DEP_1) | instskip(SKIP_1) | instid1(VALU_DEP_1)
	v_add_co_ci_u32_e64 v30, s0, s9, v30, s0
	v_add_co_u32 v31, s0, s10, v31
	v_add_co_ci_u32_e64 v32, s0, s11, v32, s0
	global_store_b32 v[35:36], v28, off
	global_store_b64 v[29:30], v[33:34], off
	global_store_b32 v[31:32], v26, off
	s_or_b32 exec_lo, exec_lo, s16
	s_add_i32 s7, s7, 1
	s_delay_alu instid0(SALU_CYCLE_1)
	s_cmp_ge_i32 s7, s4
	s_cbranch_scc1 .LBB185_9
.LBB185_33:                             ;   in Loop: Header=BB185_10 Depth=1
	v_ashrrev_i32_e32 v28, 31, v27
	s_mov_b32 s1, exec_lo
	s_delay_alu instid0(VALU_DEP_1) | instskip(NEXT) | instid1(VALU_DEP_1)
	v_lshrrev_b32_e32 v29, 29, v28
	v_add_nc_u32_e32 v29, v27, v29
	s_waitcnt lgkmcnt(0)
	s_delay_alu instid0(VALU_DEP_1) | instskip(SKIP_1) | instid1(VALU_DEP_2)
	v_ashrrev_i32_e32 v30, 31, v29
	v_ashrrev_i32_e32 v29, 3, v29
	v_lshrrev_b32_e32 v30, 27, v30
	s_delay_alu instid0(VALU_DEP_1) | instskip(NEXT) | instid1(VALU_DEP_1)
	v_add_nc_u32_e32 v30, v29, v30
	v_and_b32_e32 v30, 0xffffffe0, v30
	s_delay_alu instid0(VALU_DEP_1) | instskip(NEXT) | instid1(VALU_DEP_1)
	v_sub_nc_u32_e32 v30, v29, v30
	v_cmpx_eq_u32_e64 v17, v30
	s_cbranch_execz .LBB185_8
; %bb.34:                               ;   in Loop: Header=BB185_10 Depth=1
	v_lshrrev_b32_e32 v28, 24, v28
	v_lshlrev_b32_e32 v29, 3, v29
	s_delay_alu instid0(VALU_DEP_2) | instskip(NEXT) | instid1(VALU_DEP_2)
	v_add_nc_u32_e32 v28, v27, v28
	v_sub_nc_u32_e32 v27, v27, v29
	s_delay_alu instid0(VALU_DEP_2) | instskip(NEXT) | instid1(VALU_DEP_1)
	v_ashrrev_i32_e32 v28, 8, v28
	v_lshl_add_u32 v27, v28, 3, v27
	s_delay_alu instid0(VALU_DEP_1) | instskip(NEXT) | instid1(VALU_DEP_1)
	v_cmp_ne_u32_e64 s0, 7, v27
	v_cndmask_b32_e64 v15, 0xc61c4000, v15, s0
	v_cmp_ne_u32_e64 s0, 6, v27
	s_delay_alu instid0(VALU_DEP_1) | instskip(SKIP_1) | instid1(VALU_DEP_1)
	v_cndmask_b32_e64 v14, 0xc61c4000, v14, s0
	v_cmp_ne_u32_e64 s0, 5, v27
	v_cndmask_b32_e64 v13, 0xc61c4000, v13, s0
	v_cmp_ne_u32_e64 s0, 4, v27
	s_delay_alu instid0(VALU_DEP_1) | instskip(SKIP_1) | instid1(VALU_DEP_1)
	v_cndmask_b32_e64 v12, 0xc61c4000, v12, s0
	;; [unrolled: 5-line block ×3, first 2 shown]
	v_cmp_ne_u32_e64 s0, 1, v27
	v_cndmask_b32_e64 v9, 0xc61c4000, v9, s0
	v_cmp_ne_u32_e64 s0, 0, v27
	s_delay_alu instid0(VALU_DEP_1)
	v_cndmask_b32_e64 v8, 0xc61c4000, v8, s0
	s_branch .LBB185_8
.LBB185_35:
                                        ; implicit-def: $vgpr8_vgpr9_vgpr10_vgpr11_vgpr12_vgpr13_vgpr14_vgpr15
	s_and_not1_b32 vcc_lo, exec_lo, s8
	s_cbranch_vccz .LBB185_5
	s_branch .LBB185_6
.LBB185_36:
	v_mov_b32_e32 v24, 0
.LBB185_37:
	v_cmp_eq_u32_e64 s0, 0, v17
	s_delay_alu instid0(VALU_DEP_1) | instskip(NEXT) | instid1(SALU_CYCLE_1)
	s_and_b32 s0, s0, vcc_lo
	s_and_b32 exec_lo, exec_lo, s0
	s_cbranch_execz .LBB185_41
; %bb.38:
	s_and_not1_b32 vcc_lo, exec_lo, s3
	s_cbranch_vccnz .LBB185_41
; %bb.39:
	v_mul_lo_u32 v0, v16, s4
	v_cmp_lt_f32_e32 vcc_lo, 0, v24
	v_cndmask_b32_e32 v2, 1.0, v24, vcc_lo
	s_delay_alu instid0(VALU_DEP_3) | instskip(NEXT) | instid1(VALU_DEP_1)
	v_ashrrev_i32_e32 v1, 31, v0
	v_lshlrev_b64 v[0:1], 2, v[0:1]
	s_delay_alu instid0(VALU_DEP_1) | instskip(NEXT) | instid1(VALU_DEP_2)
	v_add_co_u32 v0, vcc_lo, s12, v0
	v_add_co_ci_u32_e32 v1, vcc_lo, s13, v1, vcc_lo
	.p2align	6
.LBB185_40:                             ; =>This Inner Loop Header: Depth=1
	global_load_b32 v3, v[0:1], off
	s_add_i32 s4, s4, -1
	s_delay_alu instid0(SALU_CYCLE_1) | instskip(SKIP_3) | instid1(VALU_DEP_2)
	s_cmp_lg_u32 s4, 0
	s_waitcnt vmcnt(0)
	v_div_scale_f32 v4, null, v2, v2, v3
	v_div_scale_f32 v7, vcc_lo, v3, v2, v3
	v_rcp_f32_e32 v5, v4
	s_waitcnt_depctr 0xfff
	v_fma_f32 v6, -v4, v5, 1.0
	s_delay_alu instid0(VALU_DEP_1) | instskip(NEXT) | instid1(VALU_DEP_1)
	v_fmac_f32_e32 v5, v6, v5
	v_mul_f32_e32 v6, v7, v5
	s_delay_alu instid0(VALU_DEP_1) | instskip(NEXT) | instid1(VALU_DEP_1)
	v_fma_f32 v8, -v4, v6, v7
	v_fmac_f32_e32 v6, v8, v5
	s_delay_alu instid0(VALU_DEP_1) | instskip(NEXT) | instid1(VALU_DEP_1)
	v_fma_f32 v4, -v4, v6, v7
	v_div_fmas_f32 v4, v4, v5, v6
	s_delay_alu instid0(VALU_DEP_1)
	v_div_fixup_f32 v3, v4, v2, v3
	global_store_b32 v[0:1], v3, off
	v_add_co_u32 v0, vcc_lo, v0, 4
	v_add_co_ci_u32_e32 v1, vcc_lo, 0, v1, vcc_lo
	s_cbranch_scc1 .LBB185_40
.LBB185_41:
	s_nop 0
	s_sendmsg sendmsg(MSG_DEALLOC_VGPRS)
	s_endpgm
	.section	.rodata,"a",@progbits
	.p2align	6, 0x0
	.amdhsa_kernel _ZN4vllm3moe10topkGatingILi8ELi256ELi4ELi16ELi32El14__hip_bfloat16LNS0_11ScoringFuncE0EEEvPKT5_PKbPfiPT4_PiiiibPKf
		.amdhsa_group_segment_fixed_size 0
		.amdhsa_private_segment_fixed_size 0
		.amdhsa_kernarg_size 72
		.amdhsa_user_sgpr_count 15
		.amdhsa_user_sgpr_dispatch_ptr 0
		.amdhsa_user_sgpr_queue_ptr 0
		.amdhsa_user_sgpr_kernarg_segment_ptr 1
		.amdhsa_user_sgpr_dispatch_id 0
		.amdhsa_user_sgpr_private_segment_size 0
		.amdhsa_wavefront_size32 1
		.amdhsa_uses_dynamic_stack 0
		.amdhsa_enable_private_segment 0
		.amdhsa_system_sgpr_workgroup_id_x 1
		.amdhsa_system_sgpr_workgroup_id_y 0
		.amdhsa_system_sgpr_workgroup_id_z 0
		.amdhsa_system_sgpr_workgroup_info 0
		.amdhsa_system_vgpr_workitem_id 1
		.amdhsa_next_free_vgpr 39
		.amdhsa_next_free_sgpr 18
		.amdhsa_reserve_vcc 1
		.amdhsa_float_round_mode_32 0
		.amdhsa_float_round_mode_16_64 0
		.amdhsa_float_denorm_mode_32 3
		.amdhsa_float_denorm_mode_16_64 3
		.amdhsa_dx10_clamp 1
		.amdhsa_ieee_mode 1
		.amdhsa_fp16_overflow 0
		.amdhsa_workgroup_processor_mode 1
		.amdhsa_memory_ordered 1
		.amdhsa_forward_progress 0
		.amdhsa_shared_vgpr_count 0
		.amdhsa_exception_fp_ieee_invalid_op 0
		.amdhsa_exception_fp_denorm_src 0
		.amdhsa_exception_fp_ieee_div_zero 0
		.amdhsa_exception_fp_ieee_overflow 0
		.amdhsa_exception_fp_ieee_underflow 0
		.amdhsa_exception_fp_ieee_inexact 0
		.amdhsa_exception_int_div_zero 0
	.end_amdhsa_kernel
	.section	.text._ZN4vllm3moe10topkGatingILi8ELi256ELi4ELi16ELi32El14__hip_bfloat16LNS0_11ScoringFuncE0EEEvPKT5_PKbPfiPT4_PiiiibPKf,"axG",@progbits,_ZN4vllm3moe10topkGatingILi8ELi256ELi4ELi16ELi32El14__hip_bfloat16LNS0_11ScoringFuncE0EEEvPKT5_PKbPfiPT4_PiiiibPKf,comdat
.Lfunc_end185:
	.size	_ZN4vllm3moe10topkGatingILi8ELi256ELi4ELi16ELi32El14__hip_bfloat16LNS0_11ScoringFuncE0EEEvPKT5_PKbPfiPT4_PiiiibPKf, .Lfunc_end185-_ZN4vllm3moe10topkGatingILi8ELi256ELi4ELi16ELi32El14__hip_bfloat16LNS0_11ScoringFuncE0EEEvPKT5_PKbPfiPT4_PiiiibPKf
                                        ; -- End function
	.section	.AMDGPU.csdata,"",@progbits
; Kernel info:
; codeLenInByte = 3600
; NumSgprs: 20
; NumVgprs: 39
; ScratchSize: 0
; MemoryBound: 0
; FloatMode: 240
; IeeeMode: 1
; LDSByteSize: 0 bytes/workgroup (compile time only)
; SGPRBlocks: 2
; VGPRBlocks: 4
; NumSGPRsForWavesPerEU: 20
; NumVGPRsForWavesPerEU: 39
; Occupancy: 16
; WaveLimiterHint : 0
; COMPUTE_PGM_RSRC2:SCRATCH_EN: 0
; COMPUTE_PGM_RSRC2:USER_SGPR: 15
; COMPUTE_PGM_RSRC2:TRAP_HANDLER: 0
; COMPUTE_PGM_RSRC2:TGID_X_EN: 1
; COMPUTE_PGM_RSRC2:TGID_Y_EN: 0
; COMPUTE_PGM_RSRC2:TGID_Z_EN: 0
; COMPUTE_PGM_RSRC2:TIDIG_COMP_CNT: 1
	.section	.text._ZN4vllm3moe10topkGatingILi8ELi512ELi4ELi16ELi64El14__hip_bfloat16LNS0_11ScoringFuncE0EEEvPKT5_PKbPfiPT4_PiiiibPKf,"axG",@progbits,_ZN4vllm3moe10topkGatingILi8ELi512ELi4ELi16ELi64El14__hip_bfloat16LNS0_11ScoringFuncE0EEEvPKT5_PKbPfiPT4_PiiiibPKf,comdat
	.protected	_ZN4vllm3moe10topkGatingILi8ELi512ELi4ELi16ELi64El14__hip_bfloat16LNS0_11ScoringFuncE0EEEvPKT5_PKbPfiPT4_PiiiibPKf ; -- Begin function _ZN4vllm3moe10topkGatingILi8ELi512ELi4ELi16ELi64El14__hip_bfloat16LNS0_11ScoringFuncE0EEEvPKT5_PKbPfiPT4_PiiiibPKf
	.globl	_ZN4vllm3moe10topkGatingILi8ELi512ELi4ELi16ELi64El14__hip_bfloat16LNS0_11ScoringFuncE0EEEvPKT5_PKbPfiPT4_PiiiibPKf
	.p2align	8
	.type	_ZN4vllm3moe10topkGatingILi8ELi512ELi4ELi16ELi64El14__hip_bfloat16LNS0_11ScoringFuncE0EEEvPKT5_PKbPfiPT4_PiiiibPKf,@function
_ZN4vllm3moe10topkGatingILi8ELi512ELi4ELi16ELi64El14__hip_bfloat16LNS0_11ScoringFuncE0EEEvPKT5_PKbPfiPT4_PiiiibPKf: ; @_ZN4vllm3moe10topkGatingILi8ELi512ELi4ELi16ELi64El14__hip_bfloat16LNS0_11ScoringFuncE0EEEvPKT5_PKbPfiPT4_PiiiibPKf
; %bb.0:
	s_load_b32 s14, s[0:1], 0x18
	v_and_b32_e32 v1, 0x3ff, v0
	v_bfe_u32 v0, v0, 10, 10
	s_lshl_b32 s2, s15, 2
	s_delay_alu instid0(VALU_DEP_2) | instskip(NEXT) | instid1(VALU_DEP_1)
	v_lshrrev_b32_e32 v2, 6, v1
	v_add3_u32 v16, s2, v0, v2
	s_mov_b32 s2, exec_lo
	s_waitcnt lgkmcnt(0)
	s_delay_alu instid0(VALU_DEP_1)
	v_cmpx_gt_i32_e64 s14, v16
	s_cbranch_execz .LBB186_45
; %bb.1:
	s_clause 0x1
	s_load_b128 s[4:7], s[0:1], 0x0
	s_load_b64 s[12:13], s[0:1], 0x10
	s_mov_b32 s8, -1
	s_mov_b32 s15, -1
	s_waitcnt lgkmcnt(0)
	s_cmp_eq_u64 s[6:7], 0
	s_cbranch_scc1 .LBB186_3
; %bb.2:
	v_ashrrev_i32_e32 v0, 31, v16
	v_add_co_u32 v2, vcc_lo, s6, v16
	s_delay_alu instid0(VALU_DEP_2) | instskip(SKIP_3) | instid1(VALU_DEP_1)
	v_add_co_ci_u32_e32 v3, vcc_lo, s7, v0, vcc_lo
	global_load_u8 v0, v[2:3], off
	s_waitcnt vmcnt(0)
	v_and_b32_e32 v0, 1, v0
	v_cmp_eq_u32_e32 vcc_lo, 1, v0
	s_xor_b32 s2, vcc_lo, -1
	s_delay_alu instid0(SALU_CYCLE_1)
	s_or_not1_b32 s15, s2, exec_lo
.LBB186_3:
	v_lshlrev_b32_e32 v2, 9, v16
	v_and_b32_e32 v17, 63, v1
	v_mbcnt_lo_u32_b32 v7, -1, 0
	s_load_b64 s[2:3], s[0:1], 0x40
	s_delay_alu instid0(VALU_DEP_3) | instskip(NEXT) | instid1(VALU_DEP_2)
	v_ashrrev_i32_e32 v3, 31, v2
	v_xor_b32_e32 v11, 16, v7
	s_delay_alu instid0(VALU_DEP_2) | instskip(SKIP_1) | instid1(VALU_DEP_2)
	v_lshlrev_b64 v[0:1], 1, v[2:3]
	v_lshlrev_b32_e32 v2, 4, v17
	v_add_co_u32 v0, vcc_lo, s4, v0
	s_delay_alu instid0(VALU_DEP_3) | instskip(NEXT) | instid1(VALU_DEP_2)
	v_add_co_ci_u32_e32 v1, vcc_lo, s5, v1, vcc_lo
	v_add_co_u32 v0, vcc_lo, v0, v2
	s_delay_alu instid0(VALU_DEP_2)
	v_add_co_ci_u32_e32 v1, vcc_lo, 0, v1, vcc_lo
	s_waitcnt lgkmcnt(0)
	s_cmp_eq_u64 s[2:3], 0
	global_load_b128 v[0:3], v[0:1], off
	s_waitcnt vmcnt(0)
	v_and_b32_e32 v4, 0xffff0000, v0
	v_lshlrev_b32_e32 v0, 16, v0
	v_lshlrev_b32_e32 v9, 16, v2
	;; [unrolled: 1-line block ×3, first 2 shown]
	v_and_b32_e32 v3, 0xffff0000, v3
	v_max_f32_e32 v5, v4, v4
	v_max_f32_e32 v6, v0, v0
	s_delay_alu instid0(VALU_DEP_1) | instskip(SKIP_1) | instid1(VALU_DEP_1)
	v_max_f32_e32 v5, v6, v5
	v_or_b32_e32 v6, 32, v7
	v_cmp_gt_i32_e32 vcc_lo, 64, v6
	v_cndmask_b32_e32 v6, v7, v6, vcc_lo
	v_cmp_gt_i32_e32 vcc_lo, 64, v11
	v_cndmask_b32_e32 v11, v7, v11, vcc_lo
	s_delay_alu instid0(VALU_DEP_1) | instskip(SKIP_1) | instid1(VALU_DEP_1)
	v_lshlrev_b32_e32 v19, 2, v11
	v_xor_b32_e32 v11, 8, v7
	v_cmp_gt_i32_e32 vcc_lo, 64, v11
	v_lshlrev_b32_e32 v8, 16, v1
	v_and_b32_e32 v1, 0xffff0000, v1
	v_cndmask_b32_e32 v11, v7, v11, vcc_lo
	s_delay_alu instid0(VALU_DEP_2) | instskip(NEXT) | instid1(VALU_DEP_2)
	v_max3_f32 v5, v5, v8, v1
	v_lshlrev_b32_e32 v20, 2, v11
	v_xor_b32_e32 v11, 4, v7
	s_delay_alu instid0(VALU_DEP_1) | instskip(SKIP_1) | instid1(VALU_DEP_1)
	v_cmp_gt_i32_e32 vcc_lo, 64, v11
	v_dual_cndmask_b32 v11, v7, v11 :: v_dual_and_b32 v2, 0xffff0000, v2
	v_max3_f32 v5, v5, v9, v2
	s_delay_alu instid0(VALU_DEP_2) | instskip(SKIP_1) | instid1(VALU_DEP_3)
	v_lshlrev_b32_e32 v21, 2, v11
	v_xor_b32_e32 v11, 2, v7
	v_max3_f32 v5, v5, v10, v3
	s_delay_alu instid0(VALU_DEP_2) | instskip(SKIP_4) | instid1(VALU_DEP_1)
	v_cmp_gt_i32_e32 vcc_lo, 64, v11
	v_dual_cndmask_b32 v11, v7, v11 :: v_dual_lshlrev_b32 v18, 2, v6
	ds_bpermute_b32 v6, v18, v5
	v_lshlrev_b32_e32 v22, 2, v11
	v_xor_b32_e32 v11, 1, v7
	v_cmp_gt_i32_e32 vcc_lo, 64, v11
	s_waitcnt lgkmcnt(0)
	v_dual_cndmask_b32 v7, v7, v11 :: v_dual_max_f32 v6, v6, v6
	s_delay_alu instid0(VALU_DEP_1) | instskip(NEXT) | instid1(VALU_DEP_2)
	v_lshlrev_b32_e32 v23, 2, v7
	v_max_f32_e32 v5, v5, v6
	ds_bpermute_b32 v6, v19, v5
	s_waitcnt lgkmcnt(0)
	v_max_f32_e32 v6, v6, v6
	s_delay_alu instid0(VALU_DEP_1) | instskip(SKIP_3) | instid1(VALU_DEP_1)
	v_max_f32_e32 v5, v5, v6
	ds_bpermute_b32 v6, v20, v5
	s_waitcnt lgkmcnt(0)
	v_max_f32_e32 v6, v6, v6
	v_max_f32_e32 v5, v5, v6
	ds_bpermute_b32 v6, v21, v5
	s_waitcnt lgkmcnt(0)
	v_max_f32_e32 v6, v6, v6
	s_delay_alu instid0(VALU_DEP_1) | instskip(SKIP_3) | instid1(VALU_DEP_1)
	v_max_f32_e32 v5, v5, v6
	ds_bpermute_b32 v6, v22, v5
	s_waitcnt lgkmcnt(0)
	v_max_f32_e32 v6, v6, v6
	v_max_f32_e32 v5, v5, v6
	ds_bpermute_b32 v6, v23, v5
	s_waitcnt lgkmcnt(0)
	v_max_f32_e32 v6, v6, v6
	s_delay_alu instid0(VALU_DEP_1) | instskip(NEXT) | instid1(VALU_DEP_1)
	v_max_f32_e32 v5, v5, v6
	v_sub_f32_e32 v6, v8, v5
	v_sub_f32_e32 v8, v10, v5
	s_delay_alu instid0(VALU_DEP_1)
	v_mul_f32_e32 v14, 0x3fb8aa3b, v8
	v_sub_f32_e32 v0, v0, v5
	v_sub_f32_e32 v4, v4, v5
	;; [unrolled: 1-line block ×5, first 2 shown]
	v_dual_sub_f32 v2, v2, v5 :: v_dual_mul_f32 v5, 0x3fb8aa3b, v0
	v_dual_mul_f32 v9, 0x3fb8aa3b, v4 :: v_dual_mul_f32 v10, 0x3fb8aa3b, v6
	s_delay_alu instid0(VALU_DEP_4) | instskip(SKIP_1) | instid1(VALU_DEP_4)
	v_mul_f32_e32 v12, 0x3fb8aa3b, v7
	v_rndne_f32_e32 v37, v14
	v_fma_f32 v24, 0x3fb8aa3b, v0, -v5
	v_rndne_f32_e32 v25, v5
	v_fma_f32 v26, 0x3fb8aa3b, v4, -v9
	;; [unrolled: 2-line block ×4, first 2 shown]
	v_fmac_f32_e32 v24, 0x32a5705f, v0
	v_mul_f32_e32 v15, 0x3fb8aa3b, v3
	v_dual_sub_f32 v5, v5, v25 :: v_dual_fmac_f32 v26, 0x32a5705f, v4
	v_mul_f32_e32 v13, 0x3fb8aa3b, v2
	v_fma_f32 v36, 0x3fb8aa3b, v8, -v14
	v_dual_sub_f32 v9, v9, v27 :: v_dual_fmac_f32 v28, 0x32a5705f, v6
	v_sub_f32_e32 v10, v10, v29
	v_mul_f32_e32 v11, 0x3fb8aa3b, v1
	v_dual_fmac_f32 v32, 0x32a5705f, v7 :: v_dual_add_f32 v5, v5, v24
	s_delay_alu instid0(VALU_DEP_4) | instskip(NEXT) | instid1(VALU_DEP_4)
	v_dual_fmac_f32 v36, 0x32a5705f, v8 :: v_dual_add_f32 v9, v9, v26
	v_add_f32_e32 v10, v10, v28
	s_delay_alu instid0(VALU_DEP_4) | instskip(SKIP_4) | instid1(VALU_DEP_3)
	v_fma_f32 v30, 0x3fb8aa3b, v1, -v11
	v_rndne_f32_e32 v31, v11
	v_exp_f32_e32 v5, v5
	v_rndne_f32_e32 v35, v13
	v_cvt_i32_f32_e32 v25, v25
	v_dual_fmac_f32 v30, 0x32a5705f, v1 :: v_dual_sub_f32 v11, v11, v31
	v_exp_f32_e32 v9, v9
	v_fma_f32 v34, 0x3fb8aa3b, v2, -v13
	v_sub_f32_e32 v13, v13, v35
	v_cvt_i32_f32_e32 v27, v27
	v_dual_sub_f32 v14, v14, v37 :: v_dual_add_f32 v11, v11, v30
	v_exp_f32_e32 v10, v10
	v_ldexp_f32 v5, v5, v25
	v_cmp_ngt_f32_e32 vcc_lo, 0xc2ce8ed0, v0
	v_cvt_i32_f32_e32 v29, v29
	v_fmac_f32_e32 v34, 0x32a5705f, v2
	v_exp_f32_e32 v11, v11
	v_ldexp_f32 v9, v9, v27
	v_cndmask_b32_e32 v5, 0, v5, vcc_lo
	v_cmp_ngt_f32_e32 vcc_lo, 0xc2ce8ed0, v4
	v_rndne_f32_e32 v33, v12
	v_cvt_i32_f32_e32 v31, v31
	v_add_f32_e32 v14, v14, v36
	v_ldexp_f32 v10, v10, v29
	v_cndmask_b32_e32 v9, 0, v9, vcc_lo
	v_cmp_ngt_f32_e32 vcc_lo, 0xc2ce8ed0, v6
	v_fma_f32 v38, 0x3fb8aa3b, v3, -v15
	v_rndne_f32_e32 v39, v15
	v_sub_f32_e32 v12, v12, v33
	v_ldexp_f32 v11, v11, v31
	v_cndmask_b32_e32 v10, 0, v10, vcc_lo
	v_cmp_nlt_f32_e32 vcc_lo, 0x42b17218, v0
	v_dual_fmac_f32 v38, 0x32a5705f, v3 :: v_dual_add_f32 v13, v13, v34
	v_dual_sub_f32 v15, v15, v39 :: v_dual_add_f32 v12, v12, v32
	v_cndmask_b32_e32 v0, 0x7f800000, v5, vcc_lo
	v_cmp_nlt_f32_e32 vcc_lo, 0x42b17218, v4
	v_cvt_i32_f32_e32 v33, v33
	s_delay_alu instid0(VALU_DEP_4)
	v_add_f32_e32 v15, v15, v38
	v_exp_f32_e32 v12, v12
	v_exp_f32_e32 v13, v13
	v_cndmask_b32_e32 v4, 0x7f800000, v9, vcc_lo
	v_cmp_ngt_f32_e32 vcc_lo, 0xc2ce8ed0, v1
	v_cvt_i32_f32_e32 v35, v35
	v_exp_f32_e32 v14, v14
	v_cvt_i32_f32_e32 v24, v37
	v_add_f32_e32 v9, v0, v4
	v_cndmask_b32_e32 v5, 0, v11, vcc_lo
	v_cmp_nlt_f32_e32 vcc_lo, 0x42b17218, v6
	v_ldexp_f32 v12, v12, v33
	v_ldexp_f32 v13, v13, v35
	v_exp_f32_e32 v15, v15
	v_cvt_i32_f32_e32 v26, v39
	v_cndmask_b32_e32 v6, 0x7f800000, v10, vcc_lo
	v_cmp_ngt_f32_e32 vcc_lo, 0xc2ce8ed0, v7
	v_ldexp_f32 v14, v14, v24
	v_lshlrev_b32_e32 v24, 3, v17
	v_cndmask_b32_e32 v10, 0, v12, vcc_lo
	v_cmp_nlt_f32_e32 vcc_lo, 0x42b17218, v1
	s_delay_alu instid0(TRANS32_DEP_1)
	v_ldexp_f32 v15, v15, v26
	v_cndmask_b32_e32 v1, 0x7f800000, v5, vcc_lo
	v_cmp_ngt_f32_e32 vcc_lo, 0xc2ce8ed0, v2
	v_add_f32_e32 v5, v9, v6
	v_cndmask_b32_e32 v9, 0, v13, vcc_lo
	v_cmp_nlt_f32_e32 vcc_lo, 0x42b17218, v7
	v_cndmask_b32_e32 v7, 0x7f800000, v10, vcc_lo
	v_cmp_ngt_f32_e32 vcc_lo, 0xc2ce8ed0, v8
	v_dual_add_f32 v5, v5, v1 :: v_dual_cndmask_b32 v10, 0, v14
	v_cmp_nlt_f32_e32 vcc_lo, 0x42b17218, v2
	s_delay_alu instid0(VALU_DEP_2) | instskip(SKIP_1) | instid1(VALU_DEP_2)
	v_dual_add_f32 v5, v5, v7 :: v_dual_cndmask_b32 v2, 0x7f800000, v9
	v_cmp_ngt_f32_e32 vcc_lo, 0xc2ce8ed0, v3
	v_add_f32_e32 v5, v5, v2
	v_cndmask_b32_e32 v9, 0, v15, vcc_lo
	v_cmp_nlt_f32_e32 vcc_lo, 0x42b17218, v8
	v_cndmask_b32_e32 v8, 0x7f800000, v10, vcc_lo
	v_cmp_nlt_f32_e32 vcc_lo, 0x42b17218, v3
	s_delay_alu instid0(VALU_DEP_2) | instskip(SKIP_1) | instid1(VALU_DEP_1)
	v_add_f32_e32 v5, v5, v8
	v_cndmask_b32_e32 v3, 0x7f800000, v9, vcc_lo
	v_add_f32_e32 v5, v5, v3
	ds_bpermute_b32 v9, v18, v5
	s_waitcnt lgkmcnt(0)
	v_add_f32_e32 v5, v5, v9
	ds_bpermute_b32 v9, v19, v5
	s_waitcnt lgkmcnt(0)
	;; [unrolled: 3-line block ×6, first 2 shown]
	v_add_f32_e32 v5, v5, v9
	s_delay_alu instid0(VALU_DEP_1) | instskip(SKIP_1) | instid1(VALU_DEP_2)
	v_div_scale_f32 v9, null, v5, v5, 1.0
	v_div_scale_f32 v12, vcc_lo, 1.0, v5, 1.0
	v_rcp_f32_e32 v10, v9
	s_waitcnt_depctr 0xfff
	v_fma_f32 v11, -v9, v10, 1.0
	s_delay_alu instid0(VALU_DEP_1) | instskip(NEXT) | instid1(VALU_DEP_1)
	v_fmac_f32_e32 v10, v11, v10
	v_mul_f32_e32 v11, v12, v10
	s_delay_alu instid0(VALU_DEP_1) | instskip(NEXT) | instid1(VALU_DEP_1)
	v_fma_f32 v13, -v9, v11, v12
	v_fmac_f32_e32 v11, v13, v10
	s_delay_alu instid0(VALU_DEP_1) | instskip(NEXT) | instid1(VALU_DEP_1)
	v_fma_f32 v9, -v9, v11, v12
	v_div_fmas_f32 v9, v9, v10, v11
	s_delay_alu instid0(VALU_DEP_1) | instskip(NEXT) | instid1(VALU_DEP_1)
	v_div_fixup_f32 v5, v9, v5, 1.0
	v_mul_f32_e32 v8, v5, v8
	v_mul_f32_e32 v0, v5, v0
	;; [unrolled: 1-line block ×6, first 2 shown]
	v_cmp_class_f32_e64 vcc_lo, v0, 0x1f8
	v_dual_mul_f32 v11, v5, v3 :: v_dual_cndmask_b32 v0, 0, v0
	v_cmp_class_f32_e64 vcc_lo, v4, 0x1f8
	v_dual_mul_f32 v6, v5, v6 :: v_dual_cndmask_b32 v1, 0, v4
	s_delay_alu instid0(VALU_DEP_1)
	v_cmp_class_f32_e64 vcc_lo, v6, 0x1f8
	v_cndmask_b32_e32 v2, 0, v6, vcc_lo
	v_cmp_class_f32_e64 vcc_lo, v9, 0x1f8
	v_cndmask_b32_e32 v3, 0, v9, vcc_lo
	;; [unrolled: 2-line block ×6, first 2 shown]
	s_cbranch_scc1 .LBB186_39
; %bb.4:
	v_lshlrev_b32_e32 v12, 2, v24
	s_clause 0x1
	global_load_b128 v[8:11], v12, s[2:3]
	global_load_b128 v[12:15], v12, s[2:3] offset:16
	s_waitcnt vmcnt(1)
	v_dual_add_f32 v9, v9, v1 :: v_dual_add_f32 v8, v8, v0
	v_dual_add_f32 v11, v11, v3 :: v_dual_add_f32 v10, v10, v2
	s_waitcnt vmcnt(0)
	v_dual_add_f32 v13, v13, v5 :: v_dual_add_f32 v12, v12, v4
	v_dual_add_f32 v15, v15, v7 :: v_dual_add_f32 v14, v14, v6
	s_cbranch_execnz .LBB186_6
.LBB186_5:
	v_dual_mov_b32 v15, v7 :: v_dual_mov_b32 v14, v6
	v_dual_mov_b32 v13, v5 :: v_dual_mov_b32 v12, v4
	;; [unrolled: 1-line block ×4, first 2 shown]
.LBB186_6:
	s_load_b128 s[4:7], s[0:1], 0x30
	v_cmp_eq_u32_e64 s2, 0, v17
	s_waitcnt lgkmcnt(0)
	s_bitcmp1_b32 s7, 0
	s_mov_b32 s7, 0
	s_cselect_b32 vcc_lo, -1, 0
	s_cmp_gt_i32 s4, 0
	s_cselect_b32 s3, -1, 0
	s_cmp_lt_i32 s4, 1
	s_cbranch_scc1 .LBB186_40
; %bb.7:
	s_load_b128 s[8:11], s[0:1], 0x20
	v_mul_lo_u32 v26, v16, s4
	v_mov_b32_e32 v25, 0
	v_mov_b32_e32 v27, v16
	s_branch .LBB186_10
.LBB186_8:                              ;   in Loop: Header=BB186_10 Depth=1
	s_or_b32 exec_lo, exec_lo, s1
.LBB186_9:                              ;   in Loop: Header=BB186_10 Depth=1
	v_add_nc_u32_e32 v27, s14, v27
	s_cmp_eq_u32 s4, s7
	s_cbranch_scc1 .LBB186_41
.LBB186_10:                             ; =>This Inner Loop Header: Depth=1
	v_cmp_gt_f32_e64 s0, v9, v8
	s_mov_b32 s17, exec_lo
	s_delay_alu instid0(VALU_DEP_1) | instskip(SKIP_2) | instid1(VALU_DEP_3)
	v_cndmask_b32_e64 v28, v8, v9, s0
	v_cndmask_b32_e64 v29, 0, 1, s0
	;; [unrolled: 1-line block ×3, first 2 shown]
	v_cmp_gt_f32_e64 s1, v10, v28
	s_delay_alu instid0(VALU_DEP_1) | instskip(NEXT) | instid1(VALU_DEP_4)
	v_cndmask_b32_e64 v28, v28, v10, s1
	v_cndmask_b32_e64 v29, v29, 2, s1
	s_delay_alu instid0(VALU_DEP_4) | instskip(NEXT) | instid1(VALU_DEP_3)
	v_cndmask_b32_e64 v30, v30, v2, s1
	v_cmp_gt_f32_e64 s0, v11, v28
	s_delay_alu instid0(VALU_DEP_1) | instskip(NEXT) | instid1(VALU_DEP_4)
	v_cndmask_b32_e64 v28, v28, v11, s0
	v_cndmask_b32_e64 v29, v29, 3, s0
	s_delay_alu instid0(VALU_DEP_4) | instskip(NEXT) | instid1(VALU_DEP_3)
	v_cndmask_b32_e64 v30, v30, v3, s0
	;; [unrolled: 6-line block ×4, first 2 shown]
	v_cmp_gt_f32_e64 s1, v14, v28
	s_delay_alu instid0(VALU_DEP_1) | instskip(NEXT) | instid1(VALU_DEP_4)
	v_cndmask_b32_e64 v28, v28, v14, s1
	v_cndmask_b32_e64 v29, v29, 6, s1
	s_waitcnt lgkmcnt(0)
	v_cndmask_b32_e64 v31, v30, v6, s1
	s_delay_alu instid0(VALU_DEP_3) | instskip(NEXT) | instid1(VALU_DEP_1)
	v_cmp_gt_f32_e64 s0, v15, v28
	v_cndmask_b32_e64 v30, v28, v15, s0
	v_cndmask_b32_e64 v28, v29, 7, s0
	s_delay_alu instid0(VALU_DEP_4)
	v_cndmask_b32_e64 v29, v31, v7, s0
	ds_bpermute_b32 v31, v18, v30
	v_or_b32_e32 v28, v24, v28
	ds_bpermute_b32 v33, v18, v29
	ds_bpermute_b32 v32, v18, v28
	s_waitcnt lgkmcnt(0)
	v_cmp_lt_f32_e64 s16, v30, v31
	v_cmpx_nlt_f32_e32 v30, v31
; %bb.11:                               ;   in Loop: Header=BB186_10 Depth=1
	v_cmp_eq_f32_e64 s0, v30, v31
	v_cmp_lt_i32_e64 s1, v32, v28
	s_delay_alu instid0(VALU_DEP_1) | instskip(SKIP_2) | instid1(SALU_CYCLE_1)
	s_and_b32 s0, s0, s1
	s_and_not1_b32 s1, s16, exec_lo
	s_and_b32 s0, s0, exec_lo
	s_or_b32 s16, s1, s0
; %bb.12:                               ;   in Loop: Header=BB186_10 Depth=1
	s_or_b32 exec_lo, exec_lo, s17
	s_and_saveexec_b32 s0, s16
; %bb.13:                               ;   in Loop: Header=BB186_10 Depth=1
	v_dual_mov_b32 v29, v33 :: v_dual_mov_b32 v30, v31
	v_mov_b32_e32 v28, v32
; %bb.14:                               ;   in Loop: Header=BB186_10 Depth=1
	s_or_b32 exec_lo, exec_lo, s0
	ds_bpermute_b32 v32, v19, v30
	ds_bpermute_b32 v33, v19, v29
	;; [unrolled: 1-line block ×3, first 2 shown]
	s_mov_b32 s17, exec_lo
	s_waitcnt lgkmcnt(2)
	v_cmp_lt_f32_e64 s16, v30, v32
	v_cmpx_nlt_f32_e32 v30, v32
	s_cbranch_execz .LBB186_16
; %bb.15:                               ;   in Loop: Header=BB186_10 Depth=1
	v_cmp_eq_f32_e64 s0, v30, v32
	s_waitcnt lgkmcnt(0)
	v_cmp_lt_i32_e64 s1, v31, v28
	s_delay_alu instid0(VALU_DEP_1) | instskip(SKIP_2) | instid1(SALU_CYCLE_1)
	s_and_b32 s0, s0, s1
	s_and_not1_b32 s1, s16, exec_lo
	s_and_b32 s0, s0, exec_lo
	s_or_b32 s16, s1, s0
.LBB186_16:                             ;   in Loop: Header=BB186_10 Depth=1
	s_or_b32 exec_lo, exec_lo, s17
	s_delay_alu instid0(VALU_DEP_2)
	s_and_saveexec_b32 s0, s16
	s_cbranch_execz .LBB186_18
; %bb.17:                               ;   in Loop: Header=BB186_10 Depth=1
	s_waitcnt lgkmcnt(1)
	v_dual_mov_b32 v29, v33 :: v_dual_mov_b32 v30, v32
	s_waitcnt lgkmcnt(0)
	v_mov_b32_e32 v28, v31
.LBB186_18:                             ;   in Loop: Header=BB186_10 Depth=1
	s_or_b32 exec_lo, exec_lo, s0
	ds_bpermute_b32 v32, v20, v30
	s_waitcnt lgkmcnt(2)
	ds_bpermute_b32 v33, v20, v29
	s_waitcnt lgkmcnt(2)
	ds_bpermute_b32 v31, v20, v28
	s_mov_b32 s17, exec_lo
	s_waitcnt lgkmcnt(2)
	v_cmp_lt_f32_e64 s16, v30, v32
	v_cmpx_nlt_f32_e32 v30, v32
	s_cbranch_execz .LBB186_20
; %bb.19:                               ;   in Loop: Header=BB186_10 Depth=1
	v_cmp_eq_f32_e64 s0, v30, v32
	s_waitcnt lgkmcnt(0)
	v_cmp_lt_i32_e64 s1, v31, v28
	s_delay_alu instid0(VALU_DEP_1) | instskip(SKIP_2) | instid1(SALU_CYCLE_1)
	s_and_b32 s0, s0, s1
	s_and_not1_b32 s1, s16, exec_lo
	s_and_b32 s0, s0, exec_lo
	s_or_b32 s16, s1, s0
.LBB186_20:                             ;   in Loop: Header=BB186_10 Depth=1
	s_or_b32 exec_lo, exec_lo, s17
	s_delay_alu instid0(VALU_DEP_2)
	s_and_saveexec_b32 s0, s16
	s_cbranch_execz .LBB186_22
; %bb.21:                               ;   in Loop: Header=BB186_10 Depth=1
	s_waitcnt lgkmcnt(1)
	v_dual_mov_b32 v29, v33 :: v_dual_mov_b32 v30, v32
	s_waitcnt lgkmcnt(0)
	v_mov_b32_e32 v28, v31
.LBB186_22:                             ;   in Loop: Header=BB186_10 Depth=1
	s_or_b32 exec_lo, exec_lo, s0
	ds_bpermute_b32 v32, v21, v30
	s_waitcnt lgkmcnt(2)
	ds_bpermute_b32 v33, v21, v29
	s_waitcnt lgkmcnt(2)
	ds_bpermute_b32 v31, v21, v28
	;; [unrolled: 31-line block ×3, first 2 shown]
	s_mov_b32 s17, exec_lo
	s_waitcnt lgkmcnt(2)
	v_cmp_lt_f32_e64 s16, v30, v32
	v_cmpx_nlt_f32_e32 v30, v32
	s_cbranch_execz .LBB186_28
; %bb.27:                               ;   in Loop: Header=BB186_10 Depth=1
	v_cmp_eq_f32_e64 s0, v30, v32
	s_waitcnt lgkmcnt(0)
	v_cmp_lt_i32_e64 s1, v31, v28
	s_delay_alu instid0(VALU_DEP_1) | instskip(SKIP_2) | instid1(SALU_CYCLE_1)
	s_and_b32 s0, s0, s1
	s_and_not1_b32 s1, s16, exec_lo
	s_and_b32 s0, s0, exec_lo
	s_or_b32 s16, s1, s0
.LBB186_28:                             ;   in Loop: Header=BB186_10 Depth=1
	s_or_b32 exec_lo, exec_lo, s17
	s_delay_alu instid0(VALU_DEP_2)
	s_and_saveexec_b32 s0, s16
	s_cbranch_execz .LBB186_30
; %bb.29:                               ;   in Loop: Header=BB186_10 Depth=1
	s_waitcnt lgkmcnt(1)
	v_dual_mov_b32 v29, v33 :: v_dual_mov_b32 v30, v32
	s_waitcnt lgkmcnt(0)
	v_mov_b32_e32 v28, v31
.LBB186_30:                             ;   in Loop: Header=BB186_10 Depth=1
	s_or_b32 exec_lo, exec_lo, s0
	s_waitcnt lgkmcnt(1)
	ds_bpermute_b32 v33, v23, v30
	ds_bpermute_b32 v32, v23, v29
	s_waitcnt lgkmcnt(2)
	ds_bpermute_b32 v31, v23, v28
	s_mov_b32 s17, exec_lo
	s_waitcnt lgkmcnt(2)
	v_cmp_lt_f32_e64 s16, v30, v33
	v_cmpx_nlt_f32_e32 v30, v33
	s_cbranch_execnz .LBB186_34
; %bb.31:                               ;   in Loop: Header=BB186_10 Depth=1
	s_or_b32 exec_lo, exec_lo, s17
	s_delay_alu instid0(VALU_DEP_2)
	s_and_saveexec_b32 s0, s16
	s_cbranch_execnz .LBB186_35
.LBB186_32:                             ;   in Loop: Header=BB186_10 Depth=1
	s_or_b32 exec_lo, exec_lo, s0
	s_and_saveexec_b32 s16, s2
	s_cbranch_execnz .LBB186_36
.LBB186_33:                             ;   in Loop: Header=BB186_10 Depth=1
	s_or_b32 exec_lo, exec_lo, s16
	s_add_i32 s7, s7, 1
	s_delay_alu instid0(SALU_CYCLE_1)
	s_cmp_ge_i32 s7, s4
	s_cbranch_scc1 .LBB186_9
	s_branch .LBB186_37
.LBB186_34:                             ;   in Loop: Header=BB186_10 Depth=1
	v_cmp_eq_f32_e64 s0, v30, v33
	s_waitcnt lgkmcnt(0)
	v_cmp_lt_i32_e64 s1, v31, v28
	s_delay_alu instid0(VALU_DEP_1) | instskip(SKIP_2) | instid1(SALU_CYCLE_1)
	s_and_b32 s0, s0, s1
	s_and_not1_b32 s1, s16, exec_lo
	s_and_b32 s0, s0, exec_lo
	s_or_b32 s16, s1, s0
	s_or_b32 exec_lo, exec_lo, s17
	s_and_saveexec_b32 s0, s16
	s_cbranch_execz .LBB186_32
.LBB186_35:                             ;   in Loop: Header=BB186_10 Depth=1
	s_waitcnt lgkmcnt(0)
	v_dual_mov_b32 v29, v32 :: v_dual_mov_b32 v28, v31
	s_or_b32 exec_lo, exec_lo, s0
	s_and_saveexec_b32 s16, s2
	s_cbranch_execz .LBB186_33
.LBB186_36:                             ;   in Loop: Header=BB186_10 Depth=1
	v_add_nc_u32_e32 v30, s7, v26
	v_subrev_nc_u32_e32 v34, s5, v28
	v_cmp_le_i32_e64 s0, s5, v28
	v_cmp_gt_i32_e64 s1, s6, v28
	v_add_f32_e32 v38, v25, v29
	s_waitcnt lgkmcnt(0)
	v_ashrrev_i32_e32 v31, 31, v30
	v_ashrrev_i32_e32 v35, 31, v34
	s_and_b32 s0, s0, s1
	v_cndmask_b32_e32 v25, v25, v38, vcc_lo
	s_delay_alu instid0(VALU_DEP_3) | instskip(SKIP_2) | instid1(SALU_CYCLE_1)
	v_lshlrev_b64 v[32:33], 2, v[30:31]
	v_lshlrev_b64 v[30:31], 3, v[30:31]
	s_and_b32 s0, s15, s0
	v_cndmask_b32_e64 v35, 0, v35, s0
	v_cndmask_b32_e64 v34, 0x200, v34, s0
	s_delay_alu instid0(VALU_DEP_4) | instskip(NEXT) | instid1(VALU_DEP_1)
	v_add_co_u32 v36, s0, s12, v32
	v_add_co_ci_u32_e64 v37, s0, s13, v33, s0
	v_add_co_u32 v30, s0, s8, v30
	s_delay_alu instid0(VALU_DEP_1) | instskip(SKIP_1) | instid1(VALU_DEP_1)
	v_add_co_ci_u32_e64 v31, s0, s9, v31, s0
	v_add_co_u32 v32, s0, s10, v32
	v_add_co_ci_u32_e64 v33, s0, s11, v33, s0
	global_store_b32 v[36:37], v29, off
	global_store_b64 v[30:31], v[34:35], off
	global_store_b32 v[32:33], v27, off
	s_or_b32 exec_lo, exec_lo, s16
	s_add_i32 s7, s7, 1
	s_delay_alu instid0(SALU_CYCLE_1)
	s_cmp_ge_i32 s7, s4
	s_cbranch_scc1 .LBB186_9
.LBB186_37:                             ;   in Loop: Header=BB186_10 Depth=1
	v_ashrrev_i32_e32 v29, 31, v28
	s_mov_b32 s1, exec_lo
	s_delay_alu instid0(VALU_DEP_1) | instskip(NEXT) | instid1(VALU_DEP_1)
	v_lshrrev_b32_e32 v30, 29, v29
	v_add_nc_u32_e32 v30, v28, v30
	s_waitcnt lgkmcnt(0)
	s_delay_alu instid0(VALU_DEP_1) | instskip(SKIP_1) | instid1(VALU_DEP_2)
	v_ashrrev_i32_e32 v31, 31, v30
	v_ashrrev_i32_e32 v30, 3, v30
	v_lshrrev_b32_e32 v31, 26, v31
	s_delay_alu instid0(VALU_DEP_1) | instskip(NEXT) | instid1(VALU_DEP_1)
	v_add_nc_u32_e32 v31, v30, v31
	v_and_b32_e32 v31, 0xffffffc0, v31
	s_delay_alu instid0(VALU_DEP_1) | instskip(NEXT) | instid1(VALU_DEP_1)
	v_sub_nc_u32_e32 v31, v30, v31
	v_cmpx_eq_u32_e64 v17, v31
	s_cbranch_execz .LBB186_8
; %bb.38:                               ;   in Loop: Header=BB186_10 Depth=1
	v_lshrrev_b32_e32 v29, 23, v29
	v_lshlrev_b32_e32 v30, 3, v30
	s_delay_alu instid0(VALU_DEP_2) | instskip(NEXT) | instid1(VALU_DEP_2)
	v_add_nc_u32_e32 v29, v28, v29
	v_sub_nc_u32_e32 v28, v28, v30
	s_delay_alu instid0(VALU_DEP_2) | instskip(NEXT) | instid1(VALU_DEP_1)
	v_ashrrev_i32_e32 v29, 9, v29
	v_lshl_add_u32 v28, v29, 3, v28
	s_delay_alu instid0(VALU_DEP_1) | instskip(NEXT) | instid1(VALU_DEP_1)
	v_cmp_ne_u32_e64 s0, 7, v28
	v_cndmask_b32_e64 v15, 0xc61c4000, v15, s0
	v_cmp_ne_u32_e64 s0, 6, v28
	s_delay_alu instid0(VALU_DEP_1) | instskip(SKIP_1) | instid1(VALU_DEP_1)
	v_cndmask_b32_e64 v14, 0xc61c4000, v14, s0
	v_cmp_ne_u32_e64 s0, 5, v28
	v_cndmask_b32_e64 v13, 0xc61c4000, v13, s0
	v_cmp_ne_u32_e64 s0, 4, v28
	s_delay_alu instid0(VALU_DEP_1) | instskip(SKIP_1) | instid1(VALU_DEP_1)
	v_cndmask_b32_e64 v12, 0xc61c4000, v12, s0
	;; [unrolled: 5-line block ×3, first 2 shown]
	v_cmp_ne_u32_e64 s0, 1, v28
	v_cndmask_b32_e64 v9, 0xc61c4000, v9, s0
	v_cmp_ne_u32_e64 s0, 0, v28
	s_delay_alu instid0(VALU_DEP_1)
	v_cndmask_b32_e64 v8, 0xc61c4000, v8, s0
	s_branch .LBB186_8
.LBB186_39:
                                        ; implicit-def: $vgpr8_vgpr9_vgpr10_vgpr11_vgpr12_vgpr13_vgpr14_vgpr15
	s_and_not1_b32 vcc_lo, exec_lo, s8
	s_cbranch_vccz .LBB186_5
	s_branch .LBB186_6
.LBB186_40:
	v_mov_b32_e32 v25, 0
.LBB186_41:
	v_cmp_eq_u32_e64 s0, 0, v17
	s_delay_alu instid0(VALU_DEP_1) | instskip(NEXT) | instid1(SALU_CYCLE_1)
	s_and_b32 s0, s0, vcc_lo
	s_and_b32 exec_lo, exec_lo, s0
	s_cbranch_execz .LBB186_45
; %bb.42:
	s_and_not1_b32 vcc_lo, exec_lo, s3
	s_cbranch_vccnz .LBB186_45
; %bb.43:
	v_mul_lo_u32 v0, v16, s4
	v_cmp_lt_f32_e32 vcc_lo, 0, v25
	v_cndmask_b32_e32 v2, 1.0, v25, vcc_lo
	s_delay_alu instid0(VALU_DEP_3) | instskip(NEXT) | instid1(VALU_DEP_1)
	v_ashrrev_i32_e32 v1, 31, v0
	v_lshlrev_b64 v[0:1], 2, v[0:1]
	s_delay_alu instid0(VALU_DEP_1) | instskip(NEXT) | instid1(VALU_DEP_2)
	v_add_co_u32 v0, vcc_lo, s12, v0
	v_add_co_ci_u32_e32 v1, vcc_lo, s13, v1, vcc_lo
	.p2align	6
.LBB186_44:                             ; =>This Inner Loop Header: Depth=1
	global_load_b32 v3, v[0:1], off
	s_add_i32 s4, s4, -1
	s_delay_alu instid0(SALU_CYCLE_1) | instskip(SKIP_3) | instid1(VALU_DEP_2)
	s_cmp_lg_u32 s4, 0
	s_waitcnt vmcnt(0)
	v_div_scale_f32 v4, null, v2, v2, v3
	v_div_scale_f32 v7, vcc_lo, v3, v2, v3
	v_rcp_f32_e32 v5, v4
	s_waitcnt_depctr 0xfff
	v_fma_f32 v6, -v4, v5, 1.0
	s_delay_alu instid0(VALU_DEP_1) | instskip(NEXT) | instid1(VALU_DEP_1)
	v_fmac_f32_e32 v5, v6, v5
	v_mul_f32_e32 v6, v7, v5
	s_delay_alu instid0(VALU_DEP_1) | instskip(NEXT) | instid1(VALU_DEP_1)
	v_fma_f32 v8, -v4, v6, v7
	v_fmac_f32_e32 v6, v8, v5
	s_delay_alu instid0(VALU_DEP_1) | instskip(NEXT) | instid1(VALU_DEP_1)
	v_fma_f32 v4, -v4, v6, v7
	v_div_fmas_f32 v4, v4, v5, v6
	s_delay_alu instid0(VALU_DEP_1)
	v_div_fixup_f32 v3, v4, v2, v3
	global_store_b32 v[0:1], v3, off
	v_add_co_u32 v0, vcc_lo, v0, 4
	v_add_co_ci_u32_e32 v1, vcc_lo, 0, v1, vcc_lo
	s_cbranch_scc1 .LBB186_44
.LBB186_45:
	s_nop 0
	s_sendmsg sendmsg(MSG_DEALLOC_VGPRS)
	s_endpgm
	.section	.rodata,"a",@progbits
	.p2align	6, 0x0
	.amdhsa_kernel _ZN4vllm3moe10topkGatingILi8ELi512ELi4ELi16ELi64El14__hip_bfloat16LNS0_11ScoringFuncE0EEEvPKT5_PKbPfiPT4_PiiiibPKf
		.amdhsa_group_segment_fixed_size 0
		.amdhsa_private_segment_fixed_size 0
		.amdhsa_kernarg_size 72
		.amdhsa_user_sgpr_count 15
		.amdhsa_user_sgpr_dispatch_ptr 0
		.amdhsa_user_sgpr_queue_ptr 0
		.amdhsa_user_sgpr_kernarg_segment_ptr 1
		.amdhsa_user_sgpr_dispatch_id 0
		.amdhsa_user_sgpr_private_segment_size 0
		.amdhsa_wavefront_size32 1
		.amdhsa_uses_dynamic_stack 0
		.amdhsa_enable_private_segment 0
		.amdhsa_system_sgpr_workgroup_id_x 1
		.amdhsa_system_sgpr_workgroup_id_y 0
		.amdhsa_system_sgpr_workgroup_id_z 0
		.amdhsa_system_sgpr_workgroup_info 0
		.amdhsa_system_vgpr_workitem_id 1
		.amdhsa_next_free_vgpr 40
		.amdhsa_next_free_sgpr 18
		.amdhsa_reserve_vcc 1
		.amdhsa_float_round_mode_32 0
		.amdhsa_float_round_mode_16_64 0
		.amdhsa_float_denorm_mode_32 3
		.amdhsa_float_denorm_mode_16_64 3
		.amdhsa_dx10_clamp 1
		.amdhsa_ieee_mode 1
		.amdhsa_fp16_overflow 0
		.amdhsa_workgroup_processor_mode 1
		.amdhsa_memory_ordered 1
		.amdhsa_forward_progress 0
		.amdhsa_shared_vgpr_count 0
		.amdhsa_exception_fp_ieee_invalid_op 0
		.amdhsa_exception_fp_denorm_src 0
		.amdhsa_exception_fp_ieee_div_zero 0
		.amdhsa_exception_fp_ieee_overflow 0
		.amdhsa_exception_fp_ieee_underflow 0
		.amdhsa_exception_fp_ieee_inexact 0
		.amdhsa_exception_int_div_zero 0
	.end_amdhsa_kernel
	.section	.text._ZN4vllm3moe10topkGatingILi8ELi512ELi4ELi16ELi64El14__hip_bfloat16LNS0_11ScoringFuncE0EEEvPKT5_PKbPfiPT4_PiiiibPKf,"axG",@progbits,_ZN4vllm3moe10topkGatingILi8ELi512ELi4ELi16ELi64El14__hip_bfloat16LNS0_11ScoringFuncE0EEEvPKT5_PKbPfiPT4_PiiiibPKf,comdat
.Lfunc_end186:
	.size	_ZN4vllm3moe10topkGatingILi8ELi512ELi4ELi16ELi64El14__hip_bfloat16LNS0_11ScoringFuncE0EEEvPKT5_PKbPfiPT4_PiiiibPKf, .Lfunc_end186-_ZN4vllm3moe10topkGatingILi8ELi512ELi4ELi16ELi64El14__hip_bfloat16LNS0_11ScoringFuncE0EEEvPKT5_PKbPfiPT4_PiiiibPKf
                                        ; -- End function
	.section	.AMDGPU.csdata,"",@progbits
; Kernel info:
; codeLenInByte = 3756
; NumSgprs: 20
; NumVgprs: 40
; ScratchSize: 0
; MemoryBound: 0
; FloatMode: 240
; IeeeMode: 1
; LDSByteSize: 0 bytes/workgroup (compile time only)
; SGPRBlocks: 2
; VGPRBlocks: 4
; NumSGPRsForWavesPerEU: 20
; NumVGPRsForWavesPerEU: 40
; Occupancy: 16
; WaveLimiterHint : 0
; COMPUTE_PGM_RSRC2:SCRATCH_EN: 0
; COMPUTE_PGM_RSRC2:USER_SGPR: 15
; COMPUTE_PGM_RSRC2:TRAP_HANDLER: 0
; COMPUTE_PGM_RSRC2:TGID_X_EN: 1
; COMPUTE_PGM_RSRC2:TGID_Y_EN: 0
; COMPUTE_PGM_RSRC2:TGID_Z_EN: 0
; COMPUTE_PGM_RSRC2:TIDIG_COMP_CNT: 1
	.section	.text._ZN4vllm3moe10topkGatingILi16ELi512ELi4ELi16ELi32El14__hip_bfloat16LNS0_11ScoringFuncE0EEEvPKT5_PKbPfiPT4_PiiiibPKf,"axG",@progbits,_ZN4vllm3moe10topkGatingILi16ELi512ELi4ELi16ELi32El14__hip_bfloat16LNS0_11ScoringFuncE0EEEvPKT5_PKbPfiPT4_PiiiibPKf,comdat
	.protected	_ZN4vllm3moe10topkGatingILi16ELi512ELi4ELi16ELi32El14__hip_bfloat16LNS0_11ScoringFuncE0EEEvPKT5_PKbPfiPT4_PiiiibPKf ; -- Begin function _ZN4vllm3moe10topkGatingILi16ELi512ELi4ELi16ELi32El14__hip_bfloat16LNS0_11ScoringFuncE0EEEvPKT5_PKbPfiPT4_PiiiibPKf
	.globl	_ZN4vllm3moe10topkGatingILi16ELi512ELi4ELi16ELi32El14__hip_bfloat16LNS0_11ScoringFuncE0EEEvPKT5_PKbPfiPT4_PiiiibPKf
	.p2align	8
	.type	_ZN4vllm3moe10topkGatingILi16ELi512ELi4ELi16ELi32El14__hip_bfloat16LNS0_11ScoringFuncE0EEEvPKT5_PKbPfiPT4_PiiiibPKf,@function
_ZN4vllm3moe10topkGatingILi16ELi512ELi4ELi16ELi32El14__hip_bfloat16LNS0_11ScoringFuncE0EEEvPKT5_PKbPfiPT4_PiiiibPKf: ; @_ZN4vllm3moe10topkGatingILi16ELi512ELi4ELi16ELi32El14__hip_bfloat16LNS0_11ScoringFuncE0EEEvPKT5_PKbPfiPT4_PiiiibPKf
; %bb.0:
	s_load_b32 s14, s[0:1], 0x18
	v_and_b32_e32 v1, 0x3ff, v0
	v_bfe_u32 v0, v0, 10, 10
	s_lshl_b32 s2, s15, 2
	s_delay_alu instid0(VALU_DEP_2) | instskip(NEXT) | instid1(VALU_DEP_1)
	v_lshrrev_b32_e32 v2, 5, v1
	v_add3_u32 v32, s2, v0, v2
	s_mov_b32 s2, exec_lo
	s_waitcnt lgkmcnt(0)
	s_delay_alu instid0(VALU_DEP_1)
	v_cmpx_gt_i32_e64 s14, v32
	s_cbranch_execz .LBB187_41
; %bb.1:
	s_clause 0x1
	s_load_b128 s[4:7], s[0:1], 0x0
	s_load_b64 s[12:13], s[0:1], 0x10
	s_mov_b32 s8, -1
	s_mov_b32 s15, -1
	s_waitcnt lgkmcnt(0)
	s_cmp_eq_u64 s[6:7], 0
	s_cbranch_scc1 .LBB187_3
; %bb.2:
	v_ashrrev_i32_e32 v0, 31, v32
	v_add_co_u32 v2, vcc_lo, s6, v32
	s_delay_alu instid0(VALU_DEP_2) | instskip(SKIP_3) | instid1(VALU_DEP_1)
	v_add_co_ci_u32_e32 v3, vcc_lo, s7, v0, vcc_lo
	global_load_u8 v0, v[2:3], off
	s_waitcnt vmcnt(0)
	v_and_b32_e32 v0, 1, v0
	v_cmp_eq_u32_e32 vcc_lo, 1, v0
	s_xor_b32 s2, vcc_lo, -1
	s_delay_alu instid0(SALU_CYCLE_1)
	s_or_not1_b32 s15, s2, exec_lo
.LBB187_3:
	v_lshlrev_b32_e32 v2, 9, v32
	v_and_b32_e32 v33, 31, v1
	v_mbcnt_lo_u32_b32 v14, -1, 0
	s_load_b64 s[2:3], s[0:1], 0x40
	s_delay_alu instid0(VALU_DEP_3) | instskip(NEXT) | instid1(VALU_DEP_2)
	v_ashrrev_i32_e32 v3, 31, v2
	v_xor_b32_e32 v16, 16, v14
	v_xor_b32_e32 v19, 8, v14
	s_delay_alu instid0(VALU_DEP_3) | instskip(SKIP_1) | instid1(VALU_DEP_2)
	v_lshlrev_b64 v[0:1], 1, v[2:3]
	v_lshlrev_b32_e32 v2, 4, v33
	v_add_co_u32 v0, vcc_lo, s4, v0
	s_delay_alu instid0(VALU_DEP_3) | instskip(NEXT) | instid1(VALU_DEP_2)
	v_add_co_ci_u32_e32 v1, vcc_lo, s5, v1, vcc_lo
	v_add_co_u32 v4, vcc_lo, v0, v2
	s_delay_alu instid0(VALU_DEP_2)
	v_add_co_ci_u32_e32 v5, vcc_lo, 0, v1, vcc_lo
	v_cmp_gt_i32_e32 vcc_lo, 32, v16
	s_waitcnt lgkmcnt(0)
	s_cmp_eq_u64 s[2:3], 0
	s_clause 0x1
	global_load_b128 v[0:3], v[4:5], off
	global_load_b128 v[4:7], v[4:5], off offset:512
	v_cndmask_b32_e32 v16, v14, v16, vcc_lo
	v_cmp_gt_i32_e32 vcc_lo, 32, v19
	v_cndmask_b32_e32 v19, v14, v19, vcc_lo
	s_waitcnt vmcnt(1)
	v_lshlrev_b32_e32 v11, 16, v1
	v_and_b32_e32 v8, 0xffff0000, v0
	v_and_b32_e32 v1, 0xffff0000, v1
	v_lshlrev_b32_e32 v12, 16, v3
	v_and_b32_e32 v3, 0xffff0000, v3
	s_waitcnt vmcnt(0)
	v_lshlrev_b32_e32 v15, 16, v5
	v_max_f32_e32 v9, v8, v8
	v_and_b32_e32 v5, 0xffff0000, v5
	v_lshlrev_b32_e32 v18, 16, v7
	v_and_b32_e32 v7, 0xffff0000, v7
	v_lshlrev_b32_e32 v35, 2, v19
	v_xor_b32_e32 v19, 4, v14
	v_lshlrev_b32_e32 v34, 2, v16
	s_delay_alu instid0(VALU_DEP_2) | instskip(SKIP_1) | instid1(VALU_DEP_1)
	v_cmp_gt_i32_e32 vcc_lo, 32, v19
	v_dual_cndmask_b32 v19, v14, v19 :: v_dual_lshlrev_b32 v0, 16, v0
	v_dual_max_f32 v10, v0, v0 :: v_dual_lshlrev_b32 v17, 16, v6
	s_delay_alu instid0(VALU_DEP_2) | instskip(SKIP_1) | instid1(VALU_DEP_3)
	v_lshlrev_b32_e32 v36, 2, v19
	v_xor_b32_e32 v19, 2, v14
	v_dual_max_f32 v9, v10, v9 :: v_dual_lshlrev_b32 v10, 16, v2
	v_and_b32_e32 v2, 0xffff0000, v2
	s_delay_alu instid0(VALU_DEP_3) | instskip(NEXT) | instid1(VALU_DEP_3)
	v_cmp_gt_i32_e32 vcc_lo, 32, v19
	v_max3_f32 v9, v9, v11, v1
	v_dual_cndmask_b32 v19, v14, v19 :: v_dual_and_b32 v6, 0xffff0000, v6
	s_delay_alu instid0(VALU_DEP_2) | instskip(NEXT) | instid1(VALU_DEP_2)
	v_max3_f32 v9, v9, v10, v2
	v_lshlrev_b32_e32 v37, 2, v19
	v_xor_b32_e32 v19, 1, v14
	s_delay_alu instid0(VALU_DEP_3) | instskip(NEXT) | instid1(VALU_DEP_2)
	v_max3_f32 v9, v9, v12, v3
	v_cmp_gt_i32_e32 vcc_lo, 32, v19
	v_lshlrev_b32_e32 v13, 16, v4
	v_and_b32_e32 v4, 0xffff0000, v4
	v_cndmask_b32_e32 v14, v14, v19, vcc_lo
	s_delay_alu instid0(VALU_DEP_2) | instskip(NEXT) | instid1(VALU_DEP_1)
	v_max3_f32 v9, v9, v13, v4
	v_max3_f32 v9, v9, v15, v5
	s_delay_alu instid0(VALU_DEP_1) | instskip(NEXT) | instid1(VALU_DEP_1)
	v_max3_f32 v9, v9, v17, v6
	v_max3_f32 v9, v9, v18, v7
	ds_bpermute_b32 v16, v34, v9
	s_waitcnt lgkmcnt(0)
	v_max_f32_e32 v16, v16, v16
	s_delay_alu instid0(VALU_DEP_1) | instskip(SKIP_3) | instid1(VALU_DEP_1)
	v_max_f32_e32 v9, v9, v16
	ds_bpermute_b32 v16, v35, v9
	s_waitcnt lgkmcnt(0)
	v_max_f32_e32 v16, v16, v16
	v_dual_max_f32 v9, v9, v16 :: v_dual_lshlrev_b32 v38, 2, v14
	ds_bpermute_b32 v16, v36, v9
	s_waitcnt lgkmcnt(0)
	v_max_f32_e32 v16, v16, v16
	s_delay_alu instid0(VALU_DEP_1) | instskip(SKIP_3) | instid1(VALU_DEP_1)
	v_max_f32_e32 v9, v9, v16
	ds_bpermute_b32 v16, v37, v9
	s_waitcnt lgkmcnt(0)
	v_max_f32_e32 v16, v16, v16
	v_max_f32_e32 v9, v9, v16
	ds_bpermute_b32 v14, v38, v9
	s_waitcnt lgkmcnt(0)
	v_max_f32_e32 v14, v14, v14
	s_delay_alu instid0(VALU_DEP_1) | instskip(NEXT) | instid1(VALU_DEP_1)
	v_max_f32_e32 v9, v9, v14
	v_sub_f32_e32 v3, v3, v9
	v_sub_f32_e32 v0, v0, v9
	;; [unrolled: 1-line block ×9, first 2 shown]
	v_dual_sub_f32 v14, v15, v9 :: v_dual_mul_f32 v23, 0x3fb8aa3b, v3
	v_sub_f32_e32 v15, v17, v9
	v_sub_f32_e32 v4, v4, v9
	v_dual_sub_f32 v5, v5, v9 :: v_dual_mul_f32 v20, 0x3fb8aa3b, v10
	v_sub_f32_e32 v6, v6, v9
	v_sub_f32_e32 v16, v18, v9
	v_dual_sub_f32 v7, v7, v9 :: v_dual_mul_f32 v26, 0x3fb8aa3b, v14
	v_mul_f32_e32 v9, 0x3fb8aa3b, v0
	v_dual_mul_f32 v17, 0x3fb8aa3b, v8 :: v_dual_mul_f32 v18, 0x3fb8aa3b, v11
	v_dual_mul_f32 v21, 0x3fb8aa3b, v2 :: v_dual_mul_f32 v22, 0x3fb8aa3b, v12
	;; [unrolled: 1-line block ×4, first 2 shown]
	v_fma_f32 v39, 0x3fb8aa3b, v0, -v9
	v_rndne_f32_e32 v40, v9
	v_rndne_f32_e32 v42, v17
	v_fma_f32 v43, 0x3fb8aa3b, v11, -v18
	v_rndne_f32_e32 v44, v18
	v_rndne_f32_e32 v46, v19
	v_fma_f32 v47, 0x3fb8aa3b, v10, -v20
	v_rndne_f32_e32 v48, v20
	v_fma_f32 v49, 0x3fb8aa3b, v2, -v21
	v_fma_f32 v55, 0x3fb8aa3b, v13, -v24
	v_rndne_f32_e32 v56, v24
	v_rndne_f32_e32 v60, v26
	v_fma_f32 v63, 0x3fb8aa3b, v15, -v28
	v_rndne_f32_e32 v64, v28
	v_fma_f32 v41, 0x3fb8aa3b, v8, -v17
	v_fma_f32 v45, 0x3fb8aa3b, v1, -v19
	;; [unrolled: 1-line block ×3, first 2 shown]
	v_rndne_f32_e32 v52, v22
	v_fma_f32 v59, 0x3fb8aa3b, v14, -v26
	v_dual_sub_f32 v17, v17, v42 :: v_dual_sub_f32 v18, v18, v44
	v_dual_fmac_f32 v43, 0x32a5705f, v11 :: v_dual_sub_f32 v20, v20, v48
	v_fmac_f32_e32 v39, 0x32a5705f, v0
	v_dual_sub_f32 v19, v19, v46 :: v_dual_sub_f32 v24, v24, v56
	v_dual_fmac_f32 v47, 0x32a5705f, v10 :: v_dual_sub_f32 v26, v26, v60
	v_sub_f32_e32 v9, v9, v40
	v_dual_fmac_f32 v49, 0x32a5705f, v2 :: v_dual_sub_f32 v28, v28, v64
	v_fmac_f32_e32 v63, 0x32a5705f, v15
	v_fmac_f32_e32 v55, 0x32a5705f, v13
	v_dual_fmac_f32 v45, 0x32a5705f, v1 :: v_dual_sub_f32 v22, v22, v52
	v_add_f32_e32 v18, v18, v43
	v_add_f32_e32 v20, v20, v47
	;; [unrolled: 1-line block ×3, first 2 shown]
	v_dual_add_f32 v28, v28, v63 :: v_dual_fmac_f32 v51, 0x32a5705f, v12
	v_dual_add_f32 v24, v24, v55 :: v_dual_fmac_f32 v41, 0x32a5705f, v8
	s_delay_alu instid0(VALU_DEP_3) | instskip(SKIP_1) | instid1(VALU_DEP_3)
	v_exp_f32_e32 v9, v9
	v_cvt_i32_f32_e32 v40, v40
	v_add_f32_e32 v22, v22, v51
	v_cvt_i32_f32_e32 v42, v42
	v_add_f32_e32 v17, v17, v41
	v_exp_f32_e32 v18, v18
	v_cmp_ngt_f32_e32 vcc_lo, 0xc2ce8ed0, v0
	v_cvt_i32_f32_e32 v44, v44
	v_mul_f32_e32 v25, 0x3fb8aa3b, v4
	v_exp_f32_e32 v17, v17
	v_ldexp_f32 v9, v9, v40
	v_fma_f32 v53, 0x3fb8aa3b, v3, -v23
	v_add_f32_e32 v19, v19, v45
	v_mul_f32_e32 v29, 0x3fb8aa3b, v6
	v_dual_mul_f32 v27, 0x3fb8aa3b, v5 :: v_dual_mul_f32 v30, 0x3fb8aa3b, v16
	v_cndmask_b32_e32 v9, 0, v9, vcc_lo
	v_cmp_ngt_f32_e32 vcc_lo, 0xc2ce8ed0, v8
	v_ldexp_f32 v18, v18, v44
	s_delay_alu instid0(TRANS32_DEP_1)
	v_ldexp_f32 v17, v17, v42
	v_rndne_f32_e32 v58, v25
	v_exp_f32_e32 v19, v19
	v_rndne_f32_e32 v50, v21
	v_fma_f32 v57, 0x3fb8aa3b, v4, -v25
	v_cndmask_b32_e32 v17, 0, v17, vcc_lo
	v_cmp_ngt_f32_e32 vcc_lo, 0xc2ce8ed0, v11
	v_fmac_f32_e32 v53, 0x32a5705f, v3
	v_rndne_f32_e32 v62, v27
	v_cvt_i32_f32_e32 v46, v46
	v_fma_f32 v61, 0x3fb8aa3b, v5, -v27
	v_cndmask_b32_e32 v18, 0, v18, vcc_lo
	v_cmp_nlt_f32_e32 vcc_lo, 0x42b17218, v0
	v_sub_f32_e32 v25, v25, v58
	v_rndne_f32_e32 v68, v30
	v_sub_f32_e32 v21, v21, v50
	v_exp_f32_e32 v20, v20
	v_cndmask_b32_e32 v0, 0x7f800000, v9, vcc_lo
	v_cmp_nlt_f32_e32 vcc_lo, 0x42b17218, v8
	v_sub_f32_e32 v27, v27, v62
	v_ldexp_f32 v19, v19, v46
	v_fma_f32 v67, 0x3fb8aa3b, v16, -v30
	v_cvt_i32_f32_e32 v48, v48
	v_cndmask_b32_e32 v8, 0x7f800000, v17, vcc_lo
	v_cmp_ngt_f32_e32 vcc_lo, 0xc2ce8ed0, v1
	v_dual_sub_f32 v30, v30, v68 :: v_dual_add_f32 v21, v21, v49
	s_delay_alu instid0(VALU_DEP_4)
	v_ldexp_f32 v20, v20, v48
	v_rndne_f32_e32 v54, v23
	v_cndmask_b32_e32 v9, 0, v19, vcc_lo
	v_cmp_nlt_f32_e32 vcc_lo, 0x42b17218, v11
	v_exp_f32_e32 v21, v21
	v_cvt_i32_f32_e32 v50, v50
	v_exp_f32_e32 v22, v22
	v_add_f32_e32 v17, v0, v8
	v_cndmask_b32_e32 v11, 0x7f800000, v18, vcc_lo
	v_cmp_ngt_f32_e32 vcc_lo, 0xc2ce8ed0, v10
	v_fmac_f32_e32 v59, 0x32a5705f, v14
	v_cvt_i32_f32_e32 v52, v52
	v_rndne_f32_e32 v66, v29
	v_cvt_i32_f32_e32 v60, v60
	v_cndmask_b32_e32 v18, 0, v20, vcc_lo
	v_cmp_nlt_f32_e32 vcc_lo, 0x42b17218, v1
	v_dual_sub_f32 v23, v23, v54 :: v_dual_add_f32 v26, v26, v59
	v_ldexp_f32 v21, v21, v50
	v_ldexp_f32 v22, v22, v52
	v_cndmask_b32_e32 v1, 0x7f800000, v9, vcc_lo
	v_cmp_ngt_f32_e32 vcc_lo, 0xc2ce8ed0, v2
	v_add_f32_e32 v23, v23, v53
	v_add_f32_e32 v9, v17, v11
	v_exp_f32_e32 v26, v26
	v_cvt_i32_f32_e32 v54, v54
	v_cndmask_b32_e32 v17, 0, v21, vcc_lo
	v_cmp_nlt_f32_e32 vcc_lo, 0x42b17218, v10
	v_exp_f32_e32 v23, v23
	v_fma_f32 v65, 0x3fb8aa3b, v6, -v29
	v_exp_f32_e32 v24, v24
	v_cvt_i32_f32_e32 v56, v56
	v_cndmask_b32_e32 v10, 0x7f800000, v18, vcc_lo
	v_cmp_ngt_f32_e32 vcc_lo, 0xc2ce8ed0, v12
	v_fmac_f32_e32 v61, 0x32a5705f, v5
	v_ldexp_f32 v26, v26, v60
	v_fmac_f32_e32 v67, 0x32a5705f, v16
	v_dual_fmac_f32 v57, 0x32a5705f, v4 :: v_dual_cndmask_b32 v18, 0, v22
	v_cmp_nlt_f32_e32 vcc_lo, 0x42b17218, v2
	v_sub_f32_e32 v29, v29, v66
	v_ldexp_f32 v23, v23, v54
	s_delay_alu instid0(VALU_DEP_4)
	v_dual_add_f32 v30, v30, v67 :: v_dual_add_f32 v25, v25, v57
	v_cndmask_b32_e32 v2, 0x7f800000, v17, vcc_lo
	v_cmp_ngt_f32_e32 vcc_lo, 0xc2ce8ed0, v3
	v_ldexp_f32 v24, v24, v56
	v_cvt_i32_f32_e32 v58, v58
	v_exp_f32_e32 v25, v25
	v_add_f32_e32 v27, v27, v61
	v_cndmask_b32_e32 v17, 0, v23, vcc_lo
	v_cmp_nlt_f32_e32 vcc_lo, 0x42b17218, v12
	v_rndne_f32_e32 v70, v31
	v_cvt_i32_f32_e32 v62, v62
	v_exp_f32_e32 v27, v27
	v_fma_f32 v69, 0x3fb8aa3b, v7, -v31
	v_cndmask_b32_e32 v12, 0x7f800000, v18, vcc_lo
	v_cmp_ngt_f32_e32 vcc_lo, 0xc2ce8ed0, v13
	v_ldexp_f32 v25, v25, v58
	v_exp_f32_e32 v28, v28
	v_cvt_i32_f32_e32 v64, v64
	v_cvt_i32_f32_e32 v66, v66
	v_cndmask_b32_e32 v18, 0, v24, vcc_lo
	v_cmp_nlt_f32_e32 vcc_lo, 0x42b17218, v3
	v_ldexp_f32 v27, v27, v62
	v_exp_f32_e32 v30, v30
	v_cvt_i32_f32_e32 v68, v68
	v_lshlrev_b32_e32 v39, 3, v33
	v_cndmask_b32_e32 v3, 0x7f800000, v17, vcc_lo
	v_cmp_ngt_f32_e32 vcc_lo, 0xc2ce8ed0, v4
	v_ldexp_f32 v28, v28, v64
	v_cndmask_b32_e32 v17, 0, v25, vcc_lo
	v_cmp_nlt_f32_e32 vcc_lo, 0x42b17218, v13
	s_delay_alu instid0(TRANS32_DEP_1)
	v_ldexp_f32 v30, v30, v68
	v_cndmask_b32_e32 v13, 0x7f800000, v18, vcc_lo
	v_cmp_ngt_f32_e32 vcc_lo, 0xc2ce8ed0, v14
	v_cndmask_b32_e32 v18, 0, v26, vcc_lo
	v_cmp_nlt_f32_e32 vcc_lo, 0x42b17218, v4
	v_sub_f32_e32 v31, v31, v70
	v_cvt_i32_f32_e32 v70, v70
	v_cndmask_b32_e32 v4, 0x7f800000, v17, vcc_lo
	v_cmp_ngt_f32_e32 vcc_lo, 0xc2ce8ed0, v5
	v_cndmask_b32_e32 v17, 0, v27, vcc_lo
	v_cmp_nlt_f32_e32 vcc_lo, 0x42b17218, v14
	v_cndmask_b32_e32 v14, 0x7f800000, v18, vcc_lo
	v_cmp_ngt_f32_e32 vcc_lo, 0xc2ce8ed0, v15
	v_dual_fmac_f32 v65, 0x32a5705f, v6 :: v_dual_cndmask_b32 v18, 0, v28
	s_delay_alu instid0(VALU_DEP_1) | instskip(SKIP_1) | instid1(VALU_DEP_2)
	v_add_f32_e32 v29, v29, v65
	v_cmp_nlt_f32_e32 vcc_lo, 0x42b17218, v5
	v_exp_f32_e32 v29, v29
	v_cndmask_b32_e32 v5, 0x7f800000, v17, vcc_lo
	v_cmp_ngt_f32_e32 vcc_lo, 0xc2ce8ed0, v6
	s_waitcnt_depctr 0xfff
	v_ldexp_f32 v29, v29, v66
	s_delay_alu instid0(VALU_DEP_1)
	v_cndmask_b32_e32 v17, 0, v29, vcc_lo
	v_cmp_nlt_f32_e32 vcc_lo, 0x42b17218, v15
	v_cndmask_b32_e32 v15, 0x7f800000, v18, vcc_lo
	v_cmp_ngt_f32_e32 vcc_lo, 0xc2ce8ed0, v16
	v_dual_fmac_f32 v69, 0x32a5705f, v7 :: v_dual_cndmask_b32 v18, 0, v30
	v_cmp_nlt_f32_e32 vcc_lo, 0x42b17218, v6
	s_delay_alu instid0(VALU_DEP_2) | instskip(SKIP_2) | instid1(VALU_DEP_3)
	v_add_f32_e32 v31, v31, v69
	v_cndmask_b32_e32 v6, 0x7f800000, v17, vcc_lo
	v_add_f32_e32 v9, v9, v1
	v_exp_f32_e32 v31, v31
	v_cmp_ngt_f32_e32 vcc_lo, 0xc2ce8ed0, v7
	s_delay_alu instid0(VALU_DEP_2) | instskip(NEXT) | instid1(VALU_DEP_1)
	v_add_f32_e32 v9, v9, v10
	v_add_f32_e32 v9, v9, v2
	s_waitcnt_depctr 0xfff
	v_ldexp_f32 v31, v31, v70
	v_add_f32_e32 v9, v9, v12
	s_delay_alu instid0(VALU_DEP_2) | instskip(SKIP_1) | instid1(VALU_DEP_3)
	v_cndmask_b32_e32 v17, 0, v31, vcc_lo
	v_cmp_nlt_f32_e32 vcc_lo, 0x42b17218, v16
	v_dual_add_f32 v9, v9, v3 :: v_dual_cndmask_b32 v16, 0x7f800000, v18
	v_cmp_nlt_f32_e32 vcc_lo, 0x42b17218, v7
	s_delay_alu instid0(VALU_DEP_2) | instskip(SKIP_1) | instid1(VALU_DEP_2)
	v_add_f32_e32 v9, v9, v13
	v_cndmask_b32_e32 v7, 0x7f800000, v17, vcc_lo
	v_add_f32_e32 v9, v9, v4
	s_delay_alu instid0(VALU_DEP_1) | instskip(NEXT) | instid1(VALU_DEP_1)
	v_add_f32_e32 v9, v9, v14
	v_add_f32_e32 v9, v9, v5
	s_delay_alu instid0(VALU_DEP_1) | instskip(NEXT) | instid1(VALU_DEP_1)
	v_add_f32_e32 v9, v9, v15
	;; [unrolled: 3-line block ×3, first 2 shown]
	v_add_f32_e32 v9, v9, v7
	ds_bpermute_b32 v17, v34, v9
	s_waitcnt lgkmcnt(0)
	v_add_f32_e32 v9, v9, v17
	ds_bpermute_b32 v17, v35, v9
	s_waitcnt lgkmcnt(0)
	;; [unrolled: 3-line block ×5, first 2 shown]
	v_add_f32_e32 v9, v9, v17
	s_delay_alu instid0(VALU_DEP_1) | instskip(SKIP_1) | instid1(VALU_DEP_2)
	v_div_scale_f32 v17, null, v9, v9, 1.0
	v_div_scale_f32 v20, vcc_lo, 1.0, v9, 1.0
	v_rcp_f32_e32 v18, v17
	s_waitcnt_depctr 0xfff
	v_fma_f32 v19, -v17, v18, 1.0
	s_delay_alu instid0(VALU_DEP_1) | instskip(NEXT) | instid1(VALU_DEP_1)
	v_fmac_f32_e32 v18, v19, v18
	v_mul_f32_e32 v19, v20, v18
	s_delay_alu instid0(VALU_DEP_1) | instskip(NEXT) | instid1(VALU_DEP_1)
	v_fma_f32 v21, -v17, v19, v20
	v_fmac_f32_e32 v19, v21, v18
	s_delay_alu instid0(VALU_DEP_1) | instskip(NEXT) | instid1(VALU_DEP_1)
	v_fma_f32 v17, -v17, v19, v20
	v_div_fmas_f32 v17, v17, v18, v19
	s_delay_alu instid0(VALU_DEP_1) | instskip(NEXT) | instid1(VALU_DEP_1)
	v_div_fixup_f32 v9, v17, v9, 1.0
	v_mul_f32_e32 v0, v9, v0
	v_mul_f32_e32 v8, v9, v8
	;; [unrolled: 1-line block ×5, first 2 shown]
	v_cmp_class_f32_e64 vcc_lo, v0, 0x1f8
	v_mul_f32_e32 v17, v9, v1
	v_mul_f32_e32 v10, v9, v10
	;; [unrolled: 1-line block ×3, first 2 shown]
	v_dual_mul_f32 v19, v9, v3 :: v_dual_cndmask_b32 v0, 0, v0
	v_cmp_class_f32_e64 vcc_lo, v8, 0x1f8
	v_mul_f32_e32 v21, v9, v5
	v_mul_f32_e32 v13, v9, v13
	;; [unrolled: 1-line block ×4, first 2 shown]
	v_cndmask_b32_e32 v1, 0, v8, vcc_lo
	v_cmp_class_f32_e64 vcc_lo, v11, 0x1f8
	v_mul_f32_e32 v14, v9, v14
	v_mul_f32_e32 v15, v9, v15
	;; [unrolled: 1-line block ×3, first 2 shown]
	v_cndmask_b32_e32 v2, 0, v11, vcc_lo
	v_cmp_class_f32_e64 vcc_lo, v17, 0x1f8
	v_cndmask_b32_e32 v3, 0, v17, vcc_lo
	v_cmp_class_f32_e64 vcc_lo, v10, 0x1f8
	;; [unrolled: 2-line block ×13, first 2 shown]
	v_cndmask_b32_e32 v15, 0, v23, vcc_lo
	s_cbranch_scc1 .LBB187_35
; %bb.4:
	v_lshlrev_b32_e32 v28, 2, v39
	s_clause 0x3
	global_load_b128 v[16:19], v28, s[2:3]
	global_load_b128 v[20:23], v28, s[2:3] offset:16
	global_load_b128 v[24:27], v28, s[2:3] offset:1024
	;; [unrolled: 1-line block ×3, first 2 shown]
	s_waitcnt vmcnt(3)
	v_dual_add_f32 v17, v17, v1 :: v_dual_add_f32 v16, v16, v0
	v_dual_add_f32 v19, v19, v3 :: v_dual_add_f32 v18, v18, v2
	s_waitcnt vmcnt(2)
	v_dual_add_f32 v21, v21, v5 :: v_dual_add_f32 v20, v20, v4
	v_dual_add_f32 v23, v23, v7 :: v_dual_add_f32 v22, v22, v6
	s_waitcnt vmcnt(1)
	v_dual_add_f32 v25, v25, v9 :: v_dual_add_f32 v24, v24, v8
	v_dual_add_f32 v27, v27, v11 :: v_dual_add_f32 v26, v26, v10
	s_waitcnt vmcnt(0)
	v_dual_add_f32 v29, v29, v13 :: v_dual_add_f32 v28, v28, v12
	v_dual_add_f32 v31, v31, v15 :: v_dual_add_f32 v30, v30, v14
	s_cbranch_execnz .LBB187_6
.LBB187_5:
	v_dual_mov_b32 v31, v15 :: v_dual_mov_b32 v30, v14
	v_dual_mov_b32 v29, v13 :: v_dual_mov_b32 v28, v12
	v_dual_mov_b32 v27, v11 :: v_dual_mov_b32 v26, v10
	v_dual_mov_b32 v25, v9 :: v_dual_mov_b32 v24, v8
	v_dual_mov_b32 v23, v7 :: v_dual_mov_b32 v22, v6
	v_dual_mov_b32 v21, v5 :: v_dual_mov_b32 v20, v4
	v_dual_mov_b32 v19, v3 :: v_dual_mov_b32 v18, v2
	v_dual_mov_b32 v17, v1 :: v_dual_mov_b32 v16, v0
.LBB187_6:
	s_load_b128 s[4:7], s[0:1], 0x30
	v_cmp_eq_u32_e64 s2, 0, v33
	s_waitcnt lgkmcnt(0)
	s_bitcmp1_b32 s7, 0
	s_mov_b32 s7, 0
	s_cselect_b32 vcc_lo, -1, 0
	s_cmp_gt_i32 s4, 0
	s_cselect_b32 s3, -1, 0
	s_cmp_lt_i32 s4, 1
	s_cbranch_scc1 .LBB187_36
; %bb.7:
	s_load_b128 s[8:11], s[0:1], 0x20
	v_mul_lo_u32 v41, v32, s4
	v_mov_b32_e32 v40, 0
	v_mov_b32_e32 v42, v32
	s_branch .LBB187_10
.LBB187_8:                              ;   in Loop: Header=BB187_10 Depth=1
	s_or_b32 exec_lo, exec_lo, s1
.LBB187_9:                              ;   in Loop: Header=BB187_10 Depth=1
	v_add_nc_u32_e32 v42, s14, v42
	s_cmp_eq_u32 s4, s7
	s_cbranch_scc1 .LBB187_37
.LBB187_10:                             ; =>This Inner Loop Header: Depth=1
	v_cmp_gt_f32_e64 s0, v17, v16
	s_mov_b32 s17, exec_lo
	s_delay_alu instid0(VALU_DEP_1) | instskip(SKIP_2) | instid1(VALU_DEP_3)
	v_cndmask_b32_e64 v43, v16, v17, s0
	v_cndmask_b32_e64 v44, 0, 1, s0
	;; [unrolled: 1-line block ×3, first 2 shown]
	v_cmp_gt_f32_e64 s1, v18, v43
	s_delay_alu instid0(VALU_DEP_1) | instskip(NEXT) | instid1(VALU_DEP_4)
	v_cndmask_b32_e64 v43, v43, v18, s1
	v_cndmask_b32_e64 v44, v44, 2, s1
	s_delay_alu instid0(VALU_DEP_4) | instskip(NEXT) | instid1(VALU_DEP_3)
	v_cndmask_b32_e64 v45, v45, v2, s1
	v_cmp_gt_f32_e64 s0, v19, v43
	s_delay_alu instid0(VALU_DEP_1) | instskip(NEXT) | instid1(VALU_DEP_4)
	v_cndmask_b32_e64 v43, v43, v19, s0
	v_cndmask_b32_e64 v44, v44, 3, s0
	s_delay_alu instid0(VALU_DEP_4) | instskip(NEXT) | instid1(VALU_DEP_3)
	v_cndmask_b32_e64 v45, v45, v3, s0
	;; [unrolled: 6-line block ×12, first 2 shown]
	v_cmp_gt_f32_e64 s1, v30, v43
	s_delay_alu instid0(VALU_DEP_1) | instskip(NEXT) | instid1(VALU_DEP_4)
	v_cndmask_b32_e64 v43, v43, v30, s1
	v_cndmask_b32_e64 v44, v44, 0x106, s1
	s_waitcnt lgkmcnt(0)
	v_cndmask_b32_e64 v46, v45, v14, s1
	s_delay_alu instid0(VALU_DEP_3) | instskip(NEXT) | instid1(VALU_DEP_1)
	v_cmp_gt_f32_e64 s0, v31, v43
	v_cndmask_b32_e64 v45, v43, v31, s0
	v_cndmask_b32_e64 v43, v44, 0x107, s0
	s_delay_alu instid0(VALU_DEP_4)
	v_cndmask_b32_e64 v44, v46, v15, s0
	ds_bpermute_b32 v46, v34, v45
	v_or_b32_e32 v43, v39, v43
	ds_bpermute_b32 v48, v34, v44
	ds_bpermute_b32 v47, v34, v43
	s_waitcnt lgkmcnt(0)
	v_cmp_lt_f32_e64 s16, v45, v46
	v_cmpx_nlt_f32_e32 v45, v46
; %bb.11:                               ;   in Loop: Header=BB187_10 Depth=1
	v_cmp_eq_f32_e64 s0, v45, v46
	v_cmp_lt_i32_e64 s1, v47, v43
	s_delay_alu instid0(VALU_DEP_1) | instskip(SKIP_2) | instid1(SALU_CYCLE_1)
	s_and_b32 s0, s0, s1
	s_and_not1_b32 s1, s16, exec_lo
	s_and_b32 s0, s0, exec_lo
	s_or_b32 s16, s1, s0
; %bb.12:                               ;   in Loop: Header=BB187_10 Depth=1
	s_or_b32 exec_lo, exec_lo, s17
	s_and_saveexec_b32 s0, s16
; %bb.13:                               ;   in Loop: Header=BB187_10 Depth=1
	v_dual_mov_b32 v44, v48 :: v_dual_mov_b32 v45, v46
	v_mov_b32_e32 v43, v47
; %bb.14:                               ;   in Loop: Header=BB187_10 Depth=1
	s_or_b32 exec_lo, exec_lo, s0
	ds_bpermute_b32 v47, v35, v45
	ds_bpermute_b32 v48, v35, v44
	;; [unrolled: 1-line block ×3, first 2 shown]
	s_mov_b32 s17, exec_lo
	s_waitcnt lgkmcnt(2)
	v_cmp_lt_f32_e64 s16, v45, v47
	v_cmpx_nlt_f32_e32 v45, v47
	s_cbranch_execz .LBB187_16
; %bb.15:                               ;   in Loop: Header=BB187_10 Depth=1
	v_cmp_eq_f32_e64 s0, v45, v47
	s_waitcnt lgkmcnt(0)
	v_cmp_lt_i32_e64 s1, v46, v43
	s_delay_alu instid0(VALU_DEP_1) | instskip(SKIP_2) | instid1(SALU_CYCLE_1)
	s_and_b32 s0, s0, s1
	s_and_not1_b32 s1, s16, exec_lo
	s_and_b32 s0, s0, exec_lo
	s_or_b32 s16, s1, s0
.LBB187_16:                             ;   in Loop: Header=BB187_10 Depth=1
	s_or_b32 exec_lo, exec_lo, s17
	s_delay_alu instid0(VALU_DEP_2)
	s_and_saveexec_b32 s0, s16
	s_cbranch_execz .LBB187_18
; %bb.17:                               ;   in Loop: Header=BB187_10 Depth=1
	s_waitcnt lgkmcnt(1)
	v_dual_mov_b32 v44, v48 :: v_dual_mov_b32 v45, v47
	s_waitcnt lgkmcnt(0)
	v_mov_b32_e32 v43, v46
.LBB187_18:                             ;   in Loop: Header=BB187_10 Depth=1
	s_or_b32 exec_lo, exec_lo, s0
	ds_bpermute_b32 v47, v36, v45
	s_waitcnt lgkmcnt(2)
	ds_bpermute_b32 v48, v36, v44
	s_waitcnt lgkmcnt(2)
	ds_bpermute_b32 v46, v36, v43
	s_mov_b32 s17, exec_lo
	s_waitcnt lgkmcnt(2)
	v_cmp_lt_f32_e64 s16, v45, v47
	v_cmpx_nlt_f32_e32 v45, v47
	s_cbranch_execz .LBB187_20
; %bb.19:                               ;   in Loop: Header=BB187_10 Depth=1
	v_cmp_eq_f32_e64 s0, v45, v47
	s_waitcnt lgkmcnt(0)
	v_cmp_lt_i32_e64 s1, v46, v43
	s_delay_alu instid0(VALU_DEP_1) | instskip(SKIP_2) | instid1(SALU_CYCLE_1)
	s_and_b32 s0, s0, s1
	s_and_not1_b32 s1, s16, exec_lo
	s_and_b32 s0, s0, exec_lo
	s_or_b32 s16, s1, s0
.LBB187_20:                             ;   in Loop: Header=BB187_10 Depth=1
	s_or_b32 exec_lo, exec_lo, s17
	s_delay_alu instid0(VALU_DEP_2)
	s_and_saveexec_b32 s0, s16
	s_cbranch_execz .LBB187_22
; %bb.21:                               ;   in Loop: Header=BB187_10 Depth=1
	s_waitcnt lgkmcnt(1)
	v_dual_mov_b32 v44, v48 :: v_dual_mov_b32 v45, v47
	s_waitcnt lgkmcnt(0)
	v_mov_b32_e32 v43, v46
.LBB187_22:                             ;   in Loop: Header=BB187_10 Depth=1
	s_or_b32 exec_lo, exec_lo, s0
	ds_bpermute_b32 v47, v37, v45
	s_waitcnt lgkmcnt(2)
	ds_bpermute_b32 v48, v37, v44
	s_waitcnt lgkmcnt(2)
	ds_bpermute_b32 v46, v37, v43
	s_mov_b32 s17, exec_lo
	s_waitcnt lgkmcnt(2)
	v_cmp_lt_f32_e64 s16, v45, v47
	v_cmpx_nlt_f32_e32 v45, v47
	s_cbranch_execz .LBB187_24
; %bb.23:                               ;   in Loop: Header=BB187_10 Depth=1
	v_cmp_eq_f32_e64 s0, v45, v47
	s_waitcnt lgkmcnt(0)
	v_cmp_lt_i32_e64 s1, v46, v43
	s_delay_alu instid0(VALU_DEP_1) | instskip(SKIP_2) | instid1(SALU_CYCLE_1)
	s_and_b32 s0, s0, s1
	s_and_not1_b32 s1, s16, exec_lo
	s_and_b32 s0, s0, exec_lo
	s_or_b32 s16, s1, s0
.LBB187_24:                             ;   in Loop: Header=BB187_10 Depth=1
	s_or_b32 exec_lo, exec_lo, s17
	s_delay_alu instid0(VALU_DEP_2)
	s_and_saveexec_b32 s0, s16
	s_cbranch_execz .LBB187_26
; %bb.25:                               ;   in Loop: Header=BB187_10 Depth=1
	s_waitcnt lgkmcnt(1)
	v_dual_mov_b32 v44, v48 :: v_dual_mov_b32 v45, v47
	s_waitcnt lgkmcnt(0)
	v_mov_b32_e32 v43, v46
.LBB187_26:                             ;   in Loop: Header=BB187_10 Depth=1
	s_or_b32 exec_lo, exec_lo, s0
	s_waitcnt lgkmcnt(1)
	ds_bpermute_b32 v48, v38, v45
	ds_bpermute_b32 v47, v38, v44
	s_waitcnt lgkmcnt(2)
	ds_bpermute_b32 v46, v38, v43
	s_mov_b32 s17, exec_lo
	s_waitcnt lgkmcnt(2)
	v_cmp_lt_f32_e64 s16, v45, v48
	v_cmpx_nlt_f32_e32 v45, v48
	s_cbranch_execnz .LBB187_30
; %bb.27:                               ;   in Loop: Header=BB187_10 Depth=1
	s_or_b32 exec_lo, exec_lo, s17
	s_delay_alu instid0(VALU_DEP_2)
	s_and_saveexec_b32 s0, s16
	s_cbranch_execnz .LBB187_31
.LBB187_28:                             ;   in Loop: Header=BB187_10 Depth=1
	s_or_b32 exec_lo, exec_lo, s0
	s_and_saveexec_b32 s16, s2
	s_cbranch_execnz .LBB187_32
.LBB187_29:                             ;   in Loop: Header=BB187_10 Depth=1
	s_or_b32 exec_lo, exec_lo, s16
	s_add_i32 s7, s7, 1
	s_delay_alu instid0(SALU_CYCLE_1)
	s_cmp_ge_i32 s7, s4
	s_cbranch_scc1 .LBB187_9
	s_branch .LBB187_33
.LBB187_30:                             ;   in Loop: Header=BB187_10 Depth=1
	v_cmp_eq_f32_e64 s0, v45, v48
	s_waitcnt lgkmcnt(0)
	v_cmp_lt_i32_e64 s1, v46, v43
	s_delay_alu instid0(VALU_DEP_1) | instskip(SKIP_2) | instid1(SALU_CYCLE_1)
	s_and_b32 s0, s0, s1
	s_and_not1_b32 s1, s16, exec_lo
	s_and_b32 s0, s0, exec_lo
	s_or_b32 s16, s1, s0
	s_or_b32 exec_lo, exec_lo, s17
	s_and_saveexec_b32 s0, s16
	s_cbranch_execz .LBB187_28
.LBB187_31:                             ;   in Loop: Header=BB187_10 Depth=1
	s_waitcnt lgkmcnt(0)
	v_dual_mov_b32 v44, v47 :: v_dual_mov_b32 v43, v46
	s_or_b32 exec_lo, exec_lo, s0
	s_and_saveexec_b32 s16, s2
	s_cbranch_execz .LBB187_29
.LBB187_32:                             ;   in Loop: Header=BB187_10 Depth=1
	v_add_nc_u32_e32 v45, s7, v41
	v_subrev_nc_u32_e32 v49, s5, v43
	v_cmp_le_i32_e64 s0, s5, v43
	v_cmp_gt_i32_e64 s1, s6, v43
	v_add_f32_e32 v53, v40, v44
	s_waitcnt lgkmcnt(0)
	v_ashrrev_i32_e32 v46, 31, v45
	v_ashrrev_i32_e32 v50, 31, v49
	s_and_b32 s0, s0, s1
	v_cndmask_b32_e32 v40, v40, v53, vcc_lo
	s_delay_alu instid0(VALU_DEP_3) | instskip(SKIP_2) | instid1(SALU_CYCLE_1)
	v_lshlrev_b64 v[47:48], 2, v[45:46]
	v_lshlrev_b64 v[45:46], 3, v[45:46]
	s_and_b32 s0, s15, s0
	v_cndmask_b32_e64 v50, 0, v50, s0
	v_cndmask_b32_e64 v49, 0x200, v49, s0
	s_delay_alu instid0(VALU_DEP_4) | instskip(NEXT) | instid1(VALU_DEP_1)
	v_add_co_u32 v51, s0, s12, v47
	v_add_co_ci_u32_e64 v52, s0, s13, v48, s0
	v_add_co_u32 v45, s0, s8, v45
	s_delay_alu instid0(VALU_DEP_1) | instskip(SKIP_1) | instid1(VALU_DEP_1)
	v_add_co_ci_u32_e64 v46, s0, s9, v46, s0
	v_add_co_u32 v47, s0, s10, v47
	v_add_co_ci_u32_e64 v48, s0, s11, v48, s0
	global_store_b32 v[51:52], v44, off
	global_store_b64 v[45:46], v[49:50], off
	global_store_b32 v[47:48], v42, off
	s_or_b32 exec_lo, exec_lo, s16
	s_add_i32 s7, s7, 1
	s_delay_alu instid0(SALU_CYCLE_1)
	s_cmp_ge_i32 s7, s4
	s_cbranch_scc1 .LBB187_9
.LBB187_33:                             ;   in Loop: Header=BB187_10 Depth=1
	v_ashrrev_i32_e32 v44, 31, v43
	s_mov_b32 s1, exec_lo
	s_delay_alu instid0(VALU_DEP_1) | instskip(NEXT) | instid1(VALU_DEP_1)
	v_lshrrev_b32_e32 v45, 29, v44
	v_add_nc_u32_e32 v45, v43, v45
	s_waitcnt lgkmcnt(0)
	s_delay_alu instid0(VALU_DEP_1) | instskip(SKIP_1) | instid1(VALU_DEP_2)
	v_ashrrev_i32_e32 v46, 31, v45
	v_ashrrev_i32_e32 v45, 3, v45
	v_lshrrev_b32_e32 v46, 27, v46
	s_delay_alu instid0(VALU_DEP_1) | instskip(NEXT) | instid1(VALU_DEP_1)
	v_add_nc_u32_e32 v46, v45, v46
	v_and_b32_e32 v46, 0xffffffe0, v46
	s_delay_alu instid0(VALU_DEP_1) | instskip(NEXT) | instid1(VALU_DEP_1)
	v_sub_nc_u32_e32 v46, v45, v46
	v_cmpx_eq_u32_e64 v33, v46
	s_cbranch_execz .LBB187_8
; %bb.34:                               ;   in Loop: Header=BB187_10 Depth=1
	v_lshrrev_b32_e32 v44, 24, v44
	v_lshlrev_b32_e32 v45, 3, v45
	s_delay_alu instid0(VALU_DEP_2) | instskip(NEXT) | instid1(VALU_DEP_2)
	v_add_nc_u32_e32 v44, v43, v44
	v_sub_nc_u32_e32 v43, v43, v45
	s_delay_alu instid0(VALU_DEP_2) | instskip(NEXT) | instid1(VALU_DEP_1)
	v_ashrrev_i32_e32 v44, 8, v44
	v_lshl_add_u32 v43, v44, 3, v43
	s_delay_alu instid0(VALU_DEP_1) | instskip(NEXT) | instid1(VALU_DEP_1)
	v_cmp_ne_u32_e64 s0, 15, v43
	v_cndmask_b32_e64 v31, 0xc61c4000, v31, s0
	v_cmp_ne_u32_e64 s0, 14, v43
	s_delay_alu instid0(VALU_DEP_1) | instskip(SKIP_1) | instid1(VALU_DEP_1)
	v_cndmask_b32_e64 v30, 0xc61c4000, v30, s0
	v_cmp_ne_u32_e64 s0, 13, v43
	v_cndmask_b32_e64 v29, 0xc61c4000, v29, s0
	v_cmp_ne_u32_e64 s0, 12, v43
	s_delay_alu instid0(VALU_DEP_1) | instskip(SKIP_1) | instid1(VALU_DEP_1)
	v_cndmask_b32_e64 v28, 0xc61c4000, v28, s0
	;; [unrolled: 5-line block ×7, first 2 shown]
	v_cmp_ne_u32_e64 s0, 1, v43
	v_cndmask_b32_e64 v17, 0xc61c4000, v17, s0
	v_cmp_ne_u32_e64 s0, 0, v43
	s_delay_alu instid0(VALU_DEP_1)
	v_cndmask_b32_e64 v16, 0xc61c4000, v16, s0
	s_branch .LBB187_8
.LBB187_35:
                                        ; implicit-def: $vgpr16_vgpr17_vgpr18_vgpr19_vgpr20_vgpr21_vgpr22_vgpr23_vgpr24_vgpr25_vgpr26_vgpr27_vgpr28_vgpr29_vgpr30_vgpr31
	s_and_not1_b32 vcc_lo, exec_lo, s8
	s_cbranch_vccz .LBB187_5
	s_branch .LBB187_6
.LBB187_36:
	v_mov_b32_e32 v40, 0
.LBB187_37:
	v_cmp_eq_u32_e64 s0, 0, v33
	s_delay_alu instid0(VALU_DEP_1) | instskip(NEXT) | instid1(SALU_CYCLE_1)
	s_and_b32 s0, s0, vcc_lo
	s_and_b32 exec_lo, exec_lo, s0
	s_cbranch_execz .LBB187_41
; %bb.38:
	s_and_not1_b32 vcc_lo, exec_lo, s3
	s_cbranch_vccnz .LBB187_41
; %bb.39:
	v_mul_lo_u32 v0, v32, s4
	v_cmp_lt_f32_e32 vcc_lo, 0, v40
	v_cndmask_b32_e32 v2, 1.0, v40, vcc_lo
	s_delay_alu instid0(VALU_DEP_3) | instskip(NEXT) | instid1(VALU_DEP_1)
	v_ashrrev_i32_e32 v1, 31, v0
	v_lshlrev_b64 v[0:1], 2, v[0:1]
	s_delay_alu instid0(VALU_DEP_1) | instskip(NEXT) | instid1(VALU_DEP_2)
	v_add_co_u32 v0, vcc_lo, s12, v0
	v_add_co_ci_u32_e32 v1, vcc_lo, s13, v1, vcc_lo
	.p2align	6
.LBB187_40:                             ; =>This Inner Loop Header: Depth=1
	global_load_b32 v3, v[0:1], off
	s_add_i32 s4, s4, -1
	s_delay_alu instid0(SALU_CYCLE_1) | instskip(SKIP_3) | instid1(VALU_DEP_2)
	s_cmp_lg_u32 s4, 0
	s_waitcnt vmcnt(0)
	v_div_scale_f32 v4, null, v2, v2, v3
	v_div_scale_f32 v7, vcc_lo, v3, v2, v3
	v_rcp_f32_e32 v5, v4
	s_waitcnt_depctr 0xfff
	v_fma_f32 v6, -v4, v5, 1.0
	s_delay_alu instid0(VALU_DEP_1) | instskip(NEXT) | instid1(VALU_DEP_1)
	v_fmac_f32_e32 v5, v6, v5
	v_mul_f32_e32 v6, v7, v5
	s_delay_alu instid0(VALU_DEP_1) | instskip(NEXT) | instid1(VALU_DEP_1)
	v_fma_f32 v8, -v4, v6, v7
	v_fmac_f32_e32 v6, v8, v5
	s_delay_alu instid0(VALU_DEP_1) | instskip(NEXT) | instid1(VALU_DEP_1)
	v_fma_f32 v4, -v4, v6, v7
	v_div_fmas_f32 v4, v4, v5, v6
	s_delay_alu instid0(VALU_DEP_1)
	v_div_fixup_f32 v3, v4, v2, v3
	global_store_b32 v[0:1], v3, off
	v_add_co_u32 v0, vcc_lo, v0, 4
	v_add_co_ci_u32_e32 v1, vcc_lo, 0, v1, vcc_lo
	s_cbranch_scc1 .LBB187_40
.LBB187_41:
	s_nop 0
	s_sendmsg sendmsg(MSG_DEALLOC_VGPRS)
	s_endpgm
	.section	.rodata,"a",@progbits
	.p2align	6, 0x0
	.amdhsa_kernel _ZN4vllm3moe10topkGatingILi16ELi512ELi4ELi16ELi32El14__hip_bfloat16LNS0_11ScoringFuncE0EEEvPKT5_PKbPfiPT4_PiiiibPKf
		.amdhsa_group_segment_fixed_size 0
		.amdhsa_private_segment_fixed_size 0
		.amdhsa_kernarg_size 72
		.amdhsa_user_sgpr_count 15
		.amdhsa_user_sgpr_dispatch_ptr 0
		.amdhsa_user_sgpr_queue_ptr 0
		.amdhsa_user_sgpr_kernarg_segment_ptr 1
		.amdhsa_user_sgpr_dispatch_id 0
		.amdhsa_user_sgpr_private_segment_size 0
		.amdhsa_wavefront_size32 1
		.amdhsa_uses_dynamic_stack 0
		.amdhsa_enable_private_segment 0
		.amdhsa_system_sgpr_workgroup_id_x 1
		.amdhsa_system_sgpr_workgroup_id_y 0
		.amdhsa_system_sgpr_workgroup_id_z 0
		.amdhsa_system_sgpr_workgroup_info 0
		.amdhsa_system_vgpr_workitem_id 1
		.amdhsa_next_free_vgpr 71
		.amdhsa_next_free_sgpr 18
		.amdhsa_reserve_vcc 1
		.amdhsa_float_round_mode_32 0
		.amdhsa_float_round_mode_16_64 0
		.amdhsa_float_denorm_mode_32 3
		.amdhsa_float_denorm_mode_16_64 3
		.amdhsa_dx10_clamp 1
		.amdhsa_ieee_mode 1
		.amdhsa_fp16_overflow 0
		.amdhsa_workgroup_processor_mode 1
		.amdhsa_memory_ordered 1
		.amdhsa_forward_progress 0
		.amdhsa_shared_vgpr_count 0
		.amdhsa_exception_fp_ieee_invalid_op 0
		.amdhsa_exception_fp_denorm_src 0
		.amdhsa_exception_fp_ieee_div_zero 0
		.amdhsa_exception_fp_ieee_overflow 0
		.amdhsa_exception_fp_ieee_underflow 0
		.amdhsa_exception_fp_ieee_inexact 0
		.amdhsa_exception_int_div_zero 0
	.end_amdhsa_kernel
	.section	.text._ZN4vllm3moe10topkGatingILi16ELi512ELi4ELi16ELi32El14__hip_bfloat16LNS0_11ScoringFuncE0EEEvPKT5_PKbPfiPT4_PiiiibPKf,"axG",@progbits,_ZN4vllm3moe10topkGatingILi16ELi512ELi4ELi16ELi32El14__hip_bfloat16LNS0_11ScoringFuncE0EEEvPKT5_PKbPfiPT4_PiiiibPKf,comdat
.Lfunc_end187:
	.size	_ZN4vllm3moe10topkGatingILi16ELi512ELi4ELi16ELi32El14__hip_bfloat16LNS0_11ScoringFuncE0EEEvPKT5_PKbPfiPT4_PiiiibPKf, .Lfunc_end187-_ZN4vllm3moe10topkGatingILi16ELi512ELi4ELi16ELi32El14__hip_bfloat16LNS0_11ScoringFuncE0EEEvPKT5_PKbPfiPT4_PiiiibPKf
                                        ; -- End function
	.section	.AMDGPU.csdata,"",@progbits
; Kernel info:
; codeLenInByte = 5188
; NumSgprs: 20
; NumVgprs: 71
; ScratchSize: 0
; MemoryBound: 0
; FloatMode: 240
; IeeeMode: 1
; LDSByteSize: 0 bytes/workgroup (compile time only)
; SGPRBlocks: 2
; VGPRBlocks: 8
; NumSGPRsForWavesPerEU: 20
; NumVGPRsForWavesPerEU: 71
; Occupancy: 16
; WaveLimiterHint : 1
; COMPUTE_PGM_RSRC2:SCRATCH_EN: 0
; COMPUTE_PGM_RSRC2:USER_SGPR: 15
; COMPUTE_PGM_RSRC2:TRAP_HANDLER: 0
; COMPUTE_PGM_RSRC2:TGID_X_EN: 1
; COMPUTE_PGM_RSRC2:TGID_Y_EN: 0
; COMPUTE_PGM_RSRC2:TGID_Z_EN: 0
; COMPUTE_PGM_RSRC2:TIDIG_COMP_CNT: 1
	.section	.text._ZN4vllm3moe10topkGatingILi1ELi1ELi4ELi4ELi64EifLNS0_11ScoringFuncE1EEEvPKT5_PKbPfiPT4_PiiiibPKf,"axG",@progbits,_ZN4vllm3moe10topkGatingILi1ELi1ELi4ELi4ELi64EifLNS0_11ScoringFuncE1EEEvPKT5_PKbPfiPT4_PiiiibPKf,comdat
	.protected	_ZN4vllm3moe10topkGatingILi1ELi1ELi4ELi4ELi64EifLNS0_11ScoringFuncE1EEEvPKT5_PKbPfiPT4_PiiiibPKf ; -- Begin function _ZN4vllm3moe10topkGatingILi1ELi1ELi4ELi4ELi64EifLNS0_11ScoringFuncE1EEEvPKT5_PKbPfiPT4_PiiiibPKf
	.globl	_ZN4vllm3moe10topkGatingILi1ELi1ELi4ELi4ELi64EifLNS0_11ScoringFuncE1EEEvPKT5_PKbPfiPT4_PiiiibPKf
	.p2align	8
	.type	_ZN4vllm3moe10topkGatingILi1ELi1ELi4ELi4ELi64EifLNS0_11ScoringFuncE1EEEvPKT5_PKbPfiPT4_PiiiibPKf,@function
_ZN4vllm3moe10topkGatingILi1ELi1ELi4ELi4ELi64EifLNS0_11ScoringFuncE1EEEvPKT5_PKbPfiPT4_PiiiibPKf: ; @_ZN4vllm3moe10topkGatingILi1ELi1ELi4ELi4ELi64EifLNS0_11ScoringFuncE1EEEvPKT5_PKbPfiPT4_PiiiibPKf
; %bb.0:
	s_load_b32 s3, s[0:1], 0x18
	v_bfe_u32 v1, v0, 10, 10
	v_and_b32_e32 v0, 0x3ff, v0
	s_lshl_b32 s2, s15, 8
	s_delay_alu instid0(VALU_DEP_2) | instskip(NEXT) | instid1(VALU_DEP_1)
	v_lshlrev_b32_e32 v1, 6, v1
	v_add3_u32 v0, v1, v0, s2
	s_mov_b32 s2, exec_lo
	s_waitcnt lgkmcnt(0)
	s_delay_alu instid0(VALU_DEP_1)
	v_cmpx_gt_i32_e64 s3, v0
	s_cbranch_execz .LBB188_12
; %bb.1:
	s_clause 0x1
	s_load_b128 s[8:11], s[0:1], 0x0
	s_load_b64 s[12:13], s[0:1], 0x10
	v_ashrrev_i32_e32 v1, 31, v0
	s_waitcnt lgkmcnt(0)
	s_cmp_eq_u64 s[10:11], 0
	s_cbranch_scc1 .LBB188_3
; %bb.2:
	v_add_co_u32 v2, vcc_lo, s10, v0
	v_add_co_ci_u32_e32 v3, vcc_lo, s11, v1, vcc_lo
	global_load_u8 v2, v[2:3], off
	s_waitcnt vmcnt(0)
	v_and_b32_e32 v2, 1, v2
	s_delay_alu instid0(VALU_DEP_1) | instskip(SKIP_1) | instid1(SALU_CYCLE_1)
	v_cmp_eq_u32_e32 vcc_lo, 1, v2
	s_xor_b32 s2, vcc_lo, -1
	s_or_not1_b32 s10, s2, exec_lo
	s_branch .LBB188_4
.LBB188_3:
	s_mov_b32 s10, -1
.LBB188_4:
	s_load_b128 s[4:7], s[0:1], 0x30
	s_waitcnt lgkmcnt(0)
	s_bitcmp1_b32 s7, 0
	s_cselect_b32 s2, -1, 0
	s_cmp_gt_i32 s4, 0
	s_cselect_b32 s7, -1, 0
	s_cmp_lt_i32 s4, 1
	s_cbranch_scc1 .LBB188_8
; %bb.5:
	v_lshlrev_b64 v[1:2], 2, v[0:1]
	s_load_b128 s[16:19], s[0:1], 0x20
	s_cmp_lt_i32 s5, 1
	v_mov_b32_e32 v7, 0
	s_cselect_b32 s0, -1, 0
	s_cmp_gt_i32 s6, 0
	v_add_co_u32 v1, vcc_lo, s8, v1
	v_add_co_ci_u32_e32 v2, vcc_lo, s9, v2, vcc_lo
	s_cselect_b32 s1, -1, 0
	s_delay_alu instid0(SALU_CYCLE_1) | instskip(SKIP_3) | instid1(SALU_CYCLE_1)
	s_and_b32 s0, s0, s1
	global_load_b32 v1, v[1:2], off
	s_sub_i32 s1, 0, s5
	s_and_b32 s0, s10, s0
	v_cndmask_b32_e64 v8, 1, s1, s0
	s_waitcnt vmcnt(0)
	v_mul_f32_e32 v1, 0xbfb8aa3b, v1
	s_delay_alu instid0(VALU_DEP_1) | instskip(SKIP_2) | instid1(VALU_DEP_1)
	v_exp_f32_e32 v1, v1
	s_waitcnt_depctr 0xfff
	v_add_f32_e32 v9, 1.0, v1
	v_div_scale_f32 v3, null, v9, v9, 1.0
	s_delay_alu instid0(VALU_DEP_1) | instskip(SKIP_2) | instid1(VALU_DEP_1)
	v_rcp_f32_e32 v4, v3
	s_waitcnt_depctr 0xfff
	v_fma_f32 v1, -v3, v4, 1.0
	v_fmac_f32_e32 v4, v1, v4
	v_div_scale_f32 v10, vcc_lo, 1.0, v9, 1.0
	v_mul_lo_u32 v1, v0, s4
	s_delay_alu instid0(VALU_DEP_2) | instskip(NEXT) | instid1(VALU_DEP_2)
	v_mul_f32_e32 v11, v10, v4
	v_ashrrev_i32_e32 v2, 31, v1
	s_delay_alu instid0(VALU_DEP_2) | instskip(NEXT) | instid1(VALU_DEP_1)
	v_fma_f32 v5, -v3, v11, v10
	v_fmac_f32_e32 v11, v5, v4
	s_delay_alu instid0(VALU_DEP_3) | instskip(NEXT) | instid1(VALU_DEP_2)
	v_lshlrev_b64 v[5:6], 2, v[1:2]
	v_fma_f32 v3, -v3, v11, v10
	s_delay_alu instid0(VALU_DEP_2) | instskip(NEXT) | instid1(VALU_DEP_1)
	v_add_co_u32 v1, s0, s12, v5
	v_add_co_ci_u32_e64 v2, s0, s13, v6, s0
	s_delay_alu instid0(VALU_DEP_3) | instskip(SKIP_3) | instid1(VALU_DEP_3)
	v_div_fmas_f32 v10, v3, v4, v11
	s_waitcnt lgkmcnt(0)
	v_add_co_u32 v3, vcc_lo, s16, v5
	v_add_co_ci_u32_e32 v4, vcc_lo, s17, v6, vcc_lo
	v_div_fixup_f32 v9, v10, v9, 1.0
	v_add_co_u32 v5, vcc_lo, s18, v5
	v_add_co_ci_u32_e32 v6, vcc_lo, s19, v6, vcc_lo
	s_delay_alu instid0(VALU_DEP_3)
	v_cmp_class_f32_e64 vcc_lo, v9, 0x1f8
	v_mov_b32_e32 v10, v0
	s_mov_b32 s0, s4
	v_cndmask_b32_e32 v9, 0, v9, vcc_lo
	.p2align	6
.LBB188_6:                              ; =>This Inner Loop Header: Depth=1
	global_store_b32 v[1:2], v9, off
	global_store_b32 v[3:4], v8, off
	;; [unrolled: 1-line block ×3, first 2 shown]
	v_add_co_u32 v1, vcc_lo, v1, 4
	v_add_co_ci_u32_e32 v2, vcc_lo, 0, v2, vcc_lo
	v_dual_add_f32 v11, v7, v9 :: v_dual_add_nc_u32 v10, s3, v10
	v_add_co_u32 v3, vcc_lo, v3, 4
	v_add_co_ci_u32_e32 v4, vcc_lo, 0, v4, vcc_lo
	v_add_co_u32 v5, vcc_lo, v5, 4
	s_delay_alu instid0(VALU_DEP_4) | instskip(SKIP_2) | instid1(SALU_CYCLE_1)
	v_cndmask_b32_e64 v7, v7, v11, s2
	v_add_co_ci_u32_e32 v6, vcc_lo, 0, v6, vcc_lo
	s_add_i32 s0, s0, -1
	s_cmp_lg_u32 s0, 0
	s_cbranch_scc1 .LBB188_6
; %bb.7:
	s_and_not1_b32 vcc_lo, exec_lo, s2
	s_cbranch_vccz .LBB188_9
	s_branch .LBB188_12
.LBB188_8:
	v_mov_b32_e32 v7, 0
	s_and_not1_b32 vcc_lo, exec_lo, s2
	s_cbranch_vccnz .LBB188_12
.LBB188_9:
	s_and_not1_b32 vcc_lo, exec_lo, s7
	s_cbranch_vccnz .LBB188_12
; %bb.10:
	v_mul_lo_u32 v0, v0, s4
	v_cmp_lt_f32_e32 vcc_lo, 0, v7
	v_cndmask_b32_e32 v2, 1.0, v7, vcc_lo
	s_delay_alu instid0(VALU_DEP_3) | instskip(NEXT) | instid1(VALU_DEP_1)
	v_ashrrev_i32_e32 v1, 31, v0
	v_lshlrev_b64 v[0:1], 2, v[0:1]
	s_delay_alu instid0(VALU_DEP_1) | instskip(NEXT) | instid1(VALU_DEP_2)
	v_add_co_u32 v0, vcc_lo, s12, v0
	v_add_co_ci_u32_e32 v1, vcc_lo, s13, v1, vcc_lo
	.p2align	6
.LBB188_11:                             ; =>This Inner Loop Header: Depth=1
	global_load_b32 v3, v[0:1], off
	s_add_i32 s4, s4, -1
	s_delay_alu instid0(SALU_CYCLE_1) | instskip(SKIP_3) | instid1(VALU_DEP_2)
	s_cmp_lg_u32 s4, 0
	s_waitcnt vmcnt(0)
	v_div_scale_f32 v4, null, v2, v2, v3
	v_div_scale_f32 v7, vcc_lo, v3, v2, v3
	v_rcp_f32_e32 v5, v4
	s_waitcnt_depctr 0xfff
	v_fma_f32 v6, -v4, v5, 1.0
	s_delay_alu instid0(VALU_DEP_1) | instskip(NEXT) | instid1(VALU_DEP_1)
	v_fmac_f32_e32 v5, v6, v5
	v_mul_f32_e32 v6, v7, v5
	s_delay_alu instid0(VALU_DEP_1) | instskip(NEXT) | instid1(VALU_DEP_1)
	v_fma_f32 v8, -v4, v6, v7
	v_fmac_f32_e32 v6, v8, v5
	s_delay_alu instid0(VALU_DEP_1) | instskip(NEXT) | instid1(VALU_DEP_1)
	v_fma_f32 v4, -v4, v6, v7
	v_div_fmas_f32 v4, v4, v5, v6
	s_delay_alu instid0(VALU_DEP_1)
	v_div_fixup_f32 v3, v4, v2, v3
	global_store_b32 v[0:1], v3, off
	v_add_co_u32 v0, vcc_lo, v0, 4
	v_add_co_ci_u32_e32 v1, vcc_lo, 0, v1, vcc_lo
	s_cbranch_scc1 .LBB188_11
.LBB188_12:
	s_nop 0
	s_sendmsg sendmsg(MSG_DEALLOC_VGPRS)
	s_endpgm
	.section	.rodata,"a",@progbits
	.p2align	6, 0x0
	.amdhsa_kernel _ZN4vllm3moe10topkGatingILi1ELi1ELi4ELi4ELi64EifLNS0_11ScoringFuncE1EEEvPKT5_PKbPfiPT4_PiiiibPKf
		.amdhsa_group_segment_fixed_size 0
		.amdhsa_private_segment_fixed_size 0
		.amdhsa_kernarg_size 72
		.amdhsa_user_sgpr_count 15
		.amdhsa_user_sgpr_dispatch_ptr 0
		.amdhsa_user_sgpr_queue_ptr 0
		.amdhsa_user_sgpr_kernarg_segment_ptr 1
		.amdhsa_user_sgpr_dispatch_id 0
		.amdhsa_user_sgpr_private_segment_size 0
		.amdhsa_wavefront_size32 1
		.amdhsa_uses_dynamic_stack 0
		.amdhsa_enable_private_segment 0
		.amdhsa_system_sgpr_workgroup_id_x 1
		.amdhsa_system_sgpr_workgroup_id_y 0
		.amdhsa_system_sgpr_workgroup_id_z 0
		.amdhsa_system_sgpr_workgroup_info 0
		.amdhsa_system_vgpr_workitem_id 1
		.amdhsa_next_free_vgpr 12
		.amdhsa_next_free_sgpr 20
		.amdhsa_reserve_vcc 1
		.amdhsa_float_round_mode_32 0
		.amdhsa_float_round_mode_16_64 0
		.amdhsa_float_denorm_mode_32 3
		.amdhsa_float_denorm_mode_16_64 3
		.amdhsa_dx10_clamp 1
		.amdhsa_ieee_mode 1
		.amdhsa_fp16_overflow 0
		.amdhsa_workgroup_processor_mode 1
		.amdhsa_memory_ordered 1
		.amdhsa_forward_progress 0
		.amdhsa_shared_vgpr_count 0
		.amdhsa_exception_fp_ieee_invalid_op 0
		.amdhsa_exception_fp_denorm_src 0
		.amdhsa_exception_fp_ieee_div_zero 0
		.amdhsa_exception_fp_ieee_overflow 0
		.amdhsa_exception_fp_ieee_underflow 0
		.amdhsa_exception_fp_ieee_inexact 0
		.amdhsa_exception_int_div_zero 0
	.end_amdhsa_kernel
	.section	.text._ZN4vllm3moe10topkGatingILi1ELi1ELi4ELi4ELi64EifLNS0_11ScoringFuncE1EEEvPKT5_PKbPfiPT4_PiiiibPKf,"axG",@progbits,_ZN4vllm3moe10topkGatingILi1ELi1ELi4ELi4ELi64EifLNS0_11ScoringFuncE1EEEvPKT5_PKbPfiPT4_PiiiibPKf,comdat
.Lfunc_end188:
	.size	_ZN4vllm3moe10topkGatingILi1ELi1ELi4ELi4ELi64EifLNS0_11ScoringFuncE1EEEvPKT5_PKbPfiPT4_PiiiibPKf, .Lfunc_end188-_ZN4vllm3moe10topkGatingILi1ELi1ELi4ELi4ELi64EifLNS0_11ScoringFuncE1EEEvPKT5_PKbPfiPT4_PiiiibPKf
                                        ; -- End function
	.section	.AMDGPU.csdata,"",@progbits
; Kernel info:
; codeLenInByte = 816
; NumSgprs: 22
; NumVgprs: 12
; ScratchSize: 0
; MemoryBound: 0
; FloatMode: 240
; IeeeMode: 1
; LDSByteSize: 0 bytes/workgroup (compile time only)
; SGPRBlocks: 2
; VGPRBlocks: 1
; NumSGPRsForWavesPerEU: 22
; NumVGPRsForWavesPerEU: 12
; Occupancy: 16
; WaveLimiterHint : 0
; COMPUTE_PGM_RSRC2:SCRATCH_EN: 0
; COMPUTE_PGM_RSRC2:USER_SGPR: 15
; COMPUTE_PGM_RSRC2:TRAP_HANDLER: 0
; COMPUTE_PGM_RSRC2:TGID_X_EN: 1
; COMPUTE_PGM_RSRC2:TGID_Y_EN: 0
; COMPUTE_PGM_RSRC2:TGID_Z_EN: 0
; COMPUTE_PGM_RSRC2:TIDIG_COMP_CNT: 1
	.section	.text._ZN4vllm3moe10topkGatingILi1ELi1ELi4ELi4ELi32EifLNS0_11ScoringFuncE1EEEvPKT5_PKbPfiPT4_PiiiibPKf,"axG",@progbits,_ZN4vllm3moe10topkGatingILi1ELi1ELi4ELi4ELi32EifLNS0_11ScoringFuncE1EEEvPKT5_PKbPfiPT4_PiiiibPKf,comdat
	.protected	_ZN4vllm3moe10topkGatingILi1ELi1ELi4ELi4ELi32EifLNS0_11ScoringFuncE1EEEvPKT5_PKbPfiPT4_PiiiibPKf ; -- Begin function _ZN4vllm3moe10topkGatingILi1ELi1ELi4ELi4ELi32EifLNS0_11ScoringFuncE1EEEvPKT5_PKbPfiPT4_PiiiibPKf
	.globl	_ZN4vllm3moe10topkGatingILi1ELi1ELi4ELi4ELi32EifLNS0_11ScoringFuncE1EEEvPKT5_PKbPfiPT4_PiiiibPKf
	.p2align	8
	.type	_ZN4vllm3moe10topkGatingILi1ELi1ELi4ELi4ELi32EifLNS0_11ScoringFuncE1EEEvPKT5_PKbPfiPT4_PiiiibPKf,@function
_ZN4vllm3moe10topkGatingILi1ELi1ELi4ELi4ELi32EifLNS0_11ScoringFuncE1EEEvPKT5_PKbPfiPT4_PiiiibPKf: ; @_ZN4vllm3moe10topkGatingILi1ELi1ELi4ELi4ELi32EifLNS0_11ScoringFuncE1EEEvPKT5_PKbPfiPT4_PiiiibPKf
; %bb.0:
	s_load_b32 s3, s[0:1], 0x18
	v_bfe_u32 v1, v0, 10, 10
	v_and_b32_e32 v0, 0x3ff, v0
	s_lshl_b32 s2, s15, 7
	s_delay_alu instid0(VALU_DEP_2) | instskip(NEXT) | instid1(VALU_DEP_1)
	v_lshlrev_b32_e32 v1, 5, v1
	v_add3_u32 v0, v1, v0, s2
	s_mov_b32 s2, exec_lo
	s_waitcnt lgkmcnt(0)
	s_delay_alu instid0(VALU_DEP_1)
	v_cmpx_gt_i32_e64 s3, v0
	s_cbranch_execz .LBB189_12
; %bb.1:
	s_clause 0x1
	s_load_b128 s[8:11], s[0:1], 0x0
	s_load_b64 s[12:13], s[0:1], 0x10
	v_ashrrev_i32_e32 v1, 31, v0
	s_waitcnt lgkmcnt(0)
	s_cmp_eq_u64 s[10:11], 0
	s_cbranch_scc1 .LBB189_3
; %bb.2:
	v_add_co_u32 v2, vcc_lo, s10, v0
	v_add_co_ci_u32_e32 v3, vcc_lo, s11, v1, vcc_lo
	global_load_u8 v2, v[2:3], off
	s_waitcnt vmcnt(0)
	v_and_b32_e32 v2, 1, v2
	s_delay_alu instid0(VALU_DEP_1) | instskip(SKIP_1) | instid1(SALU_CYCLE_1)
	v_cmp_eq_u32_e32 vcc_lo, 1, v2
	s_xor_b32 s2, vcc_lo, -1
	s_or_not1_b32 s10, s2, exec_lo
	s_branch .LBB189_4
.LBB189_3:
	s_mov_b32 s10, -1
.LBB189_4:
	s_load_b128 s[4:7], s[0:1], 0x30
	s_waitcnt lgkmcnt(0)
	s_bitcmp1_b32 s7, 0
	s_cselect_b32 s2, -1, 0
	s_cmp_gt_i32 s4, 0
	s_cselect_b32 s7, -1, 0
	s_cmp_lt_i32 s4, 1
	s_cbranch_scc1 .LBB189_8
; %bb.5:
	v_lshlrev_b64 v[1:2], 2, v[0:1]
	s_load_b128 s[16:19], s[0:1], 0x20
	s_cmp_lt_i32 s5, 1
	v_mov_b32_e32 v7, 0
	s_cselect_b32 s0, -1, 0
	s_cmp_gt_i32 s6, 0
	v_add_co_u32 v1, vcc_lo, s8, v1
	v_add_co_ci_u32_e32 v2, vcc_lo, s9, v2, vcc_lo
	s_cselect_b32 s1, -1, 0
	s_delay_alu instid0(SALU_CYCLE_1) | instskip(SKIP_3) | instid1(SALU_CYCLE_1)
	s_and_b32 s0, s0, s1
	global_load_b32 v1, v[1:2], off
	s_sub_i32 s1, 0, s5
	s_and_b32 s0, s10, s0
	v_cndmask_b32_e64 v8, 1, s1, s0
	s_waitcnt vmcnt(0)
	v_mul_f32_e32 v1, 0xbfb8aa3b, v1
	s_delay_alu instid0(VALU_DEP_1) | instskip(SKIP_2) | instid1(VALU_DEP_1)
	v_exp_f32_e32 v1, v1
	s_waitcnt_depctr 0xfff
	v_add_f32_e32 v9, 1.0, v1
	v_div_scale_f32 v3, null, v9, v9, 1.0
	s_delay_alu instid0(VALU_DEP_1) | instskip(SKIP_2) | instid1(VALU_DEP_1)
	v_rcp_f32_e32 v4, v3
	s_waitcnt_depctr 0xfff
	v_fma_f32 v1, -v3, v4, 1.0
	v_fmac_f32_e32 v4, v1, v4
	v_div_scale_f32 v10, vcc_lo, 1.0, v9, 1.0
	v_mul_lo_u32 v1, v0, s4
	s_delay_alu instid0(VALU_DEP_2) | instskip(NEXT) | instid1(VALU_DEP_2)
	v_mul_f32_e32 v11, v10, v4
	v_ashrrev_i32_e32 v2, 31, v1
	s_delay_alu instid0(VALU_DEP_2) | instskip(NEXT) | instid1(VALU_DEP_1)
	v_fma_f32 v5, -v3, v11, v10
	v_fmac_f32_e32 v11, v5, v4
	s_delay_alu instid0(VALU_DEP_3) | instskip(NEXT) | instid1(VALU_DEP_2)
	v_lshlrev_b64 v[5:6], 2, v[1:2]
	v_fma_f32 v3, -v3, v11, v10
	s_delay_alu instid0(VALU_DEP_2) | instskip(NEXT) | instid1(VALU_DEP_1)
	v_add_co_u32 v1, s0, s12, v5
	v_add_co_ci_u32_e64 v2, s0, s13, v6, s0
	s_delay_alu instid0(VALU_DEP_3) | instskip(SKIP_3) | instid1(VALU_DEP_3)
	v_div_fmas_f32 v10, v3, v4, v11
	s_waitcnt lgkmcnt(0)
	v_add_co_u32 v3, vcc_lo, s16, v5
	v_add_co_ci_u32_e32 v4, vcc_lo, s17, v6, vcc_lo
	v_div_fixup_f32 v9, v10, v9, 1.0
	v_add_co_u32 v5, vcc_lo, s18, v5
	v_add_co_ci_u32_e32 v6, vcc_lo, s19, v6, vcc_lo
	s_delay_alu instid0(VALU_DEP_3)
	v_cmp_class_f32_e64 vcc_lo, v9, 0x1f8
	v_mov_b32_e32 v10, v0
	s_mov_b32 s0, s4
	v_cndmask_b32_e32 v9, 0, v9, vcc_lo
	.p2align	6
.LBB189_6:                              ; =>This Inner Loop Header: Depth=1
	global_store_b32 v[1:2], v9, off
	global_store_b32 v[3:4], v8, off
	;; [unrolled: 1-line block ×3, first 2 shown]
	v_add_co_u32 v1, vcc_lo, v1, 4
	v_add_co_ci_u32_e32 v2, vcc_lo, 0, v2, vcc_lo
	v_dual_add_f32 v11, v7, v9 :: v_dual_add_nc_u32 v10, s3, v10
	v_add_co_u32 v3, vcc_lo, v3, 4
	v_add_co_ci_u32_e32 v4, vcc_lo, 0, v4, vcc_lo
	v_add_co_u32 v5, vcc_lo, v5, 4
	s_delay_alu instid0(VALU_DEP_4) | instskip(SKIP_2) | instid1(SALU_CYCLE_1)
	v_cndmask_b32_e64 v7, v7, v11, s2
	v_add_co_ci_u32_e32 v6, vcc_lo, 0, v6, vcc_lo
	s_add_i32 s0, s0, -1
	s_cmp_lg_u32 s0, 0
	s_cbranch_scc1 .LBB189_6
; %bb.7:
	s_and_not1_b32 vcc_lo, exec_lo, s2
	s_cbranch_vccz .LBB189_9
	s_branch .LBB189_12
.LBB189_8:
	v_mov_b32_e32 v7, 0
	s_and_not1_b32 vcc_lo, exec_lo, s2
	s_cbranch_vccnz .LBB189_12
.LBB189_9:
	s_and_not1_b32 vcc_lo, exec_lo, s7
	s_cbranch_vccnz .LBB189_12
; %bb.10:
	v_mul_lo_u32 v0, v0, s4
	v_cmp_lt_f32_e32 vcc_lo, 0, v7
	v_cndmask_b32_e32 v2, 1.0, v7, vcc_lo
	s_delay_alu instid0(VALU_DEP_3) | instskip(NEXT) | instid1(VALU_DEP_1)
	v_ashrrev_i32_e32 v1, 31, v0
	v_lshlrev_b64 v[0:1], 2, v[0:1]
	s_delay_alu instid0(VALU_DEP_1) | instskip(NEXT) | instid1(VALU_DEP_2)
	v_add_co_u32 v0, vcc_lo, s12, v0
	v_add_co_ci_u32_e32 v1, vcc_lo, s13, v1, vcc_lo
	.p2align	6
.LBB189_11:                             ; =>This Inner Loop Header: Depth=1
	global_load_b32 v3, v[0:1], off
	s_add_i32 s4, s4, -1
	s_delay_alu instid0(SALU_CYCLE_1) | instskip(SKIP_3) | instid1(VALU_DEP_2)
	s_cmp_lg_u32 s4, 0
	s_waitcnt vmcnt(0)
	v_div_scale_f32 v4, null, v2, v2, v3
	v_div_scale_f32 v7, vcc_lo, v3, v2, v3
	v_rcp_f32_e32 v5, v4
	s_waitcnt_depctr 0xfff
	v_fma_f32 v6, -v4, v5, 1.0
	s_delay_alu instid0(VALU_DEP_1) | instskip(NEXT) | instid1(VALU_DEP_1)
	v_fmac_f32_e32 v5, v6, v5
	v_mul_f32_e32 v6, v7, v5
	s_delay_alu instid0(VALU_DEP_1) | instskip(NEXT) | instid1(VALU_DEP_1)
	v_fma_f32 v8, -v4, v6, v7
	v_fmac_f32_e32 v6, v8, v5
	s_delay_alu instid0(VALU_DEP_1) | instskip(NEXT) | instid1(VALU_DEP_1)
	v_fma_f32 v4, -v4, v6, v7
	v_div_fmas_f32 v4, v4, v5, v6
	s_delay_alu instid0(VALU_DEP_1)
	v_div_fixup_f32 v3, v4, v2, v3
	global_store_b32 v[0:1], v3, off
	v_add_co_u32 v0, vcc_lo, v0, 4
	v_add_co_ci_u32_e32 v1, vcc_lo, 0, v1, vcc_lo
	s_cbranch_scc1 .LBB189_11
.LBB189_12:
	s_nop 0
	s_sendmsg sendmsg(MSG_DEALLOC_VGPRS)
	s_endpgm
	.section	.rodata,"a",@progbits
	.p2align	6, 0x0
	.amdhsa_kernel _ZN4vllm3moe10topkGatingILi1ELi1ELi4ELi4ELi32EifLNS0_11ScoringFuncE1EEEvPKT5_PKbPfiPT4_PiiiibPKf
		.amdhsa_group_segment_fixed_size 0
		.amdhsa_private_segment_fixed_size 0
		.amdhsa_kernarg_size 72
		.amdhsa_user_sgpr_count 15
		.amdhsa_user_sgpr_dispatch_ptr 0
		.amdhsa_user_sgpr_queue_ptr 0
		.amdhsa_user_sgpr_kernarg_segment_ptr 1
		.amdhsa_user_sgpr_dispatch_id 0
		.amdhsa_user_sgpr_private_segment_size 0
		.amdhsa_wavefront_size32 1
		.amdhsa_uses_dynamic_stack 0
		.amdhsa_enable_private_segment 0
		.amdhsa_system_sgpr_workgroup_id_x 1
		.amdhsa_system_sgpr_workgroup_id_y 0
		.amdhsa_system_sgpr_workgroup_id_z 0
		.amdhsa_system_sgpr_workgroup_info 0
		.amdhsa_system_vgpr_workitem_id 1
		.amdhsa_next_free_vgpr 12
		.amdhsa_next_free_sgpr 20
		.amdhsa_reserve_vcc 1
		.amdhsa_float_round_mode_32 0
		.amdhsa_float_round_mode_16_64 0
		.amdhsa_float_denorm_mode_32 3
		.amdhsa_float_denorm_mode_16_64 3
		.amdhsa_dx10_clamp 1
		.amdhsa_ieee_mode 1
		.amdhsa_fp16_overflow 0
		.amdhsa_workgroup_processor_mode 1
		.amdhsa_memory_ordered 1
		.amdhsa_forward_progress 0
		.amdhsa_shared_vgpr_count 0
		.amdhsa_exception_fp_ieee_invalid_op 0
		.amdhsa_exception_fp_denorm_src 0
		.amdhsa_exception_fp_ieee_div_zero 0
		.amdhsa_exception_fp_ieee_overflow 0
		.amdhsa_exception_fp_ieee_underflow 0
		.amdhsa_exception_fp_ieee_inexact 0
		.amdhsa_exception_int_div_zero 0
	.end_amdhsa_kernel
	.section	.text._ZN4vllm3moe10topkGatingILi1ELi1ELi4ELi4ELi32EifLNS0_11ScoringFuncE1EEEvPKT5_PKbPfiPT4_PiiiibPKf,"axG",@progbits,_ZN4vllm3moe10topkGatingILi1ELi1ELi4ELi4ELi32EifLNS0_11ScoringFuncE1EEEvPKT5_PKbPfiPT4_PiiiibPKf,comdat
.Lfunc_end189:
	.size	_ZN4vllm3moe10topkGatingILi1ELi1ELi4ELi4ELi32EifLNS0_11ScoringFuncE1EEEvPKT5_PKbPfiPT4_PiiiibPKf, .Lfunc_end189-_ZN4vllm3moe10topkGatingILi1ELi1ELi4ELi4ELi32EifLNS0_11ScoringFuncE1EEEvPKT5_PKbPfiPT4_PiiiibPKf
                                        ; -- End function
	.section	.AMDGPU.csdata,"",@progbits
; Kernel info:
; codeLenInByte = 816
; NumSgprs: 22
; NumVgprs: 12
; ScratchSize: 0
; MemoryBound: 0
; FloatMode: 240
; IeeeMode: 1
; LDSByteSize: 0 bytes/workgroup (compile time only)
; SGPRBlocks: 2
; VGPRBlocks: 1
; NumSGPRsForWavesPerEU: 22
; NumVGPRsForWavesPerEU: 12
; Occupancy: 16
; WaveLimiterHint : 0
; COMPUTE_PGM_RSRC2:SCRATCH_EN: 0
; COMPUTE_PGM_RSRC2:USER_SGPR: 15
; COMPUTE_PGM_RSRC2:TRAP_HANDLER: 0
; COMPUTE_PGM_RSRC2:TGID_X_EN: 1
; COMPUTE_PGM_RSRC2:TGID_Y_EN: 0
; COMPUTE_PGM_RSRC2:TGID_Z_EN: 0
; COMPUTE_PGM_RSRC2:TIDIG_COMP_CNT: 1
	.section	.text._ZN4vllm3moe10topkGatingILi2ELi2ELi4ELi8ELi64EifLNS0_11ScoringFuncE1EEEvPKT5_PKbPfiPT4_PiiiibPKf,"axG",@progbits,_ZN4vllm3moe10topkGatingILi2ELi2ELi4ELi8ELi64EifLNS0_11ScoringFuncE1EEEvPKT5_PKbPfiPT4_PiiiibPKf,comdat
	.protected	_ZN4vllm3moe10topkGatingILi2ELi2ELi4ELi8ELi64EifLNS0_11ScoringFuncE1EEEvPKT5_PKbPfiPT4_PiiiibPKf ; -- Begin function _ZN4vllm3moe10topkGatingILi2ELi2ELi4ELi8ELi64EifLNS0_11ScoringFuncE1EEEvPKT5_PKbPfiPT4_PiiiibPKf
	.globl	_ZN4vllm3moe10topkGatingILi2ELi2ELi4ELi8ELi64EifLNS0_11ScoringFuncE1EEEvPKT5_PKbPfiPT4_PiiiibPKf
	.p2align	8
	.type	_ZN4vllm3moe10topkGatingILi2ELi2ELi4ELi8ELi64EifLNS0_11ScoringFuncE1EEEvPKT5_PKbPfiPT4_PiiiibPKf,@function
_ZN4vllm3moe10topkGatingILi2ELi2ELi4ELi8ELi64EifLNS0_11ScoringFuncE1EEEvPKT5_PKbPfiPT4_PiiiibPKf: ; @_ZN4vllm3moe10topkGatingILi2ELi2ELi4ELi8ELi64EifLNS0_11ScoringFuncE1EEEvPKT5_PKbPfiPT4_PiiiibPKf
; %bb.0:
	s_load_b32 s3, s[0:1], 0x18
	v_bfe_u32 v1, v0, 10, 10
	v_and_b32_e32 v0, 0x3ff, v0
	s_lshl_b32 s2, s15, 8
	s_delay_alu instid0(VALU_DEP_2) | instskip(NEXT) | instid1(VALU_DEP_1)
	v_lshlrev_b32_e32 v1, 6, v1
	v_add3_u32 v10, v1, v0, s2
	s_mov_b32 s2, exec_lo
	s_waitcnt lgkmcnt(0)
	s_delay_alu instid0(VALU_DEP_1)
	v_cmpx_gt_i32_e64 s3, v10
	s_cbranch_execz .LBB190_14
; %bb.1:
	s_clause 0x1
	s_load_b128 s[4:7], s[0:1], 0x0
	s_load_b64 s[8:9], s[0:1], 0x10
	s_waitcnt lgkmcnt(0)
	s_cmp_eq_u64 s[6:7], 0
	s_cbranch_scc1 .LBB190_3
; %bb.2:
	v_ashrrev_i32_e32 v1, 31, v10
	v_add_co_u32 v0, vcc_lo, s6, v10
	s_delay_alu instid0(VALU_DEP_2) | instskip(SKIP_3) | instid1(VALU_DEP_1)
	v_add_co_ci_u32_e32 v1, vcc_lo, s7, v1, vcc_lo
	global_load_u8 v0, v[0:1], off
	s_waitcnt vmcnt(0)
	v_and_b32_e32 v0, 1, v0
	v_cmp_eq_u32_e32 vcc_lo, 1, v0
	s_xor_b32 s2, vcc_lo, -1
	s_delay_alu instid0(SALU_CYCLE_1)
	s_or_not1_b32 s10, s2, exec_lo
	s_branch .LBB190_4
.LBB190_3:
	s_mov_b32 s10, -1
.LBB190_4:
	v_lshlrev_b32_e32 v0, 1, v10
	s_delay_alu instid0(VALU_DEP_1) | instskip(NEXT) | instid1(VALU_DEP_1)
	v_ashrrev_i32_e32 v1, 31, v0
	v_lshlrev_b64 v[0:1], 2, v[0:1]
	s_delay_alu instid0(VALU_DEP_1) | instskip(NEXT) | instid1(VALU_DEP_2)
	v_add_co_u32 v0, vcc_lo, s4, v0
	v_add_co_ci_u32_e32 v1, vcc_lo, s5, v1, vcc_lo
	s_load_b64 s[4:5], s[0:1], 0x40
	global_load_b64 v[0:1], v[0:1], off
	s_waitcnt lgkmcnt(0)
	s_cmp_eq_u64 s[4:5], 0
	s_waitcnt vmcnt(0)
	v_mul_f32_e32 v1, 0xbfb8aa3b, v1
	s_delay_alu instid0(VALU_DEP_1) | instskip(SKIP_2) | instid1(VALU_DEP_1)
	v_exp_f32_e32 v1, v1
	s_waitcnt_depctr 0xfff
	v_dual_mul_f32 v0, 0xbfb8aa3b, v0 :: v_dual_add_f32 v1, 1.0, v1
	v_exp_f32_e32 v0, v0
	s_delay_alu instid0(VALU_DEP_1) | instskip(NEXT) | instid1(VALU_DEP_1)
	v_div_scale_f32 v3, null, v1, v1, 1.0
	v_rcp_f32_e32 v5, v3
	s_waitcnt_depctr 0xfff
	v_fma_f32 v7, -v3, v5, 1.0
	s_delay_alu instid0(VALU_DEP_1) | instskip(NEXT) | instid1(VALU_DEP_1)
	v_dual_add_f32 v0, 1.0, v0 :: v_dual_fmac_f32 v5, v7, v5
	v_div_scale_f32 v2, null, v0, v0, 1.0
	v_div_scale_f32 v8, vcc_lo, 1.0, v0, 1.0
	s_delay_alu instid0(VALU_DEP_2) | instskip(SKIP_2) | instid1(VALU_DEP_1)
	v_rcp_f32_e32 v4, v2
	s_waitcnt_depctr 0xfff
	v_fma_f32 v6, -v2, v4, 1.0
	v_fmac_f32_e32 v4, v6, v4
	v_div_scale_f32 v6, s2, 1.0, v1, 1.0
	s_delay_alu instid0(VALU_DEP_1) | instskip(NEXT) | instid1(VALU_DEP_1)
	v_mul_f32_e32 v9, v6, v5
	v_fma_f32 v12, -v3, v9, v6
	s_delay_alu instid0(VALU_DEP_1) | instskip(SKIP_1) | instid1(VALU_DEP_2)
	v_fmac_f32_e32 v9, v12, v5
	v_mul_f32_e32 v7, v8, v4
	v_fma_f32 v3, -v3, v9, v6
	s_delay_alu instid0(VALU_DEP_2) | instskip(NEXT) | instid1(VALU_DEP_1)
	v_fma_f32 v11, -v2, v7, v8
	v_fmac_f32_e32 v7, v11, v4
	s_delay_alu instid0(VALU_DEP_1) | instskip(NEXT) | instid1(VALU_DEP_1)
	v_fma_f32 v2, -v2, v7, v8
	v_div_fmas_f32 v2, v2, v4, v7
	s_mov_b32 vcc_lo, s2
	v_div_fmas_f32 v3, v3, v5, v9
	s_delay_alu instid0(VALU_DEP_2) | instskip(NEXT) | instid1(VALU_DEP_2)
	v_div_fixup_f32 v0, v2, v0, 1.0
	v_div_fixup_f32 v1, v3, v1, 1.0
	s_delay_alu instid0(VALU_DEP_2) | instskip(SKIP_1) | instid1(VALU_DEP_3)
	v_cmp_class_f32_e64 vcc_lo, v0, 0x1f8
	v_cndmask_b32_e32 v0, 0, v0, vcc_lo
	v_cmp_class_f32_e64 vcc_lo, v1, 0x1f8
	v_cndmask_b32_e32 v1, 0, v1, vcc_lo
	s_delay_alu instid0(VALU_DEP_1)
	v_dual_mov_b32 v3, v1 :: v_dual_mov_b32 v2, v0
	s_cbranch_scc1 .LBB190_6
; %bb.5:
	s_load_b64 s[4:5], s[4:5], 0x0
	s_waitcnt lgkmcnt(0)
	v_dual_add_f32 v2, s4, v0 :: v_dual_add_f32 v3, s5, v1
.LBB190_6:
	s_load_b128 s[4:7], s[0:1], 0x30
	s_waitcnt lgkmcnt(0)
	s_bitcmp1_b32 s7, 0
	s_cselect_b32 vcc_lo, -1, 0
	s_cmp_gt_i32 s4, 0
	s_cselect_b32 s7, -1, 0
	s_cmp_lt_i32 s4, 1
	s_cbranch_scc1 .LBB190_10
; %bb.7:
	v_mul_lo_u32 v4, v10, s4
	s_load_b128 s[12:15], s[0:1], 0x20
	v_dual_mov_b32 v11, 0 :: v_dual_mov_b32 v12, v10
	s_mov_b32 s11, 0
	s_delay_alu instid0(VALU_DEP_2) | instskip(NEXT) | instid1(VALU_DEP_1)
	v_ashrrev_i32_e32 v5, 31, v4
	v_lshlrev_b64 v[8:9], 2, v[4:5]
	s_delay_alu instid0(VALU_DEP_1) | instskip(NEXT) | instid1(VALU_DEP_1)
	v_add_co_u32 v4, s0, s8, v8
	v_add_co_ci_u32_e64 v5, s0, s9, v9, s0
	s_waitcnt lgkmcnt(0)
	v_add_co_u32 v6, s0, s12, v8
	s_delay_alu instid0(VALU_DEP_1) | instskip(SKIP_1) | instid1(VALU_DEP_1)
	v_add_co_ci_u32_e64 v7, s0, s13, v9, s0
	v_add_co_u32 v8, s0, s14, v8
	v_add_co_ci_u32_e64 v9, s0, s15, v9, s0
.LBB190_8:                              ; =>This Inner Loop Header: Depth=1
	v_cmp_gt_f32_e64 s0, v3, v2
	s_add_i32 s11, s11, 1
	s_delay_alu instid0(VALU_DEP_1) | instskip(SKIP_3) | instid1(VALU_DEP_4)
	v_cndmask_b32_e64 v13, 0, 1, s0
	v_cndmask_b32_e64 v14, v0, v1, s0
	;; [unrolled: 1-line block ×4, first 2 shown]
	v_cmp_le_i32_e64 s1, s5, v13
	v_cmp_gt_i32_e64 s2, s6, v13
	v_subrev_nc_u32_e32 v13, s5, v13
	global_store_b32 v[4:5], v14, off
	v_add_f32_e32 v16, v11, v14
	s_and_b32 s1, s1, s2
	s_delay_alu instid0(SALU_CYCLE_1)
	s_and_b32 s1, s10, s1
	s_cmp_lt_i32 s11, s4
	v_cndmask_b32_e64 v13, 2, v13, s1
	s_cselect_b32 s0, -1, 0
	v_cndmask_b32_e32 v11, v11, v16, vcc_lo
	v_cndmask_b32_e64 v3, v3, v17, s0
	v_cndmask_b32_e64 v2, v2, v15, s0
	v_add_co_u32 v4, s0, v4, 4
	s_delay_alu instid0(VALU_DEP_1) | instskip(SKIP_3) | instid1(VALU_DEP_1)
	v_add_co_ci_u32_e64 v5, s0, 0, v5, s0
	global_store_b32 v[6:7], v13, off
	global_store_b32 v[8:9], v12, off
	v_add_co_u32 v6, s0, v6, 4
	v_add_co_ci_u32_e64 v7, s0, 0, v7, s0
	v_add_co_u32 v8, s0, v8, 4
	v_add_nc_u32_e32 v12, s3, v12
	v_add_co_ci_u32_e64 v9, s0, 0, v9, s0
	s_cmp_eq_u32 s4, s11
	s_cbranch_scc0 .LBB190_8
; %bb.9:
	s_and_b32 vcc_lo, exec_lo, vcc_lo
	s_cbranch_vccnz .LBB190_11
	s_branch .LBB190_14
.LBB190_10:
	v_mov_b32_e32 v11, 0
	s_and_b32 vcc_lo, exec_lo, vcc_lo
	s_cbranch_vccz .LBB190_14
.LBB190_11:
	s_and_not1_b32 vcc_lo, exec_lo, s7
	s_cbranch_vccnz .LBB190_14
; %bb.12:
	v_mul_lo_u32 v0, v10, s4
	v_cmp_lt_f32_e32 vcc_lo, 0, v11
	v_cndmask_b32_e32 v2, 1.0, v11, vcc_lo
	s_delay_alu instid0(VALU_DEP_3) | instskip(NEXT) | instid1(VALU_DEP_1)
	v_ashrrev_i32_e32 v1, 31, v0
	v_lshlrev_b64 v[0:1], 2, v[0:1]
	s_delay_alu instid0(VALU_DEP_1) | instskip(NEXT) | instid1(VALU_DEP_2)
	v_add_co_u32 v0, vcc_lo, s8, v0
	v_add_co_ci_u32_e32 v1, vcc_lo, s9, v1, vcc_lo
	.p2align	6
.LBB190_13:                             ; =>This Inner Loop Header: Depth=1
	global_load_b32 v3, v[0:1], off
	s_add_i32 s4, s4, -1
	s_delay_alu instid0(SALU_CYCLE_1) | instskip(SKIP_3) | instid1(VALU_DEP_2)
	s_cmp_lg_u32 s4, 0
	s_waitcnt vmcnt(0)
	v_div_scale_f32 v4, null, v2, v2, v3
	v_div_scale_f32 v7, vcc_lo, v3, v2, v3
	v_rcp_f32_e32 v5, v4
	s_waitcnt_depctr 0xfff
	v_fma_f32 v6, -v4, v5, 1.0
	s_delay_alu instid0(VALU_DEP_1) | instskip(NEXT) | instid1(VALU_DEP_1)
	v_fmac_f32_e32 v5, v6, v5
	v_mul_f32_e32 v6, v7, v5
	s_delay_alu instid0(VALU_DEP_1) | instskip(NEXT) | instid1(VALU_DEP_1)
	v_fma_f32 v8, -v4, v6, v7
	v_fmac_f32_e32 v6, v8, v5
	s_delay_alu instid0(VALU_DEP_1) | instskip(NEXT) | instid1(VALU_DEP_1)
	v_fma_f32 v4, -v4, v6, v7
	v_div_fmas_f32 v4, v4, v5, v6
	s_delay_alu instid0(VALU_DEP_1)
	v_div_fixup_f32 v3, v4, v2, v3
	global_store_b32 v[0:1], v3, off
	v_add_co_u32 v0, vcc_lo, v0, 4
	v_add_co_ci_u32_e32 v1, vcc_lo, 0, v1, vcc_lo
	s_cbranch_scc1 .LBB190_13
.LBB190_14:
	s_nop 0
	s_sendmsg sendmsg(MSG_DEALLOC_VGPRS)
	s_endpgm
	.section	.rodata,"a",@progbits
	.p2align	6, 0x0
	.amdhsa_kernel _ZN4vllm3moe10topkGatingILi2ELi2ELi4ELi8ELi64EifLNS0_11ScoringFuncE1EEEvPKT5_PKbPfiPT4_PiiiibPKf
		.amdhsa_group_segment_fixed_size 0
		.amdhsa_private_segment_fixed_size 0
		.amdhsa_kernarg_size 72
		.amdhsa_user_sgpr_count 15
		.amdhsa_user_sgpr_dispatch_ptr 0
		.amdhsa_user_sgpr_queue_ptr 0
		.amdhsa_user_sgpr_kernarg_segment_ptr 1
		.amdhsa_user_sgpr_dispatch_id 0
		.amdhsa_user_sgpr_private_segment_size 0
		.amdhsa_wavefront_size32 1
		.amdhsa_uses_dynamic_stack 0
		.amdhsa_enable_private_segment 0
		.amdhsa_system_sgpr_workgroup_id_x 1
		.amdhsa_system_sgpr_workgroup_id_y 0
		.amdhsa_system_sgpr_workgroup_id_z 0
		.amdhsa_system_sgpr_workgroup_info 0
		.amdhsa_system_vgpr_workitem_id 1
		.amdhsa_next_free_vgpr 18
		.amdhsa_next_free_sgpr 16
		.amdhsa_reserve_vcc 1
		.amdhsa_float_round_mode_32 0
		.amdhsa_float_round_mode_16_64 0
		.amdhsa_float_denorm_mode_32 3
		.amdhsa_float_denorm_mode_16_64 3
		.amdhsa_dx10_clamp 1
		.amdhsa_ieee_mode 1
		.amdhsa_fp16_overflow 0
		.amdhsa_workgroup_processor_mode 1
		.amdhsa_memory_ordered 1
		.amdhsa_forward_progress 0
		.amdhsa_shared_vgpr_count 0
		.amdhsa_exception_fp_ieee_invalid_op 0
		.amdhsa_exception_fp_denorm_src 0
		.amdhsa_exception_fp_ieee_div_zero 0
		.amdhsa_exception_fp_ieee_overflow 0
		.amdhsa_exception_fp_ieee_underflow 0
		.amdhsa_exception_fp_ieee_inexact 0
		.amdhsa_exception_int_div_zero 0
	.end_amdhsa_kernel
	.section	.text._ZN4vllm3moe10topkGatingILi2ELi2ELi4ELi8ELi64EifLNS0_11ScoringFuncE1EEEvPKT5_PKbPfiPT4_PiiiibPKf,"axG",@progbits,_ZN4vllm3moe10topkGatingILi2ELi2ELi4ELi8ELi64EifLNS0_11ScoringFuncE1EEEvPKT5_PKbPfiPT4_PiiiibPKf,comdat
.Lfunc_end190:
	.size	_ZN4vllm3moe10topkGatingILi2ELi2ELi4ELi8ELi64EifLNS0_11ScoringFuncE1EEEvPKT5_PKbPfiPT4_PiiiibPKf, .Lfunc_end190-_ZN4vllm3moe10topkGatingILi2ELi2ELi4ELi8ELi64EifLNS0_11ScoringFuncE1EEEvPKT5_PKbPfiPT4_PiiiibPKf
                                        ; -- End function
	.section	.AMDGPU.csdata,"",@progbits
; Kernel info:
; codeLenInByte = 1112
; NumSgprs: 18
; NumVgprs: 18
; ScratchSize: 0
; MemoryBound: 0
; FloatMode: 240
; IeeeMode: 1
; LDSByteSize: 0 bytes/workgroup (compile time only)
; SGPRBlocks: 2
; VGPRBlocks: 2
; NumSGPRsForWavesPerEU: 18
; NumVGPRsForWavesPerEU: 18
; Occupancy: 16
; WaveLimiterHint : 0
; COMPUTE_PGM_RSRC2:SCRATCH_EN: 0
; COMPUTE_PGM_RSRC2:USER_SGPR: 15
; COMPUTE_PGM_RSRC2:TRAP_HANDLER: 0
; COMPUTE_PGM_RSRC2:TGID_X_EN: 1
; COMPUTE_PGM_RSRC2:TGID_Y_EN: 0
; COMPUTE_PGM_RSRC2:TGID_Z_EN: 0
; COMPUTE_PGM_RSRC2:TIDIG_COMP_CNT: 1
	.section	.text._ZN4vllm3moe10topkGatingILi2ELi2ELi4ELi8ELi32EifLNS0_11ScoringFuncE1EEEvPKT5_PKbPfiPT4_PiiiibPKf,"axG",@progbits,_ZN4vllm3moe10topkGatingILi2ELi2ELi4ELi8ELi32EifLNS0_11ScoringFuncE1EEEvPKT5_PKbPfiPT4_PiiiibPKf,comdat
	.protected	_ZN4vllm3moe10topkGatingILi2ELi2ELi4ELi8ELi32EifLNS0_11ScoringFuncE1EEEvPKT5_PKbPfiPT4_PiiiibPKf ; -- Begin function _ZN4vllm3moe10topkGatingILi2ELi2ELi4ELi8ELi32EifLNS0_11ScoringFuncE1EEEvPKT5_PKbPfiPT4_PiiiibPKf
	.globl	_ZN4vllm3moe10topkGatingILi2ELi2ELi4ELi8ELi32EifLNS0_11ScoringFuncE1EEEvPKT5_PKbPfiPT4_PiiiibPKf
	.p2align	8
	.type	_ZN4vllm3moe10topkGatingILi2ELi2ELi4ELi8ELi32EifLNS0_11ScoringFuncE1EEEvPKT5_PKbPfiPT4_PiiiibPKf,@function
_ZN4vllm3moe10topkGatingILi2ELi2ELi4ELi8ELi32EifLNS0_11ScoringFuncE1EEEvPKT5_PKbPfiPT4_PiiiibPKf: ; @_ZN4vllm3moe10topkGatingILi2ELi2ELi4ELi8ELi32EifLNS0_11ScoringFuncE1EEEvPKT5_PKbPfiPT4_PiiiibPKf
; %bb.0:
	s_load_b32 s3, s[0:1], 0x18
	v_bfe_u32 v1, v0, 10, 10
	v_and_b32_e32 v0, 0x3ff, v0
	s_lshl_b32 s2, s15, 7
	s_delay_alu instid0(VALU_DEP_2) | instskip(NEXT) | instid1(VALU_DEP_1)
	v_lshlrev_b32_e32 v1, 5, v1
	v_add3_u32 v10, v1, v0, s2
	s_mov_b32 s2, exec_lo
	s_waitcnt lgkmcnt(0)
	s_delay_alu instid0(VALU_DEP_1)
	v_cmpx_gt_i32_e64 s3, v10
	s_cbranch_execz .LBB191_14
; %bb.1:
	s_clause 0x1
	s_load_b128 s[4:7], s[0:1], 0x0
	s_load_b64 s[8:9], s[0:1], 0x10
	s_waitcnt lgkmcnt(0)
	s_cmp_eq_u64 s[6:7], 0
	s_cbranch_scc1 .LBB191_3
; %bb.2:
	v_ashrrev_i32_e32 v1, 31, v10
	v_add_co_u32 v0, vcc_lo, s6, v10
	s_delay_alu instid0(VALU_DEP_2) | instskip(SKIP_3) | instid1(VALU_DEP_1)
	v_add_co_ci_u32_e32 v1, vcc_lo, s7, v1, vcc_lo
	global_load_u8 v0, v[0:1], off
	s_waitcnt vmcnt(0)
	v_and_b32_e32 v0, 1, v0
	v_cmp_eq_u32_e32 vcc_lo, 1, v0
	s_xor_b32 s2, vcc_lo, -1
	s_delay_alu instid0(SALU_CYCLE_1)
	s_or_not1_b32 s10, s2, exec_lo
	s_branch .LBB191_4
.LBB191_3:
	s_mov_b32 s10, -1
.LBB191_4:
	v_lshlrev_b32_e32 v0, 1, v10
	s_delay_alu instid0(VALU_DEP_1) | instskip(NEXT) | instid1(VALU_DEP_1)
	v_ashrrev_i32_e32 v1, 31, v0
	v_lshlrev_b64 v[0:1], 2, v[0:1]
	s_delay_alu instid0(VALU_DEP_1) | instskip(NEXT) | instid1(VALU_DEP_2)
	v_add_co_u32 v0, vcc_lo, s4, v0
	v_add_co_ci_u32_e32 v1, vcc_lo, s5, v1, vcc_lo
	s_load_b64 s[4:5], s[0:1], 0x40
	global_load_b64 v[0:1], v[0:1], off
	s_waitcnt lgkmcnt(0)
	s_cmp_eq_u64 s[4:5], 0
	s_waitcnt vmcnt(0)
	v_mul_f32_e32 v1, 0xbfb8aa3b, v1
	s_delay_alu instid0(VALU_DEP_1) | instskip(SKIP_2) | instid1(VALU_DEP_1)
	v_exp_f32_e32 v1, v1
	s_waitcnt_depctr 0xfff
	v_dual_mul_f32 v0, 0xbfb8aa3b, v0 :: v_dual_add_f32 v1, 1.0, v1
	v_exp_f32_e32 v0, v0
	s_delay_alu instid0(VALU_DEP_1) | instskip(NEXT) | instid1(VALU_DEP_1)
	v_div_scale_f32 v3, null, v1, v1, 1.0
	v_rcp_f32_e32 v5, v3
	s_waitcnt_depctr 0xfff
	v_fma_f32 v7, -v3, v5, 1.0
	s_delay_alu instid0(VALU_DEP_1) | instskip(NEXT) | instid1(VALU_DEP_1)
	v_dual_add_f32 v0, 1.0, v0 :: v_dual_fmac_f32 v5, v7, v5
	v_div_scale_f32 v2, null, v0, v0, 1.0
	v_div_scale_f32 v8, vcc_lo, 1.0, v0, 1.0
	s_delay_alu instid0(VALU_DEP_2) | instskip(SKIP_2) | instid1(VALU_DEP_1)
	v_rcp_f32_e32 v4, v2
	s_waitcnt_depctr 0xfff
	v_fma_f32 v6, -v2, v4, 1.0
	v_fmac_f32_e32 v4, v6, v4
	v_div_scale_f32 v6, s2, 1.0, v1, 1.0
	s_delay_alu instid0(VALU_DEP_1) | instskip(NEXT) | instid1(VALU_DEP_1)
	v_mul_f32_e32 v9, v6, v5
	v_fma_f32 v12, -v3, v9, v6
	s_delay_alu instid0(VALU_DEP_1) | instskip(SKIP_1) | instid1(VALU_DEP_2)
	v_fmac_f32_e32 v9, v12, v5
	v_mul_f32_e32 v7, v8, v4
	v_fma_f32 v3, -v3, v9, v6
	s_delay_alu instid0(VALU_DEP_2) | instskip(NEXT) | instid1(VALU_DEP_1)
	v_fma_f32 v11, -v2, v7, v8
	v_fmac_f32_e32 v7, v11, v4
	s_delay_alu instid0(VALU_DEP_1) | instskip(NEXT) | instid1(VALU_DEP_1)
	v_fma_f32 v2, -v2, v7, v8
	v_div_fmas_f32 v2, v2, v4, v7
	s_mov_b32 vcc_lo, s2
	v_div_fmas_f32 v3, v3, v5, v9
	s_delay_alu instid0(VALU_DEP_2) | instskip(NEXT) | instid1(VALU_DEP_2)
	v_div_fixup_f32 v0, v2, v0, 1.0
	v_div_fixup_f32 v1, v3, v1, 1.0
	s_delay_alu instid0(VALU_DEP_2) | instskip(SKIP_1) | instid1(VALU_DEP_3)
	v_cmp_class_f32_e64 vcc_lo, v0, 0x1f8
	v_cndmask_b32_e32 v0, 0, v0, vcc_lo
	v_cmp_class_f32_e64 vcc_lo, v1, 0x1f8
	v_cndmask_b32_e32 v1, 0, v1, vcc_lo
	s_delay_alu instid0(VALU_DEP_1)
	v_dual_mov_b32 v3, v1 :: v_dual_mov_b32 v2, v0
	s_cbranch_scc1 .LBB191_6
; %bb.5:
	s_load_b64 s[4:5], s[4:5], 0x0
	s_waitcnt lgkmcnt(0)
	v_dual_add_f32 v2, s4, v0 :: v_dual_add_f32 v3, s5, v1
.LBB191_6:
	s_load_b128 s[4:7], s[0:1], 0x30
	s_waitcnt lgkmcnt(0)
	s_bitcmp1_b32 s7, 0
	s_cselect_b32 vcc_lo, -1, 0
	s_cmp_gt_i32 s4, 0
	s_cselect_b32 s7, -1, 0
	s_cmp_lt_i32 s4, 1
	s_cbranch_scc1 .LBB191_10
; %bb.7:
	v_mul_lo_u32 v4, v10, s4
	s_load_b128 s[12:15], s[0:1], 0x20
	v_dual_mov_b32 v11, 0 :: v_dual_mov_b32 v12, v10
	s_mov_b32 s11, 0
	s_delay_alu instid0(VALU_DEP_2) | instskip(NEXT) | instid1(VALU_DEP_1)
	v_ashrrev_i32_e32 v5, 31, v4
	v_lshlrev_b64 v[8:9], 2, v[4:5]
	s_delay_alu instid0(VALU_DEP_1) | instskip(NEXT) | instid1(VALU_DEP_1)
	v_add_co_u32 v4, s0, s8, v8
	v_add_co_ci_u32_e64 v5, s0, s9, v9, s0
	s_waitcnt lgkmcnt(0)
	v_add_co_u32 v6, s0, s12, v8
	s_delay_alu instid0(VALU_DEP_1) | instskip(SKIP_1) | instid1(VALU_DEP_1)
	v_add_co_ci_u32_e64 v7, s0, s13, v9, s0
	v_add_co_u32 v8, s0, s14, v8
	v_add_co_ci_u32_e64 v9, s0, s15, v9, s0
.LBB191_8:                              ; =>This Inner Loop Header: Depth=1
	v_cmp_gt_f32_e64 s0, v3, v2
	s_add_i32 s11, s11, 1
	s_delay_alu instid0(VALU_DEP_1) | instskip(SKIP_3) | instid1(VALU_DEP_4)
	v_cndmask_b32_e64 v13, 0, 1, s0
	v_cndmask_b32_e64 v14, v0, v1, s0
	;; [unrolled: 1-line block ×4, first 2 shown]
	v_cmp_le_i32_e64 s1, s5, v13
	v_cmp_gt_i32_e64 s2, s6, v13
	v_subrev_nc_u32_e32 v13, s5, v13
	global_store_b32 v[4:5], v14, off
	v_add_f32_e32 v16, v11, v14
	s_and_b32 s1, s1, s2
	s_delay_alu instid0(SALU_CYCLE_1)
	s_and_b32 s1, s10, s1
	s_cmp_lt_i32 s11, s4
	v_cndmask_b32_e64 v13, 2, v13, s1
	s_cselect_b32 s0, -1, 0
	v_cndmask_b32_e32 v11, v11, v16, vcc_lo
	v_cndmask_b32_e64 v3, v3, v17, s0
	v_cndmask_b32_e64 v2, v2, v15, s0
	v_add_co_u32 v4, s0, v4, 4
	s_delay_alu instid0(VALU_DEP_1) | instskip(SKIP_3) | instid1(VALU_DEP_1)
	v_add_co_ci_u32_e64 v5, s0, 0, v5, s0
	global_store_b32 v[6:7], v13, off
	global_store_b32 v[8:9], v12, off
	v_add_co_u32 v6, s0, v6, 4
	v_add_co_ci_u32_e64 v7, s0, 0, v7, s0
	v_add_co_u32 v8, s0, v8, 4
	v_add_nc_u32_e32 v12, s3, v12
	v_add_co_ci_u32_e64 v9, s0, 0, v9, s0
	s_cmp_eq_u32 s4, s11
	s_cbranch_scc0 .LBB191_8
; %bb.9:
	s_and_b32 vcc_lo, exec_lo, vcc_lo
	s_cbranch_vccnz .LBB191_11
	s_branch .LBB191_14
.LBB191_10:
	v_mov_b32_e32 v11, 0
	s_and_b32 vcc_lo, exec_lo, vcc_lo
	s_cbranch_vccz .LBB191_14
.LBB191_11:
	s_and_not1_b32 vcc_lo, exec_lo, s7
	s_cbranch_vccnz .LBB191_14
; %bb.12:
	v_mul_lo_u32 v0, v10, s4
	v_cmp_lt_f32_e32 vcc_lo, 0, v11
	v_cndmask_b32_e32 v2, 1.0, v11, vcc_lo
	s_delay_alu instid0(VALU_DEP_3) | instskip(NEXT) | instid1(VALU_DEP_1)
	v_ashrrev_i32_e32 v1, 31, v0
	v_lshlrev_b64 v[0:1], 2, v[0:1]
	s_delay_alu instid0(VALU_DEP_1) | instskip(NEXT) | instid1(VALU_DEP_2)
	v_add_co_u32 v0, vcc_lo, s8, v0
	v_add_co_ci_u32_e32 v1, vcc_lo, s9, v1, vcc_lo
	.p2align	6
.LBB191_13:                             ; =>This Inner Loop Header: Depth=1
	global_load_b32 v3, v[0:1], off
	s_add_i32 s4, s4, -1
	s_delay_alu instid0(SALU_CYCLE_1) | instskip(SKIP_3) | instid1(VALU_DEP_2)
	s_cmp_lg_u32 s4, 0
	s_waitcnt vmcnt(0)
	v_div_scale_f32 v4, null, v2, v2, v3
	v_div_scale_f32 v7, vcc_lo, v3, v2, v3
	v_rcp_f32_e32 v5, v4
	s_waitcnt_depctr 0xfff
	v_fma_f32 v6, -v4, v5, 1.0
	s_delay_alu instid0(VALU_DEP_1) | instskip(NEXT) | instid1(VALU_DEP_1)
	v_fmac_f32_e32 v5, v6, v5
	v_mul_f32_e32 v6, v7, v5
	s_delay_alu instid0(VALU_DEP_1) | instskip(NEXT) | instid1(VALU_DEP_1)
	v_fma_f32 v8, -v4, v6, v7
	v_fmac_f32_e32 v6, v8, v5
	s_delay_alu instid0(VALU_DEP_1) | instskip(NEXT) | instid1(VALU_DEP_1)
	v_fma_f32 v4, -v4, v6, v7
	v_div_fmas_f32 v4, v4, v5, v6
	s_delay_alu instid0(VALU_DEP_1)
	v_div_fixup_f32 v3, v4, v2, v3
	global_store_b32 v[0:1], v3, off
	v_add_co_u32 v0, vcc_lo, v0, 4
	v_add_co_ci_u32_e32 v1, vcc_lo, 0, v1, vcc_lo
	s_cbranch_scc1 .LBB191_13
.LBB191_14:
	s_nop 0
	s_sendmsg sendmsg(MSG_DEALLOC_VGPRS)
	s_endpgm
	.section	.rodata,"a",@progbits
	.p2align	6, 0x0
	.amdhsa_kernel _ZN4vllm3moe10topkGatingILi2ELi2ELi4ELi8ELi32EifLNS0_11ScoringFuncE1EEEvPKT5_PKbPfiPT4_PiiiibPKf
		.amdhsa_group_segment_fixed_size 0
		.amdhsa_private_segment_fixed_size 0
		.amdhsa_kernarg_size 72
		.amdhsa_user_sgpr_count 15
		.amdhsa_user_sgpr_dispatch_ptr 0
		.amdhsa_user_sgpr_queue_ptr 0
		.amdhsa_user_sgpr_kernarg_segment_ptr 1
		.amdhsa_user_sgpr_dispatch_id 0
		.amdhsa_user_sgpr_private_segment_size 0
		.amdhsa_wavefront_size32 1
		.amdhsa_uses_dynamic_stack 0
		.amdhsa_enable_private_segment 0
		.amdhsa_system_sgpr_workgroup_id_x 1
		.amdhsa_system_sgpr_workgroup_id_y 0
		.amdhsa_system_sgpr_workgroup_id_z 0
		.amdhsa_system_sgpr_workgroup_info 0
		.amdhsa_system_vgpr_workitem_id 1
		.amdhsa_next_free_vgpr 18
		.amdhsa_next_free_sgpr 16
		.amdhsa_reserve_vcc 1
		.amdhsa_float_round_mode_32 0
		.amdhsa_float_round_mode_16_64 0
		.amdhsa_float_denorm_mode_32 3
		.amdhsa_float_denorm_mode_16_64 3
		.amdhsa_dx10_clamp 1
		.amdhsa_ieee_mode 1
		.amdhsa_fp16_overflow 0
		.amdhsa_workgroup_processor_mode 1
		.amdhsa_memory_ordered 1
		.amdhsa_forward_progress 0
		.amdhsa_shared_vgpr_count 0
		.amdhsa_exception_fp_ieee_invalid_op 0
		.amdhsa_exception_fp_denorm_src 0
		.amdhsa_exception_fp_ieee_div_zero 0
		.amdhsa_exception_fp_ieee_overflow 0
		.amdhsa_exception_fp_ieee_underflow 0
		.amdhsa_exception_fp_ieee_inexact 0
		.amdhsa_exception_int_div_zero 0
	.end_amdhsa_kernel
	.section	.text._ZN4vllm3moe10topkGatingILi2ELi2ELi4ELi8ELi32EifLNS0_11ScoringFuncE1EEEvPKT5_PKbPfiPT4_PiiiibPKf,"axG",@progbits,_ZN4vllm3moe10topkGatingILi2ELi2ELi4ELi8ELi32EifLNS0_11ScoringFuncE1EEEvPKT5_PKbPfiPT4_PiiiibPKf,comdat
.Lfunc_end191:
	.size	_ZN4vllm3moe10topkGatingILi2ELi2ELi4ELi8ELi32EifLNS0_11ScoringFuncE1EEEvPKT5_PKbPfiPT4_PiiiibPKf, .Lfunc_end191-_ZN4vllm3moe10topkGatingILi2ELi2ELi4ELi8ELi32EifLNS0_11ScoringFuncE1EEEvPKT5_PKbPfiPT4_PiiiibPKf
                                        ; -- End function
	.section	.AMDGPU.csdata,"",@progbits
; Kernel info:
; codeLenInByte = 1112
; NumSgprs: 18
; NumVgprs: 18
; ScratchSize: 0
; MemoryBound: 0
; FloatMode: 240
; IeeeMode: 1
; LDSByteSize: 0 bytes/workgroup (compile time only)
; SGPRBlocks: 2
; VGPRBlocks: 2
; NumSGPRsForWavesPerEU: 18
; NumVGPRsForWavesPerEU: 18
; Occupancy: 16
; WaveLimiterHint : 0
; COMPUTE_PGM_RSRC2:SCRATCH_EN: 0
; COMPUTE_PGM_RSRC2:USER_SGPR: 15
; COMPUTE_PGM_RSRC2:TRAP_HANDLER: 0
; COMPUTE_PGM_RSRC2:TGID_X_EN: 1
; COMPUTE_PGM_RSRC2:TGID_Y_EN: 0
; COMPUTE_PGM_RSRC2:TGID_Z_EN: 0
; COMPUTE_PGM_RSRC2:TIDIG_COMP_CNT: 1
	.section	.text._ZN4vllm3moe10topkGatingILi4ELi4ELi4ELi16ELi64EifLNS0_11ScoringFuncE1EEEvPKT5_PKbPfiPT4_PiiiibPKf,"axG",@progbits,_ZN4vllm3moe10topkGatingILi4ELi4ELi4ELi16ELi64EifLNS0_11ScoringFuncE1EEEvPKT5_PKbPfiPT4_PiiiibPKf,comdat
	.protected	_ZN4vllm3moe10topkGatingILi4ELi4ELi4ELi16ELi64EifLNS0_11ScoringFuncE1EEEvPKT5_PKbPfiPT4_PiiiibPKf ; -- Begin function _ZN4vllm3moe10topkGatingILi4ELi4ELi4ELi16ELi64EifLNS0_11ScoringFuncE1EEEvPKT5_PKbPfiPT4_PiiiibPKf
	.globl	_ZN4vllm3moe10topkGatingILi4ELi4ELi4ELi16ELi64EifLNS0_11ScoringFuncE1EEEvPKT5_PKbPfiPT4_PiiiibPKf
	.p2align	8
	.type	_ZN4vllm3moe10topkGatingILi4ELi4ELi4ELi16ELi64EifLNS0_11ScoringFuncE1EEEvPKT5_PKbPfiPT4_PiiiibPKf,@function
_ZN4vllm3moe10topkGatingILi4ELi4ELi4ELi16ELi64EifLNS0_11ScoringFuncE1EEEvPKT5_PKbPfiPT4_PiiiibPKf: ; @_ZN4vllm3moe10topkGatingILi4ELi4ELi4ELi16ELi64EifLNS0_11ScoringFuncE1EEEvPKT5_PKbPfiPT4_PiiiibPKf
; %bb.0:
	s_load_b32 s10, s[0:1], 0x18
	v_bfe_u32 v1, v0, 10, 10
	v_and_b32_e32 v0, 0x3ff, v0
	s_lshl_b32 s2, s15, 8
	s_delay_alu instid0(VALU_DEP_2) | instskip(NEXT) | instid1(VALU_DEP_1)
	v_lshlrev_b32_e32 v1, 6, v1
	v_add3_u32 v14, v1, v0, s2
	s_mov_b32 s2, exec_lo
	s_waitcnt lgkmcnt(0)
	s_delay_alu instid0(VALU_DEP_1)
	v_cmpx_gt_i32_e64 s10, v14
	s_cbranch_execz .LBB192_15
; %bb.1:
	s_clause 0x1
	s_load_b128 s[4:7], s[0:1], 0x0
	s_load_b64 s[8:9], s[0:1], 0x10
	s_mov_b32 s12, -1
	s_mov_b32 s11, -1
	s_waitcnt lgkmcnt(0)
	s_cmp_eq_u64 s[6:7], 0
	s_cbranch_scc1 .LBB192_3
; %bb.2:
	v_ashrrev_i32_e32 v1, 31, v14
	v_add_co_u32 v0, vcc_lo, s6, v14
	s_delay_alu instid0(VALU_DEP_2) | instskip(SKIP_3) | instid1(VALU_DEP_1)
	v_add_co_ci_u32_e32 v1, vcc_lo, s7, v1, vcc_lo
	global_load_u8 v0, v[0:1], off
	s_waitcnt vmcnt(0)
	v_and_b32_e32 v0, 1, v0
	v_cmp_eq_u32_e32 vcc_lo, 1, v0
	s_xor_b32 s2, vcc_lo, -1
	s_delay_alu instid0(SALU_CYCLE_1)
	s_or_not1_b32 s11, s2, exec_lo
.LBB192_3:
	v_lshlrev_b32_e32 v0, 2, v14
	s_load_b64 s[6:7], s[0:1], 0x40
	s_delay_alu instid0(VALU_DEP_1) | instskip(NEXT) | instid1(VALU_DEP_1)
	v_ashrrev_i32_e32 v1, 31, v0
	v_lshlrev_b64 v[0:1], 2, v[0:1]
	s_delay_alu instid0(VALU_DEP_1) | instskip(NEXT) | instid1(VALU_DEP_2)
	v_add_co_u32 v0, vcc_lo, s4, v0
	v_add_co_ci_u32_e32 v1, vcc_lo, s5, v1, vcc_lo
	s_waitcnt lgkmcnt(0)
	s_cmp_eq_u64 s[6:7], 0
	global_load_b128 v[0:3], v[0:1], off
	s_waitcnt vmcnt(0)
	v_dual_mul_f32 v1, 0xbfb8aa3b, v1 :: v_dual_mul_f32 v0, 0xbfb8aa3b, v0
	v_mul_f32_e32 v3, 0xbfb8aa3b, v3
	s_delay_alu instid0(VALU_DEP_2) | instskip(SKIP_1) | instid1(VALU_DEP_3)
	v_exp_f32_e32 v1, v1
	v_mul_f32_e32 v2, 0xbfb8aa3b, v2
	v_exp_f32_e32 v0, v0
	s_delay_alu instid0(VALU_DEP_2) | instskip(NEXT) | instid1(TRANS32_DEP_3)
	v_exp_f32_e32 v3, v3
	v_add_f32_e32 v1, 1.0, v1
	s_delay_alu instid0(VALU_DEP_2) | instskip(SKIP_3) | instid1(VALU_DEP_2)
	v_exp_f32_e32 v2, v2
	s_waitcnt_depctr 0xfff
	v_dual_add_f32 v0, 1.0, v0 :: v_dual_add_f32 v3, 1.0, v3
	v_div_scale_f32 v5, null, v1, v1, 1.0
	v_div_scale_f32 v4, null, v0, v0, 1.0
	s_delay_alu instid0(VALU_DEP_3) | instskip(NEXT) | instid1(VALU_DEP_3)
	v_div_scale_f32 v7, null, v3, v3, 1.0
	v_rcp_f32_e32 v9, v5
	s_delay_alu instid0(VALU_DEP_2) | instskip(SKIP_1) | instid1(VALU_DEP_2)
	v_rcp_f32_e32 v8, v4
	v_div_scale_f32 v13, s2, 1.0, v1, 1.0
	v_rcp_f32_e32 v11, v7
	v_div_scale_f32 v12, vcc_lo, 1.0, v0, 1.0
	v_div_scale_f32 v20, s4, 1.0, v3, 1.0
	s_delay_alu instid0(TRANS32_DEP_3) | instskip(SKIP_1) | instid1(TRANS32_DEP_2)
	v_fma_f32 v17, -v5, v9, 1.0
	v_add_f32_e32 v2, 1.0, v2
	v_fma_f32 v16, -v4, v8, 1.0
	s_waitcnt_depctr 0xfff
	v_fma_f32 v19, -v7, v11, 1.0
	v_fmac_f32_e32 v9, v17, v9
	v_div_scale_f32 v6, null, v2, v2, 1.0
	s_delay_alu instid0(VALU_DEP_3) | instskip(SKIP_1) | instid1(VALU_DEP_3)
	v_dual_fmac_f32 v8, v16, v8 :: v_dual_fmac_f32 v11, v19, v11
	v_div_scale_f32 v15, s3, 1.0, v2, 1.0
	v_rcp_f32_e32 v10, v6
	v_mul_f32_e32 v17, v13, v9
	s_delay_alu instid0(VALU_DEP_3) | instskip(NEXT) | instid1(VALU_DEP_2)
	v_mul_f32_e32 v19, v20, v11
	v_fma_f32 v22, -v5, v17, v13
	v_mul_f32_e32 v16, v12, v8
	s_delay_alu instid0(VALU_DEP_3) | instskip(SKIP_4) | instid1(VALU_DEP_3)
	v_fma_f32 v24, -v7, v19, v20
	s_waitcnt_depctr 0xfff
	v_fma_f32 v18, -v6, v10, 1.0
	v_fmac_f32_e32 v17, v22, v9
	v_fma_f32 v21, -v4, v16, v12
	v_dual_fmac_f32 v19, v24, v11 :: v_dual_fmac_f32 v10, v18, v10
	s_delay_alu instid0(VALU_DEP_3) | instskip(NEXT) | instid1(VALU_DEP_3)
	v_fma_f32 v5, -v5, v17, v13
	v_fmac_f32_e32 v16, v21, v8
	s_delay_alu instid0(VALU_DEP_3) | instskip(NEXT) | instid1(VALU_DEP_4)
	v_fma_f32 v7, -v7, v19, v20
	v_mul_f32_e32 v18, v15, v10
	s_delay_alu instid0(VALU_DEP_3) | instskip(NEXT) | instid1(VALU_DEP_2)
	v_fma_f32 v4, -v4, v16, v12
	v_fma_f32 v23, -v6, v18, v15
	s_delay_alu instid0(VALU_DEP_2) | instskip(SKIP_3) | instid1(VALU_DEP_2)
	v_div_fmas_f32 v4, v4, v8, v16
	s_mov_b32 vcc_lo, s2
	v_div_fmas_f32 v5, v5, v9, v17
	s_mov_b32 vcc_lo, s3
	v_div_fixup_f32 v0, v4, v0, 1.0
	s_delay_alu instid0(VALU_DEP_2) | instskip(SKIP_1) | instid1(VALU_DEP_1)
	v_div_fixup_f32 v1, v5, v1, 1.0
	v_fmac_f32_e32 v18, v23, v10
	v_fma_f32 v6, -v6, v18, v15
	s_delay_alu instid0(VALU_DEP_1) | instskip(SKIP_3) | instid1(VALU_DEP_3)
	v_div_fmas_f32 v6, v6, v10, v18
	s_mov_b32 vcc_lo, s4
	v_div_fmas_f32 v4, v7, v11, v19
	v_cmp_class_f32_e64 vcc_lo, v0, 0x1f8
	v_div_fixup_f32 v2, v6, v2, 1.0
	s_delay_alu instid0(VALU_DEP_3)
	v_div_fixup_f32 v3, v4, v3, 1.0
	v_cndmask_b32_e32 v0, 0, v0, vcc_lo
	v_cmp_class_f32_e64 vcc_lo, v1, 0x1f8
	v_cndmask_b32_e32 v1, 0, v1, vcc_lo
	v_cmp_class_f32_e64 vcc_lo, v2, 0x1f8
	;; [unrolled: 2-line block ×3, first 2 shown]
	v_cndmask_b32_e32 v3, 0, v3, vcc_lo
	s_cbranch_scc1 .LBB192_10
; %bb.4:
	s_load_b128 s[4:7], s[6:7], 0x0
	s_waitcnt lgkmcnt(0)
	v_dual_add_f32 v4, s4, v0 :: v_dual_add_f32 v5, s5, v1
	v_dual_add_f32 v6, s6, v2 :: v_dual_add_f32 v7, s7, v3
	s_cbranch_execnz .LBB192_6
.LBB192_5:
	v_dual_mov_b32 v7, v3 :: v_dual_mov_b32 v6, v2
	v_dual_mov_b32 v5, v1 :: v_dual_mov_b32 v4, v0
.LBB192_6:
	s_load_b128 s[4:7], s[0:1], 0x30
	s_waitcnt lgkmcnt(0)
	s_bitcmp1_b32 s7, 0
	s_mov_b32 s7, 0
	s_cselect_b32 vcc_lo, -1, 0
	s_cmp_gt_i32 s4, 0
	s_cselect_b32 s3, -1, 0
	s_cmp_lt_i32 s4, 1
	s_cbranch_scc1 .LBB192_11
; %bb.7:
	v_mul_lo_u32 v8, v14, s4
	s_load_b128 s[12:15], s[0:1], 0x20
	v_dual_mov_b32 v15, 0 :: v_dual_mov_b32 v16, v14
	s_delay_alu instid0(VALU_DEP_2) | instskip(NEXT) | instid1(VALU_DEP_1)
	v_ashrrev_i32_e32 v9, 31, v8
	v_lshlrev_b64 v[12:13], 2, v[8:9]
	s_delay_alu instid0(VALU_DEP_1) | instskip(NEXT) | instid1(VALU_DEP_1)
	v_add_co_u32 v8, s0, s8, v12
	v_add_co_ci_u32_e64 v9, s0, s9, v13, s0
	s_waitcnt lgkmcnt(0)
	v_add_co_u32 v10, s0, s12, v12
	s_delay_alu instid0(VALU_DEP_1) | instskip(SKIP_1) | instid1(VALU_DEP_1)
	v_add_co_ci_u32_e64 v11, s0, s13, v13, s0
	v_add_co_u32 v12, s0, s14, v12
	v_add_co_ci_u32_e64 v13, s0, s15, v13, s0
.LBB192_8:                              ; =>This Inner Loop Header: Depth=1
	v_cmp_gt_f32_e64 s0, v5, v4
	s_add_i32 s7, s7, 1
	s_delay_alu instid0(VALU_DEP_1) | instskip(SKIP_2) | instid1(VALU_DEP_3)
	v_cndmask_b32_e64 v18, v4, v5, s0
	v_cndmask_b32_e64 v17, 0, 1, s0
	;; [unrolled: 1-line block ×3, first 2 shown]
	v_cmp_gt_f32_e64 s1, v6, v18
	s_delay_alu instid0(VALU_DEP_1) | instskip(NEXT) | instid1(VALU_DEP_4)
	v_cndmask_b32_e64 v18, v18, v6, s1
	v_cndmask_b32_e64 v17, v17, 2, s1
	s_delay_alu instid0(VALU_DEP_4) | instskip(NEXT) | instid1(VALU_DEP_3)
	v_cndmask_b32_e64 v19, v19, v2, s1
	v_cmp_gt_f32_e64 s0, v7, v18
	s_delay_alu instid0(VALU_DEP_1) | instskip(NEXT) | instid1(VALU_DEP_3)
	v_cndmask_b32_e64 v17, v17, 3, s0
	v_cndmask_b32_e64 v18, v19, v3, s0
	s_delay_alu instid0(VALU_DEP_2)
	v_cmp_ne_u32_e64 s2, 0, v17
	v_cmp_le_i32_e64 s0, s5, v17
	v_cmp_gt_i32_e64 s1, s6, v17
	v_subrev_nc_u32_e32 v19, s5, v17
	v_add_f32_e32 v23, v15, v18
	v_cndmask_b32_e64 v20, 0xc61c4000, v4, s2
	v_cmp_ne_u32_e64 s2, 1, v17
	s_and_b32 s0, s0, s1
	global_store_b32 v[8:9], v18, off
	s_and_b32 s0, s11, s0
	s_cmp_lt_i32 s7, s4
	v_cndmask_b32_e64 v21, 0xc61c4000, v5, s2
	v_cmp_ne_u32_e64 s2, 2, v17
	v_cndmask_b32_e64 v18, 4, v19, s0
	s_cselect_b32 s0, -1, 0
	global_store_b32 v[10:11], v18, off
	global_store_b32 v[12:13], v16, off
	v_add_nc_u32_e32 v16, s10, v16
	v_cndmask_b32_e64 v22, 0xc61c4000, v6, s2
	v_cmp_ne_u32_e64 s2, 3, v17
	v_cndmask_b32_e64 v5, v5, v21, s0
	v_cndmask_b32_e64 v4, v4, v20, s0
	v_cndmask_b32_e32 v15, v15, v23, vcc_lo
	v_cndmask_b32_e64 v6, v6, v22, s0
	v_cndmask_b32_e64 v17, 0xc61c4000, v7, s2
	s_cmp_eq_u32 s4, s7
	s_delay_alu instid0(VALU_DEP_1) | instskip(SKIP_1) | instid1(VALU_DEP_1)
	v_cndmask_b32_e64 v7, v7, v17, s0
	v_add_co_u32 v8, s0, v8, 4
	v_add_co_ci_u32_e64 v9, s0, 0, v9, s0
	v_add_co_u32 v10, s0, v10, 4
	s_delay_alu instid0(VALU_DEP_1) | instskip(SKIP_1) | instid1(VALU_DEP_1)
	v_add_co_ci_u32_e64 v11, s0, 0, v11, s0
	v_add_co_u32 v12, s0, v12, 4
	v_add_co_ci_u32_e64 v13, s0, 0, v13, s0
	s_cbranch_scc0 .LBB192_8
; %bb.9:
	s_and_b32 vcc_lo, exec_lo, vcc_lo
	s_cbranch_vccnz .LBB192_12
	s_branch .LBB192_15
.LBB192_10:
                                        ; implicit-def: $vgpr4_vgpr5_vgpr6_vgpr7
	s_and_not1_b32 vcc_lo, exec_lo, s12
	s_cbranch_vccz .LBB192_5
	s_branch .LBB192_6
.LBB192_11:
	v_mov_b32_e32 v15, 0
	s_and_b32 vcc_lo, exec_lo, vcc_lo
	s_cbranch_vccz .LBB192_15
.LBB192_12:
	s_and_not1_b32 vcc_lo, exec_lo, s3
	s_cbranch_vccnz .LBB192_15
; %bb.13:
	v_mul_lo_u32 v0, v14, s4
	v_cmp_lt_f32_e32 vcc_lo, 0, v15
	v_cndmask_b32_e32 v2, 1.0, v15, vcc_lo
	s_delay_alu instid0(VALU_DEP_3) | instskip(NEXT) | instid1(VALU_DEP_1)
	v_ashrrev_i32_e32 v1, 31, v0
	v_lshlrev_b64 v[0:1], 2, v[0:1]
	s_delay_alu instid0(VALU_DEP_1) | instskip(NEXT) | instid1(VALU_DEP_2)
	v_add_co_u32 v0, vcc_lo, s8, v0
	v_add_co_ci_u32_e32 v1, vcc_lo, s9, v1, vcc_lo
	.p2align	6
.LBB192_14:                             ; =>This Inner Loop Header: Depth=1
	global_load_b32 v3, v[0:1], off
	s_add_i32 s4, s4, -1
	s_delay_alu instid0(SALU_CYCLE_1) | instskip(SKIP_3) | instid1(VALU_DEP_2)
	s_cmp_lg_u32 s4, 0
	s_waitcnt vmcnt(0)
	v_div_scale_f32 v4, null, v2, v2, v3
	v_div_scale_f32 v7, vcc_lo, v3, v2, v3
	v_rcp_f32_e32 v5, v4
	s_waitcnt_depctr 0xfff
	v_fma_f32 v6, -v4, v5, 1.0
	s_delay_alu instid0(VALU_DEP_1) | instskip(NEXT) | instid1(VALU_DEP_1)
	v_fmac_f32_e32 v5, v6, v5
	v_mul_f32_e32 v6, v7, v5
	s_delay_alu instid0(VALU_DEP_1) | instskip(NEXT) | instid1(VALU_DEP_1)
	v_fma_f32 v8, -v4, v6, v7
	v_fmac_f32_e32 v6, v8, v5
	s_delay_alu instid0(VALU_DEP_1) | instskip(NEXT) | instid1(VALU_DEP_1)
	v_fma_f32 v4, -v4, v6, v7
	v_div_fmas_f32 v4, v4, v5, v6
	s_delay_alu instid0(VALU_DEP_1)
	v_div_fixup_f32 v3, v4, v2, v3
	global_store_b32 v[0:1], v3, off
	v_add_co_u32 v0, vcc_lo, v0, 4
	v_add_co_ci_u32_e32 v1, vcc_lo, 0, v1, vcc_lo
	s_cbranch_scc1 .LBB192_14
.LBB192_15:
	s_nop 0
	s_sendmsg sendmsg(MSG_DEALLOC_VGPRS)
	s_endpgm
	.section	.rodata,"a",@progbits
	.p2align	6, 0x0
	.amdhsa_kernel _ZN4vllm3moe10topkGatingILi4ELi4ELi4ELi16ELi64EifLNS0_11ScoringFuncE1EEEvPKT5_PKbPfiPT4_PiiiibPKf
		.amdhsa_group_segment_fixed_size 0
		.amdhsa_private_segment_fixed_size 0
		.amdhsa_kernarg_size 72
		.amdhsa_user_sgpr_count 15
		.amdhsa_user_sgpr_dispatch_ptr 0
		.amdhsa_user_sgpr_queue_ptr 0
		.amdhsa_user_sgpr_kernarg_segment_ptr 1
		.amdhsa_user_sgpr_dispatch_id 0
		.amdhsa_user_sgpr_private_segment_size 0
		.amdhsa_wavefront_size32 1
		.amdhsa_uses_dynamic_stack 0
		.amdhsa_enable_private_segment 0
		.amdhsa_system_sgpr_workgroup_id_x 1
		.amdhsa_system_sgpr_workgroup_id_y 0
		.amdhsa_system_sgpr_workgroup_id_z 0
		.amdhsa_system_sgpr_workgroup_info 0
		.amdhsa_system_vgpr_workitem_id 1
		.amdhsa_next_free_vgpr 25
		.amdhsa_next_free_sgpr 16
		.amdhsa_reserve_vcc 1
		.amdhsa_float_round_mode_32 0
		.amdhsa_float_round_mode_16_64 0
		.amdhsa_float_denorm_mode_32 3
		.amdhsa_float_denorm_mode_16_64 3
		.amdhsa_dx10_clamp 1
		.amdhsa_ieee_mode 1
		.amdhsa_fp16_overflow 0
		.amdhsa_workgroup_processor_mode 1
		.amdhsa_memory_ordered 1
		.amdhsa_forward_progress 0
		.amdhsa_shared_vgpr_count 0
		.amdhsa_exception_fp_ieee_invalid_op 0
		.amdhsa_exception_fp_denorm_src 0
		.amdhsa_exception_fp_ieee_div_zero 0
		.amdhsa_exception_fp_ieee_overflow 0
		.amdhsa_exception_fp_ieee_underflow 0
		.amdhsa_exception_fp_ieee_inexact 0
		.amdhsa_exception_int_div_zero 0
	.end_amdhsa_kernel
	.section	.text._ZN4vllm3moe10topkGatingILi4ELi4ELi4ELi16ELi64EifLNS0_11ScoringFuncE1EEEvPKT5_PKbPfiPT4_PiiiibPKf,"axG",@progbits,_ZN4vllm3moe10topkGatingILi4ELi4ELi4ELi16ELi64EifLNS0_11ScoringFuncE1EEEvPKT5_PKbPfiPT4_PiiiibPKf,comdat
.Lfunc_end192:
	.size	_ZN4vllm3moe10topkGatingILi4ELi4ELi4ELi16ELi64EifLNS0_11ScoringFuncE1EEEvPKT5_PKbPfiPT4_PiiiibPKf, .Lfunc_end192-_ZN4vllm3moe10topkGatingILi4ELi4ELi4ELi16ELi64EifLNS0_11ScoringFuncE1EEEvPKT5_PKbPfiPT4_PiiiibPKf
                                        ; -- End function
	.section	.AMDGPU.csdata,"",@progbits
; Kernel info:
; codeLenInByte = 1528
; NumSgprs: 18
; NumVgprs: 25
; ScratchSize: 0
; MemoryBound: 0
; FloatMode: 240
; IeeeMode: 1
; LDSByteSize: 0 bytes/workgroup (compile time only)
; SGPRBlocks: 2
; VGPRBlocks: 3
; NumSGPRsForWavesPerEU: 18
; NumVGPRsForWavesPerEU: 25
; Occupancy: 16
; WaveLimiterHint : 0
; COMPUTE_PGM_RSRC2:SCRATCH_EN: 0
; COMPUTE_PGM_RSRC2:USER_SGPR: 15
; COMPUTE_PGM_RSRC2:TRAP_HANDLER: 0
; COMPUTE_PGM_RSRC2:TGID_X_EN: 1
; COMPUTE_PGM_RSRC2:TGID_Y_EN: 0
; COMPUTE_PGM_RSRC2:TGID_Z_EN: 0
; COMPUTE_PGM_RSRC2:TIDIG_COMP_CNT: 1
	.section	.text._ZN4vllm3moe10topkGatingILi4ELi4ELi4ELi16ELi32EifLNS0_11ScoringFuncE1EEEvPKT5_PKbPfiPT4_PiiiibPKf,"axG",@progbits,_ZN4vllm3moe10topkGatingILi4ELi4ELi4ELi16ELi32EifLNS0_11ScoringFuncE1EEEvPKT5_PKbPfiPT4_PiiiibPKf,comdat
	.protected	_ZN4vllm3moe10topkGatingILi4ELi4ELi4ELi16ELi32EifLNS0_11ScoringFuncE1EEEvPKT5_PKbPfiPT4_PiiiibPKf ; -- Begin function _ZN4vllm3moe10topkGatingILi4ELi4ELi4ELi16ELi32EifLNS0_11ScoringFuncE1EEEvPKT5_PKbPfiPT4_PiiiibPKf
	.globl	_ZN4vllm3moe10topkGatingILi4ELi4ELi4ELi16ELi32EifLNS0_11ScoringFuncE1EEEvPKT5_PKbPfiPT4_PiiiibPKf
	.p2align	8
	.type	_ZN4vllm3moe10topkGatingILi4ELi4ELi4ELi16ELi32EifLNS0_11ScoringFuncE1EEEvPKT5_PKbPfiPT4_PiiiibPKf,@function
_ZN4vllm3moe10topkGatingILi4ELi4ELi4ELi16ELi32EifLNS0_11ScoringFuncE1EEEvPKT5_PKbPfiPT4_PiiiibPKf: ; @_ZN4vllm3moe10topkGatingILi4ELi4ELi4ELi16ELi32EifLNS0_11ScoringFuncE1EEEvPKT5_PKbPfiPT4_PiiiibPKf
; %bb.0:
	s_load_b32 s10, s[0:1], 0x18
	v_bfe_u32 v1, v0, 10, 10
	v_and_b32_e32 v0, 0x3ff, v0
	s_lshl_b32 s2, s15, 7
	s_delay_alu instid0(VALU_DEP_2) | instskip(NEXT) | instid1(VALU_DEP_1)
	v_lshlrev_b32_e32 v1, 5, v1
	v_add3_u32 v14, v1, v0, s2
	s_mov_b32 s2, exec_lo
	s_waitcnt lgkmcnt(0)
	s_delay_alu instid0(VALU_DEP_1)
	v_cmpx_gt_i32_e64 s10, v14
	s_cbranch_execz .LBB193_15
; %bb.1:
	s_clause 0x1
	s_load_b128 s[4:7], s[0:1], 0x0
	s_load_b64 s[8:9], s[0:1], 0x10
	s_mov_b32 s12, -1
	s_mov_b32 s11, -1
	s_waitcnt lgkmcnt(0)
	s_cmp_eq_u64 s[6:7], 0
	s_cbranch_scc1 .LBB193_3
; %bb.2:
	v_ashrrev_i32_e32 v1, 31, v14
	v_add_co_u32 v0, vcc_lo, s6, v14
	s_delay_alu instid0(VALU_DEP_2) | instskip(SKIP_3) | instid1(VALU_DEP_1)
	v_add_co_ci_u32_e32 v1, vcc_lo, s7, v1, vcc_lo
	global_load_u8 v0, v[0:1], off
	s_waitcnt vmcnt(0)
	v_and_b32_e32 v0, 1, v0
	v_cmp_eq_u32_e32 vcc_lo, 1, v0
	s_xor_b32 s2, vcc_lo, -1
	s_delay_alu instid0(SALU_CYCLE_1)
	s_or_not1_b32 s11, s2, exec_lo
.LBB193_3:
	v_lshlrev_b32_e32 v0, 2, v14
	s_load_b64 s[6:7], s[0:1], 0x40
	s_delay_alu instid0(VALU_DEP_1) | instskip(NEXT) | instid1(VALU_DEP_1)
	v_ashrrev_i32_e32 v1, 31, v0
	v_lshlrev_b64 v[0:1], 2, v[0:1]
	s_delay_alu instid0(VALU_DEP_1) | instskip(NEXT) | instid1(VALU_DEP_2)
	v_add_co_u32 v0, vcc_lo, s4, v0
	v_add_co_ci_u32_e32 v1, vcc_lo, s5, v1, vcc_lo
	s_waitcnt lgkmcnt(0)
	s_cmp_eq_u64 s[6:7], 0
	global_load_b128 v[0:3], v[0:1], off
	s_waitcnt vmcnt(0)
	v_dual_mul_f32 v1, 0xbfb8aa3b, v1 :: v_dual_mul_f32 v0, 0xbfb8aa3b, v0
	v_mul_f32_e32 v3, 0xbfb8aa3b, v3
	s_delay_alu instid0(VALU_DEP_2) | instskip(SKIP_1) | instid1(VALU_DEP_3)
	v_exp_f32_e32 v1, v1
	v_mul_f32_e32 v2, 0xbfb8aa3b, v2
	v_exp_f32_e32 v0, v0
	s_delay_alu instid0(VALU_DEP_2) | instskip(NEXT) | instid1(TRANS32_DEP_3)
	v_exp_f32_e32 v3, v3
	v_add_f32_e32 v1, 1.0, v1
	s_delay_alu instid0(VALU_DEP_2) | instskip(SKIP_3) | instid1(VALU_DEP_2)
	v_exp_f32_e32 v2, v2
	s_waitcnt_depctr 0xfff
	v_dual_add_f32 v0, 1.0, v0 :: v_dual_add_f32 v3, 1.0, v3
	v_div_scale_f32 v5, null, v1, v1, 1.0
	v_div_scale_f32 v4, null, v0, v0, 1.0
	s_delay_alu instid0(VALU_DEP_3) | instskip(NEXT) | instid1(VALU_DEP_3)
	v_div_scale_f32 v7, null, v3, v3, 1.0
	v_rcp_f32_e32 v9, v5
	s_delay_alu instid0(VALU_DEP_2) | instskip(SKIP_1) | instid1(VALU_DEP_2)
	v_rcp_f32_e32 v8, v4
	v_div_scale_f32 v13, s2, 1.0, v1, 1.0
	v_rcp_f32_e32 v11, v7
	v_div_scale_f32 v12, vcc_lo, 1.0, v0, 1.0
	v_div_scale_f32 v20, s4, 1.0, v3, 1.0
	s_delay_alu instid0(TRANS32_DEP_3) | instskip(SKIP_1) | instid1(TRANS32_DEP_2)
	v_fma_f32 v17, -v5, v9, 1.0
	v_add_f32_e32 v2, 1.0, v2
	v_fma_f32 v16, -v4, v8, 1.0
	s_waitcnt_depctr 0xfff
	v_fma_f32 v19, -v7, v11, 1.0
	v_fmac_f32_e32 v9, v17, v9
	v_div_scale_f32 v6, null, v2, v2, 1.0
	s_delay_alu instid0(VALU_DEP_3) | instskip(SKIP_1) | instid1(VALU_DEP_3)
	v_dual_fmac_f32 v8, v16, v8 :: v_dual_fmac_f32 v11, v19, v11
	v_div_scale_f32 v15, s3, 1.0, v2, 1.0
	v_rcp_f32_e32 v10, v6
	v_mul_f32_e32 v17, v13, v9
	s_delay_alu instid0(VALU_DEP_3) | instskip(NEXT) | instid1(VALU_DEP_2)
	v_mul_f32_e32 v19, v20, v11
	v_fma_f32 v22, -v5, v17, v13
	v_mul_f32_e32 v16, v12, v8
	s_delay_alu instid0(VALU_DEP_3) | instskip(SKIP_4) | instid1(VALU_DEP_3)
	v_fma_f32 v24, -v7, v19, v20
	s_waitcnt_depctr 0xfff
	v_fma_f32 v18, -v6, v10, 1.0
	v_fmac_f32_e32 v17, v22, v9
	v_fma_f32 v21, -v4, v16, v12
	v_dual_fmac_f32 v19, v24, v11 :: v_dual_fmac_f32 v10, v18, v10
	s_delay_alu instid0(VALU_DEP_3) | instskip(NEXT) | instid1(VALU_DEP_3)
	v_fma_f32 v5, -v5, v17, v13
	v_fmac_f32_e32 v16, v21, v8
	s_delay_alu instid0(VALU_DEP_3) | instskip(NEXT) | instid1(VALU_DEP_4)
	v_fma_f32 v7, -v7, v19, v20
	v_mul_f32_e32 v18, v15, v10
	s_delay_alu instid0(VALU_DEP_3) | instskip(NEXT) | instid1(VALU_DEP_2)
	v_fma_f32 v4, -v4, v16, v12
	v_fma_f32 v23, -v6, v18, v15
	s_delay_alu instid0(VALU_DEP_2) | instskip(SKIP_3) | instid1(VALU_DEP_2)
	v_div_fmas_f32 v4, v4, v8, v16
	s_mov_b32 vcc_lo, s2
	v_div_fmas_f32 v5, v5, v9, v17
	s_mov_b32 vcc_lo, s3
	v_div_fixup_f32 v0, v4, v0, 1.0
	s_delay_alu instid0(VALU_DEP_2) | instskip(SKIP_1) | instid1(VALU_DEP_1)
	v_div_fixup_f32 v1, v5, v1, 1.0
	v_fmac_f32_e32 v18, v23, v10
	v_fma_f32 v6, -v6, v18, v15
	s_delay_alu instid0(VALU_DEP_1) | instskip(SKIP_3) | instid1(VALU_DEP_3)
	v_div_fmas_f32 v6, v6, v10, v18
	s_mov_b32 vcc_lo, s4
	v_div_fmas_f32 v4, v7, v11, v19
	v_cmp_class_f32_e64 vcc_lo, v0, 0x1f8
	v_div_fixup_f32 v2, v6, v2, 1.0
	s_delay_alu instid0(VALU_DEP_3)
	v_div_fixup_f32 v3, v4, v3, 1.0
	v_cndmask_b32_e32 v0, 0, v0, vcc_lo
	v_cmp_class_f32_e64 vcc_lo, v1, 0x1f8
	v_cndmask_b32_e32 v1, 0, v1, vcc_lo
	v_cmp_class_f32_e64 vcc_lo, v2, 0x1f8
	;; [unrolled: 2-line block ×3, first 2 shown]
	v_cndmask_b32_e32 v3, 0, v3, vcc_lo
	s_cbranch_scc1 .LBB193_10
; %bb.4:
	s_load_b128 s[4:7], s[6:7], 0x0
	s_waitcnt lgkmcnt(0)
	v_dual_add_f32 v4, s4, v0 :: v_dual_add_f32 v5, s5, v1
	v_dual_add_f32 v6, s6, v2 :: v_dual_add_f32 v7, s7, v3
	s_cbranch_execnz .LBB193_6
.LBB193_5:
	v_dual_mov_b32 v7, v3 :: v_dual_mov_b32 v6, v2
	v_dual_mov_b32 v5, v1 :: v_dual_mov_b32 v4, v0
.LBB193_6:
	s_load_b128 s[4:7], s[0:1], 0x30
	s_waitcnt lgkmcnt(0)
	s_bitcmp1_b32 s7, 0
	s_mov_b32 s7, 0
	s_cselect_b32 vcc_lo, -1, 0
	s_cmp_gt_i32 s4, 0
	s_cselect_b32 s3, -1, 0
	s_cmp_lt_i32 s4, 1
	s_cbranch_scc1 .LBB193_11
; %bb.7:
	v_mul_lo_u32 v8, v14, s4
	s_load_b128 s[12:15], s[0:1], 0x20
	v_dual_mov_b32 v15, 0 :: v_dual_mov_b32 v16, v14
	s_delay_alu instid0(VALU_DEP_2) | instskip(NEXT) | instid1(VALU_DEP_1)
	v_ashrrev_i32_e32 v9, 31, v8
	v_lshlrev_b64 v[12:13], 2, v[8:9]
	s_delay_alu instid0(VALU_DEP_1) | instskip(NEXT) | instid1(VALU_DEP_1)
	v_add_co_u32 v8, s0, s8, v12
	v_add_co_ci_u32_e64 v9, s0, s9, v13, s0
	s_waitcnt lgkmcnt(0)
	v_add_co_u32 v10, s0, s12, v12
	s_delay_alu instid0(VALU_DEP_1) | instskip(SKIP_1) | instid1(VALU_DEP_1)
	v_add_co_ci_u32_e64 v11, s0, s13, v13, s0
	v_add_co_u32 v12, s0, s14, v12
	v_add_co_ci_u32_e64 v13, s0, s15, v13, s0
.LBB193_8:                              ; =>This Inner Loop Header: Depth=1
	v_cmp_gt_f32_e64 s0, v5, v4
	s_add_i32 s7, s7, 1
	s_delay_alu instid0(VALU_DEP_1) | instskip(SKIP_2) | instid1(VALU_DEP_3)
	v_cndmask_b32_e64 v18, v4, v5, s0
	v_cndmask_b32_e64 v17, 0, 1, s0
	;; [unrolled: 1-line block ×3, first 2 shown]
	v_cmp_gt_f32_e64 s1, v6, v18
	s_delay_alu instid0(VALU_DEP_1) | instskip(NEXT) | instid1(VALU_DEP_4)
	v_cndmask_b32_e64 v18, v18, v6, s1
	v_cndmask_b32_e64 v17, v17, 2, s1
	s_delay_alu instid0(VALU_DEP_4) | instskip(NEXT) | instid1(VALU_DEP_3)
	v_cndmask_b32_e64 v19, v19, v2, s1
	v_cmp_gt_f32_e64 s0, v7, v18
	s_delay_alu instid0(VALU_DEP_1) | instskip(NEXT) | instid1(VALU_DEP_3)
	v_cndmask_b32_e64 v17, v17, 3, s0
	v_cndmask_b32_e64 v18, v19, v3, s0
	s_delay_alu instid0(VALU_DEP_2)
	v_cmp_ne_u32_e64 s2, 0, v17
	v_cmp_le_i32_e64 s0, s5, v17
	v_cmp_gt_i32_e64 s1, s6, v17
	v_subrev_nc_u32_e32 v19, s5, v17
	v_add_f32_e32 v23, v15, v18
	v_cndmask_b32_e64 v20, 0xc61c4000, v4, s2
	v_cmp_ne_u32_e64 s2, 1, v17
	s_and_b32 s0, s0, s1
	global_store_b32 v[8:9], v18, off
	s_and_b32 s0, s11, s0
	s_cmp_lt_i32 s7, s4
	v_cndmask_b32_e64 v21, 0xc61c4000, v5, s2
	v_cmp_ne_u32_e64 s2, 2, v17
	v_cndmask_b32_e64 v18, 4, v19, s0
	s_cselect_b32 s0, -1, 0
	global_store_b32 v[10:11], v18, off
	global_store_b32 v[12:13], v16, off
	v_add_nc_u32_e32 v16, s10, v16
	v_cndmask_b32_e64 v22, 0xc61c4000, v6, s2
	v_cmp_ne_u32_e64 s2, 3, v17
	v_cndmask_b32_e64 v5, v5, v21, s0
	v_cndmask_b32_e64 v4, v4, v20, s0
	v_cndmask_b32_e32 v15, v15, v23, vcc_lo
	v_cndmask_b32_e64 v6, v6, v22, s0
	v_cndmask_b32_e64 v17, 0xc61c4000, v7, s2
	s_cmp_eq_u32 s4, s7
	s_delay_alu instid0(VALU_DEP_1) | instskip(SKIP_1) | instid1(VALU_DEP_1)
	v_cndmask_b32_e64 v7, v7, v17, s0
	v_add_co_u32 v8, s0, v8, 4
	v_add_co_ci_u32_e64 v9, s0, 0, v9, s0
	v_add_co_u32 v10, s0, v10, 4
	s_delay_alu instid0(VALU_DEP_1) | instskip(SKIP_1) | instid1(VALU_DEP_1)
	v_add_co_ci_u32_e64 v11, s0, 0, v11, s0
	v_add_co_u32 v12, s0, v12, 4
	v_add_co_ci_u32_e64 v13, s0, 0, v13, s0
	s_cbranch_scc0 .LBB193_8
; %bb.9:
	s_and_b32 vcc_lo, exec_lo, vcc_lo
	s_cbranch_vccnz .LBB193_12
	s_branch .LBB193_15
.LBB193_10:
                                        ; implicit-def: $vgpr4_vgpr5_vgpr6_vgpr7
	s_and_not1_b32 vcc_lo, exec_lo, s12
	s_cbranch_vccz .LBB193_5
	s_branch .LBB193_6
.LBB193_11:
	v_mov_b32_e32 v15, 0
	s_and_b32 vcc_lo, exec_lo, vcc_lo
	s_cbranch_vccz .LBB193_15
.LBB193_12:
	s_and_not1_b32 vcc_lo, exec_lo, s3
	s_cbranch_vccnz .LBB193_15
; %bb.13:
	v_mul_lo_u32 v0, v14, s4
	v_cmp_lt_f32_e32 vcc_lo, 0, v15
	v_cndmask_b32_e32 v2, 1.0, v15, vcc_lo
	s_delay_alu instid0(VALU_DEP_3) | instskip(NEXT) | instid1(VALU_DEP_1)
	v_ashrrev_i32_e32 v1, 31, v0
	v_lshlrev_b64 v[0:1], 2, v[0:1]
	s_delay_alu instid0(VALU_DEP_1) | instskip(NEXT) | instid1(VALU_DEP_2)
	v_add_co_u32 v0, vcc_lo, s8, v0
	v_add_co_ci_u32_e32 v1, vcc_lo, s9, v1, vcc_lo
	.p2align	6
.LBB193_14:                             ; =>This Inner Loop Header: Depth=1
	global_load_b32 v3, v[0:1], off
	s_add_i32 s4, s4, -1
	s_delay_alu instid0(SALU_CYCLE_1) | instskip(SKIP_3) | instid1(VALU_DEP_2)
	s_cmp_lg_u32 s4, 0
	s_waitcnt vmcnt(0)
	v_div_scale_f32 v4, null, v2, v2, v3
	v_div_scale_f32 v7, vcc_lo, v3, v2, v3
	v_rcp_f32_e32 v5, v4
	s_waitcnt_depctr 0xfff
	v_fma_f32 v6, -v4, v5, 1.0
	s_delay_alu instid0(VALU_DEP_1) | instskip(NEXT) | instid1(VALU_DEP_1)
	v_fmac_f32_e32 v5, v6, v5
	v_mul_f32_e32 v6, v7, v5
	s_delay_alu instid0(VALU_DEP_1) | instskip(NEXT) | instid1(VALU_DEP_1)
	v_fma_f32 v8, -v4, v6, v7
	v_fmac_f32_e32 v6, v8, v5
	s_delay_alu instid0(VALU_DEP_1) | instskip(NEXT) | instid1(VALU_DEP_1)
	v_fma_f32 v4, -v4, v6, v7
	v_div_fmas_f32 v4, v4, v5, v6
	s_delay_alu instid0(VALU_DEP_1)
	v_div_fixup_f32 v3, v4, v2, v3
	global_store_b32 v[0:1], v3, off
	v_add_co_u32 v0, vcc_lo, v0, 4
	v_add_co_ci_u32_e32 v1, vcc_lo, 0, v1, vcc_lo
	s_cbranch_scc1 .LBB193_14
.LBB193_15:
	s_nop 0
	s_sendmsg sendmsg(MSG_DEALLOC_VGPRS)
	s_endpgm
	.section	.rodata,"a",@progbits
	.p2align	6, 0x0
	.amdhsa_kernel _ZN4vllm3moe10topkGatingILi4ELi4ELi4ELi16ELi32EifLNS0_11ScoringFuncE1EEEvPKT5_PKbPfiPT4_PiiiibPKf
		.amdhsa_group_segment_fixed_size 0
		.amdhsa_private_segment_fixed_size 0
		.amdhsa_kernarg_size 72
		.amdhsa_user_sgpr_count 15
		.amdhsa_user_sgpr_dispatch_ptr 0
		.amdhsa_user_sgpr_queue_ptr 0
		.amdhsa_user_sgpr_kernarg_segment_ptr 1
		.amdhsa_user_sgpr_dispatch_id 0
		.amdhsa_user_sgpr_private_segment_size 0
		.amdhsa_wavefront_size32 1
		.amdhsa_uses_dynamic_stack 0
		.amdhsa_enable_private_segment 0
		.amdhsa_system_sgpr_workgroup_id_x 1
		.amdhsa_system_sgpr_workgroup_id_y 0
		.amdhsa_system_sgpr_workgroup_id_z 0
		.amdhsa_system_sgpr_workgroup_info 0
		.amdhsa_system_vgpr_workitem_id 1
		.amdhsa_next_free_vgpr 25
		.amdhsa_next_free_sgpr 16
		.amdhsa_reserve_vcc 1
		.amdhsa_float_round_mode_32 0
		.amdhsa_float_round_mode_16_64 0
		.amdhsa_float_denorm_mode_32 3
		.amdhsa_float_denorm_mode_16_64 3
		.amdhsa_dx10_clamp 1
		.amdhsa_ieee_mode 1
		.amdhsa_fp16_overflow 0
		.amdhsa_workgroup_processor_mode 1
		.amdhsa_memory_ordered 1
		.amdhsa_forward_progress 0
		.amdhsa_shared_vgpr_count 0
		.amdhsa_exception_fp_ieee_invalid_op 0
		.amdhsa_exception_fp_denorm_src 0
		.amdhsa_exception_fp_ieee_div_zero 0
		.amdhsa_exception_fp_ieee_overflow 0
		.amdhsa_exception_fp_ieee_underflow 0
		.amdhsa_exception_fp_ieee_inexact 0
		.amdhsa_exception_int_div_zero 0
	.end_amdhsa_kernel
	.section	.text._ZN4vllm3moe10topkGatingILi4ELi4ELi4ELi16ELi32EifLNS0_11ScoringFuncE1EEEvPKT5_PKbPfiPT4_PiiiibPKf,"axG",@progbits,_ZN4vllm3moe10topkGatingILi4ELi4ELi4ELi16ELi32EifLNS0_11ScoringFuncE1EEEvPKT5_PKbPfiPT4_PiiiibPKf,comdat
.Lfunc_end193:
	.size	_ZN4vllm3moe10topkGatingILi4ELi4ELi4ELi16ELi32EifLNS0_11ScoringFuncE1EEEvPKT5_PKbPfiPT4_PiiiibPKf, .Lfunc_end193-_ZN4vllm3moe10topkGatingILi4ELi4ELi4ELi16ELi32EifLNS0_11ScoringFuncE1EEEvPKT5_PKbPfiPT4_PiiiibPKf
                                        ; -- End function
	.section	.AMDGPU.csdata,"",@progbits
; Kernel info:
; codeLenInByte = 1528
; NumSgprs: 18
; NumVgprs: 25
; ScratchSize: 0
; MemoryBound: 0
; FloatMode: 240
; IeeeMode: 1
; LDSByteSize: 0 bytes/workgroup (compile time only)
; SGPRBlocks: 2
; VGPRBlocks: 3
; NumSGPRsForWavesPerEU: 18
; NumVGPRsForWavesPerEU: 25
; Occupancy: 16
; WaveLimiterHint : 0
; COMPUTE_PGM_RSRC2:SCRATCH_EN: 0
; COMPUTE_PGM_RSRC2:USER_SGPR: 15
; COMPUTE_PGM_RSRC2:TRAP_HANDLER: 0
; COMPUTE_PGM_RSRC2:TGID_X_EN: 1
; COMPUTE_PGM_RSRC2:TGID_Y_EN: 0
; COMPUTE_PGM_RSRC2:TGID_Z_EN: 0
; COMPUTE_PGM_RSRC2:TIDIG_COMP_CNT: 1
	.section	.text._ZN4vllm3moe10topkGatingILi4ELi8ELi4ELi16ELi64EifLNS0_11ScoringFuncE1EEEvPKT5_PKbPfiPT4_PiiiibPKf,"axG",@progbits,_ZN4vllm3moe10topkGatingILi4ELi8ELi4ELi16ELi64EifLNS0_11ScoringFuncE1EEEvPKT5_PKbPfiPT4_PiiiibPKf,comdat
	.protected	_ZN4vllm3moe10topkGatingILi4ELi8ELi4ELi16ELi64EifLNS0_11ScoringFuncE1EEEvPKT5_PKbPfiPT4_PiiiibPKf ; -- Begin function _ZN4vllm3moe10topkGatingILi4ELi8ELi4ELi16ELi64EifLNS0_11ScoringFuncE1EEEvPKT5_PKbPfiPT4_PiiiibPKf
	.globl	_ZN4vllm3moe10topkGatingILi4ELi8ELi4ELi16ELi64EifLNS0_11ScoringFuncE1EEEvPKT5_PKbPfiPT4_PiiiibPKf
	.p2align	8
	.type	_ZN4vllm3moe10topkGatingILi4ELi8ELi4ELi16ELi64EifLNS0_11ScoringFuncE1EEEvPKT5_PKbPfiPT4_PiiiibPKf,@function
_ZN4vllm3moe10topkGatingILi4ELi8ELi4ELi16ELi64EifLNS0_11ScoringFuncE1EEEvPKT5_PKbPfiPT4_PiiiibPKf: ; @_ZN4vllm3moe10topkGatingILi4ELi8ELi4ELi16ELi64EifLNS0_11ScoringFuncE1EEEvPKT5_PKbPfiPT4_PiiiibPKf
; %bb.0:
	s_load_b32 s14, s[0:1], 0x18
	v_bfe_u32 v1, v0, 10, 10
	v_and_b32_e32 v0, 0x3ff, v0
	s_lshl_b32 s2, s15, 7
	s_delay_alu instid0(VALU_DEP_2) | instskip(NEXT) | instid1(VALU_DEP_2)
	v_lshlrev_b32_e32 v1, 5, v1
	v_lshrrev_b32_e32 v2, 1, v0
	s_delay_alu instid0(VALU_DEP_1) | instskip(SKIP_2) | instid1(VALU_DEP_1)
	v_add3_u32 v8, s2, v1, v2
	s_mov_b32 s2, exec_lo
	s_waitcnt lgkmcnt(0)
	v_cmpx_gt_i32_e64 s14, v8
	s_cbranch_execz .LBB194_25
; %bb.1:
	s_clause 0x1
	s_load_b128 s[4:7], s[0:1], 0x0
	s_load_b64 s[12:13], s[0:1], 0x10
	s_mov_b32 s8, -1
	s_mov_b32 s15, -1
	s_waitcnt lgkmcnt(0)
	s_cmp_eq_u64 s[6:7], 0
	s_cbranch_scc1 .LBB194_3
; %bb.2:
	v_ashrrev_i32_e32 v2, 31, v8
	v_add_co_u32 v1, vcc_lo, s6, v8
	s_delay_alu instid0(VALU_DEP_2) | instskip(SKIP_3) | instid1(VALU_DEP_1)
	v_add_co_ci_u32_e32 v2, vcc_lo, s7, v2, vcc_lo
	global_load_u8 v1, v[1:2], off
	s_waitcnt vmcnt(0)
	v_and_b32_e32 v1, 1, v1
	v_cmp_eq_u32_e32 vcc_lo, 1, v1
	s_xor_b32 s2, vcc_lo, -1
	s_delay_alu instid0(SALU_CYCLE_1)
	s_or_not1_b32 s15, s2, exec_lo
.LBB194_3:
	v_lshlrev_b32_e32 v1, 3, v8
	v_and_b32_e32 v9, 1, v0
	s_load_b64 s[6:7], s[0:1], 0x40
	s_delay_alu instid0(VALU_DEP_2) | instskip(NEXT) | instid1(VALU_DEP_1)
	v_ashrrev_i32_e32 v2, 31, v1
	v_lshlrev_b64 v[0:1], 2, v[1:2]
	s_delay_alu instid0(VALU_DEP_3) | instskip(NEXT) | instid1(VALU_DEP_2)
	v_lshlrev_b32_e32 v2, 4, v9
	v_add_co_u32 v0, vcc_lo, s4, v0
	s_delay_alu instid0(VALU_DEP_3) | instskip(NEXT) | instid1(VALU_DEP_2)
	v_add_co_ci_u32_e32 v1, vcc_lo, s5, v1, vcc_lo
	v_add_co_u32 v0, vcc_lo, v0, v2
	s_delay_alu instid0(VALU_DEP_2)
	v_add_co_ci_u32_e32 v1, vcc_lo, 0, v1, vcc_lo
	s_waitcnt lgkmcnt(0)
	s_cmp_eq_u64 s[6:7], 0
	global_load_b128 v[0:3], v[0:1], off
	s_waitcnt vmcnt(0)
	v_dual_mul_f32 v3, 0xbfb8aa3b, v3 :: v_dual_mul_f32 v0, 0xbfb8aa3b, v0
	v_dual_mul_f32 v1, 0xbfb8aa3b, v1 :: v_dual_mul_f32 v2, 0xbfb8aa3b, v2
	s_delay_alu instid0(VALU_DEP_2) | instskip(NEXT) | instid1(VALU_DEP_2)
	v_exp_f32_e32 v3, v3
	v_exp_f32_e32 v0, v0
	s_delay_alu instid0(VALU_DEP_1) | instskip(NEXT) | instid1(VALU_DEP_1)
	v_exp_f32_e32 v1, v1
	v_exp_f32_e32 v2, v2
	s_waitcnt_depctr 0xfff
	v_dual_add_f32 v0, 1.0, v0 :: v_dual_add_f32 v1, 1.0, v1
	v_add_f32_e32 v2, 1.0, v2
	s_delay_alu instid0(VALU_DEP_2) | instskip(NEXT) | instid1(VALU_DEP_3)
	v_div_scale_f32 v4, null, v0, v0, 1.0
	v_div_scale_f32 v5, null, v1, v1, 1.0
	s_delay_alu instid0(VALU_DEP_3) | instskip(NEXT) | instid1(VALU_DEP_3)
	v_div_scale_f32 v6, null, v2, v2, 1.0
	v_rcp_f32_e32 v11, v4
	s_delay_alu instid0(VALU_DEP_2) | instskip(SKIP_1) | instid1(VALU_DEP_2)
	v_rcp_f32_e32 v12, v5
	v_div_scale_f32 v15, vcc_lo, 1.0, v0, 1.0
	v_rcp_f32_e32 v13, v6
	v_div_scale_f32 v16, s2, 1.0, v1, 1.0
	v_div_scale_f32 v17, s3, 1.0, v2, 1.0
	s_delay_alu instid0(TRANS32_DEP_3) | instskip(SKIP_4) | instid1(VALU_DEP_3)
	v_fma_f32 v10, -v4, v11, 1.0
	s_waitcnt_depctr 0xfff
	v_fma_f32 v18, -v5, v12, 1.0
	v_add_f32_e32 v3, 1.0, v3
	v_fma_f32 v19, -v6, v13, 1.0
	v_fmac_f32_e32 v12, v18, v12
	s_delay_alu instid0(VALU_DEP_3) | instskip(SKIP_1) | instid1(VALU_DEP_2)
	v_div_scale_f32 v7, null, v3, v3, 1.0
	v_div_scale_f32 v21, s4, 1.0, v3, 1.0
	v_rcp_f32_e32 v14, v7
	s_waitcnt_depctr 0xfff
	v_fma_f32 v20, -v7, v14, 1.0
	s_delay_alu instid0(VALU_DEP_1) | instskip(NEXT) | instid1(VALU_DEP_1)
	v_dual_fmac_f32 v11, v10, v11 :: v_dual_fmac_f32 v14, v20, v14
	v_mul_f32_e32 v18, v15, v11
	v_fmac_f32_e32 v13, v19, v13
	s_delay_alu instid0(VALU_DEP_3) | instskip(NEXT) | instid1(VALU_DEP_3)
	v_dual_mul_f32 v19, v16, v12 :: v_dual_mul_f32 v22, v21, v14
	v_fma_f32 v10, -v4, v18, v15
	s_delay_alu instid0(VALU_DEP_2) | instskip(NEXT) | instid1(VALU_DEP_4)
	v_fma_f32 v23, -v5, v19, v16
	v_mul_f32_e32 v20, v17, v13
	s_delay_alu instid0(VALU_DEP_4) | instskip(NEXT) | instid1(VALU_DEP_4)
	v_fma_f32 v25, -v7, v22, v21
	v_fmac_f32_e32 v18, v10, v11
	s_delay_alu instid0(VALU_DEP_4) | instskip(NEXT) | instid1(VALU_DEP_4)
	v_dual_fmac_f32 v19, v23, v12 :: v_dual_lshlrev_b32 v10, 2, v9
	v_fma_f32 v24, -v6, v20, v17
	s_delay_alu instid0(VALU_DEP_4) | instskip(NEXT) | instid1(VALU_DEP_4)
	v_fmac_f32_e32 v22, v25, v14
	v_fma_f32 v4, -v4, v18, v15
	s_delay_alu instid0(VALU_DEP_4) | instskip(NEXT) | instid1(VALU_DEP_4)
	v_fma_f32 v5, -v5, v19, v16
	v_fmac_f32_e32 v20, v24, v13
	s_delay_alu instid0(VALU_DEP_4) | instskip(NEXT) | instid1(VALU_DEP_4)
	v_fma_f32 v7, -v7, v22, v21
	v_div_fmas_f32 v4, v4, v11, v18
	s_mov_b32 vcc_lo, s2
	s_delay_alu instid0(VALU_DEP_3) | instskip(SKIP_1) | instid1(VALU_DEP_3)
	v_fma_f32 v6, -v6, v20, v17
	v_div_fmas_f32 v5, v5, v12, v19
	v_div_fixup_f32 v0, v4, v0, 1.0
	s_mov_b32 vcc_lo, s3
	s_delay_alu instid0(VALU_DEP_3)
	v_div_fmas_f32 v6, v6, v13, v20
	s_mov_b32 vcc_lo, s4
	v_div_fixup_f32 v1, v5, v1, 1.0
	v_div_fmas_f32 v4, v7, v14, v22
	v_cmp_class_f32_e64 vcc_lo, v0, 0x1f8
	v_div_fixup_f32 v2, v6, v2, 1.0
	s_delay_alu instid0(VALU_DEP_3)
	v_div_fixup_f32 v3, v4, v3, 1.0
	v_cndmask_b32_e32 v0, 0, v0, vcc_lo
	v_cmp_class_f32_e64 vcc_lo, v1, 0x1f8
	v_cndmask_b32_e32 v1, 0, v1, vcc_lo
	v_cmp_class_f32_e64 vcc_lo, v2, 0x1f8
	;; [unrolled: 2-line block ×3, first 2 shown]
	v_cndmask_b32_e32 v3, 0, v3, vcc_lo
	s_cbranch_scc1 .LBB194_19
; %bb.4:
	v_lshlrev_b32_e32 v4, 2, v10
	global_load_b128 v[4:7], v4, s[6:7]
	s_waitcnt vmcnt(0)
	v_dual_add_f32 v5, v5, v1 :: v_dual_add_f32 v4, v4, v0
	v_dual_add_f32 v7, v7, v3 :: v_dual_add_f32 v6, v6, v2
	s_cbranch_execnz .LBB194_6
.LBB194_5:
	v_dual_mov_b32 v7, v3 :: v_dual_mov_b32 v6, v2
	v_dual_mov_b32 v5, v1 :: v_dual_mov_b32 v4, v0
.LBB194_6:
	s_load_b128 s[4:7], s[0:1], 0x30
	v_cmp_eq_u32_e64 s2, 0, v9
	s_waitcnt lgkmcnt(0)
	s_bitcmp1_b32 s7, 0
	s_mov_b32 s7, 0
	s_cselect_b32 vcc_lo, -1, 0
	s_cmp_gt_i32 s4, 0
	s_cselect_b32 s3, -1, 0
	s_cmp_lt_i32 s4, 1
	s_cbranch_scc1 .LBB194_20
; %bb.7:
	v_mbcnt_lo_u32_b32 v11, -1, 0
	s_load_b128 s[8:11], s[0:1], 0x20
	v_mov_b32_e32 v14, v8
	s_delay_alu instid0(VALU_DEP_2) | instskip(SKIP_1) | instid1(VALU_DEP_2)
	v_and_b32_e32 v12, 30, v11
	v_xor_b32_e32 v13, 1, v11
	v_add_nc_u32_e32 v12, 2, v12
	s_delay_alu instid0(VALU_DEP_1) | instskip(SKIP_1) | instid1(VALU_DEP_2)
	v_cmp_lt_i32_e64 s0, v13, v12
	v_mul_lo_u32 v12, v8, s4
	v_cndmask_b32_e64 v13, v11, v13, s0
	v_mov_b32_e32 v11, 0
	s_delay_alu instid0(VALU_DEP_2)
	v_lshlrev_b32_e32 v13, 2, v13
	s_branch .LBB194_10
.LBB194_8:                              ;   in Loop: Header=BB194_10 Depth=1
	s_or_b32 exec_lo, exec_lo, s1
.LBB194_9:                              ;   in Loop: Header=BB194_10 Depth=1
	v_add_nc_u32_e32 v14, s14, v14
	s_cmp_eq_u32 s4, s7
	s_cbranch_scc1 .LBB194_21
.LBB194_10:                             ; =>This Inner Loop Header: Depth=1
	v_cmp_gt_f32_e64 s0, v5, v4
	s_mov_b32 s17, exec_lo
	s_delay_alu instid0(VALU_DEP_1) | instskip(SKIP_2) | instid1(VALU_DEP_3)
	v_cndmask_b32_e64 v16, v4, v5, s0
	v_cndmask_b32_e64 v15, 0, 1, s0
	;; [unrolled: 1-line block ×3, first 2 shown]
	v_cmp_gt_f32_e64 s1, v6, v16
	s_delay_alu instid0(VALU_DEP_1) | instskip(NEXT) | instid1(VALU_DEP_4)
	v_cndmask_b32_e64 v16, v16, v6, s1
	v_cndmask_b32_e64 v15, v15, 2, s1
	s_delay_alu instid0(VALU_DEP_4) | instskip(NEXT) | instid1(VALU_DEP_3)
	v_cndmask_b32_e64 v17, v17, v2, s1
	v_cmp_gt_f32_e64 s0, v7, v16
	s_delay_alu instid0(VALU_DEP_1) | instskip(SKIP_1) | instid1(VALU_DEP_4)
	v_cndmask_b32_e64 v15, v15, 3, s0
	v_cndmask_b32_e64 v19, v16, v7, s0
	;; [unrolled: 1-line block ×3, first 2 shown]
	s_delay_alu instid0(VALU_DEP_3)
	v_or_b32_e32 v15, v10, v15
	ds_bpermute_b32 v20, v13, v19
	ds_bpermute_b32 v17, v13, v16
	;; [unrolled: 1-line block ×3, first 2 shown]
	s_waitcnt lgkmcnt(0)
	v_cmp_lt_f32_e64 s16, v19, v20
	v_cmpx_nlt_f32_e32 v19, v20
	s_cbranch_execnz .LBB194_14
; %bb.11:                               ;   in Loop: Header=BB194_10 Depth=1
	s_or_b32 exec_lo, exec_lo, s17
	s_delay_alu instid0(VALU_DEP_2)
	s_and_saveexec_b32 s0, s16
	s_cbranch_execnz .LBB194_15
.LBB194_12:                             ;   in Loop: Header=BB194_10 Depth=1
	s_or_b32 exec_lo, exec_lo, s0
	s_and_saveexec_b32 s16, s2
	s_cbranch_execnz .LBB194_16
.LBB194_13:                             ;   in Loop: Header=BB194_10 Depth=1
	s_or_b32 exec_lo, exec_lo, s16
	s_add_i32 s7, s7, 1
	s_delay_alu instid0(SALU_CYCLE_1)
	s_cmp_ge_i32 s7, s4
	s_cbranch_scc1 .LBB194_9
	s_branch .LBB194_17
.LBB194_14:                             ;   in Loop: Header=BB194_10 Depth=1
	v_cmp_eq_f32_e64 s0, v19, v20
	v_cmp_lt_i32_e64 s1, v18, v15
	s_delay_alu instid0(VALU_DEP_1) | instskip(SKIP_2) | instid1(SALU_CYCLE_1)
	s_and_b32 s0, s0, s1
	s_and_not1_b32 s1, s16, exec_lo
	s_and_b32 s0, s0, exec_lo
	s_or_b32 s16, s1, s0
	s_or_b32 exec_lo, exec_lo, s17
	s_and_saveexec_b32 s0, s16
	s_cbranch_execz .LBB194_12
.LBB194_15:                             ;   in Loop: Header=BB194_10 Depth=1
	v_dual_mov_b32 v15, v18 :: v_dual_mov_b32 v16, v17
	s_or_b32 exec_lo, exec_lo, s0
	s_and_saveexec_b32 s16, s2
	s_cbranch_execz .LBB194_13
.LBB194_16:                             ;   in Loop: Header=BB194_10 Depth=1
	v_add_nc_u32_e32 v17, s7, v12
	v_cmp_le_i32_e64 s0, s5, v15
	v_cmp_gt_i32_e64 s1, s6, v15
	v_subrev_nc_u32_e32 v19, s5, v15
	v_add_f32_e32 v24, v11, v16
	v_ashrrev_i32_e32 v18, 31, v17
	s_delay_alu instid0(VALU_DEP_4) | instskip(NEXT) | instid1(SALU_CYCLE_1)
	s_and_b32 s0, s0, s1
	s_and_b32 s0, s15, s0
	s_delay_alu instid0(VALU_DEP_1) | instskip(SKIP_2) | instid1(VALU_DEP_3)
	v_lshlrev_b64 v[17:18], 2, v[17:18]
	v_cndmask_b32_e64 v23, 8, v19, s0
	v_cndmask_b32_e32 v11, v11, v24, vcc_lo
	v_add_co_u32 v19, s0, s12, v17
	s_delay_alu instid0(VALU_DEP_1) | instskip(SKIP_1) | instid1(VALU_DEP_1)
	v_add_co_ci_u32_e64 v20, s0, s13, v18, s0
	v_add_co_u32 v21, s0, s8, v17
	v_add_co_ci_u32_e64 v22, s0, s9, v18, s0
	v_add_co_u32 v17, s0, s10, v17
	s_delay_alu instid0(VALU_DEP_1)
	v_add_co_ci_u32_e64 v18, s0, s11, v18, s0
	global_store_b32 v[19:20], v16, off
	global_store_b32 v[21:22], v23, off
	;; [unrolled: 1-line block ×3, first 2 shown]
	s_or_b32 exec_lo, exec_lo, s16
	s_add_i32 s7, s7, 1
	s_delay_alu instid0(SALU_CYCLE_1)
	s_cmp_ge_i32 s7, s4
	s_cbranch_scc1 .LBB194_9
.LBB194_17:                             ;   in Loop: Header=BB194_10 Depth=1
	v_ashrrev_i32_e32 v17, 31, v15
	s_mov_b32 s1, exec_lo
	s_delay_alu instid0(VALU_DEP_1) | instskip(NEXT) | instid1(VALU_DEP_1)
	v_lshrrev_b32_e32 v16, 30, v17
	v_add_nc_u32_e32 v18, v15, v16
	s_delay_alu instid0(VALU_DEP_1) | instskip(SKIP_1) | instid1(VALU_DEP_1)
	v_ashrrev_i32_e32 v16, 2, v18
	v_lshrrev_b32_e32 v18, 31, v18
	v_add_nc_u32_e32 v18, v16, v18
	s_delay_alu instid0(VALU_DEP_1) | instskip(NEXT) | instid1(VALU_DEP_1)
	v_and_b32_e32 v18, -2, v18
	v_sub_nc_u32_e32 v18, v16, v18
	s_delay_alu instid0(VALU_DEP_1)
	v_cmpx_eq_u32_e64 v9, v18
	s_cbranch_execz .LBB194_8
; %bb.18:                               ;   in Loop: Header=BB194_10 Depth=1
	v_lshrrev_b32_e32 v17, 29, v17
	v_lshlrev_b32_e32 v16, 2, v16
	s_delay_alu instid0(VALU_DEP_2) | instskip(NEXT) | instid1(VALU_DEP_2)
	v_add_nc_u32_e32 v17, v15, v17
	v_sub_nc_u32_e32 v15, v15, v16
	s_delay_alu instid0(VALU_DEP_2) | instskip(NEXT) | instid1(VALU_DEP_1)
	v_ashrrev_i32_e32 v16, 3, v17
	v_lshl_add_u32 v15, v16, 2, v15
	s_delay_alu instid0(VALU_DEP_1) | instskip(NEXT) | instid1(VALU_DEP_1)
	v_cmp_ne_u32_e64 s0, 3, v15
	v_cndmask_b32_e64 v7, 0xc61c4000, v7, s0
	v_cmp_ne_u32_e64 s0, 2, v15
	s_delay_alu instid0(VALU_DEP_1) | instskip(SKIP_1) | instid1(VALU_DEP_1)
	v_cndmask_b32_e64 v6, 0xc61c4000, v6, s0
	v_cmp_ne_u32_e64 s0, 1, v15
	v_cndmask_b32_e64 v5, 0xc61c4000, v5, s0
	v_cmp_ne_u32_e64 s0, 0, v15
	s_delay_alu instid0(VALU_DEP_1)
	v_cndmask_b32_e64 v4, 0xc61c4000, v4, s0
	s_branch .LBB194_8
.LBB194_19:
                                        ; implicit-def: $vgpr4_vgpr5_vgpr6_vgpr7
	s_and_not1_b32 vcc_lo, exec_lo, s8
	s_cbranch_vccz .LBB194_5
	s_branch .LBB194_6
.LBB194_20:
	v_mov_b32_e32 v11, 0
.LBB194_21:
	v_cmp_eq_u32_e64 s0, 0, v9
	s_delay_alu instid0(VALU_DEP_1) | instskip(NEXT) | instid1(SALU_CYCLE_1)
	s_and_b32 s0, s0, vcc_lo
	s_and_b32 exec_lo, exec_lo, s0
	s_cbranch_execz .LBB194_25
; %bb.22:
	s_and_not1_b32 vcc_lo, exec_lo, s3
	s_cbranch_vccnz .LBB194_25
; %bb.23:
	v_mul_lo_u32 v0, v8, s4
	v_cmp_lt_f32_e32 vcc_lo, 0, v11
	v_cndmask_b32_e32 v2, 1.0, v11, vcc_lo
	s_delay_alu instid0(VALU_DEP_3) | instskip(NEXT) | instid1(VALU_DEP_1)
	v_ashrrev_i32_e32 v1, 31, v0
	v_lshlrev_b64 v[0:1], 2, v[0:1]
	s_delay_alu instid0(VALU_DEP_1) | instskip(NEXT) | instid1(VALU_DEP_2)
	v_add_co_u32 v0, vcc_lo, s12, v0
	v_add_co_ci_u32_e32 v1, vcc_lo, s13, v1, vcc_lo
	.p2align	6
.LBB194_24:                             ; =>This Inner Loop Header: Depth=1
	global_load_b32 v3, v[0:1], off
	s_add_i32 s4, s4, -1
	s_delay_alu instid0(SALU_CYCLE_1) | instskip(SKIP_3) | instid1(VALU_DEP_2)
	s_cmp_lg_u32 s4, 0
	s_waitcnt vmcnt(0)
	v_div_scale_f32 v4, null, v2, v2, v3
	v_div_scale_f32 v7, vcc_lo, v3, v2, v3
	v_rcp_f32_e32 v5, v4
	s_waitcnt_depctr 0xfff
	v_fma_f32 v6, -v4, v5, 1.0
	s_delay_alu instid0(VALU_DEP_1) | instskip(NEXT) | instid1(VALU_DEP_1)
	v_fmac_f32_e32 v5, v6, v5
	v_mul_f32_e32 v6, v7, v5
	s_delay_alu instid0(VALU_DEP_1) | instskip(NEXT) | instid1(VALU_DEP_1)
	v_fma_f32 v8, -v4, v6, v7
	v_fmac_f32_e32 v6, v8, v5
	s_delay_alu instid0(VALU_DEP_1) | instskip(NEXT) | instid1(VALU_DEP_1)
	v_fma_f32 v4, -v4, v6, v7
	v_div_fmas_f32 v4, v4, v5, v6
	s_delay_alu instid0(VALU_DEP_1)
	v_div_fixup_f32 v3, v4, v2, v3
	global_store_b32 v[0:1], v3, off
	v_add_co_u32 v0, vcc_lo, v0, 4
	v_add_co_ci_u32_e32 v1, vcc_lo, 0, v1, vcc_lo
	s_cbranch_scc1 .LBB194_24
.LBB194_25:
	s_nop 0
	s_sendmsg sendmsg(MSG_DEALLOC_VGPRS)
	s_endpgm
	.section	.rodata,"a",@progbits
	.p2align	6, 0x0
	.amdhsa_kernel _ZN4vllm3moe10topkGatingILi4ELi8ELi4ELi16ELi64EifLNS0_11ScoringFuncE1EEEvPKT5_PKbPfiPT4_PiiiibPKf
		.amdhsa_group_segment_fixed_size 0
		.amdhsa_private_segment_fixed_size 0
		.amdhsa_kernarg_size 72
		.amdhsa_user_sgpr_count 15
		.amdhsa_user_sgpr_dispatch_ptr 0
		.amdhsa_user_sgpr_queue_ptr 0
		.amdhsa_user_sgpr_kernarg_segment_ptr 1
		.amdhsa_user_sgpr_dispatch_id 0
		.amdhsa_user_sgpr_private_segment_size 0
		.amdhsa_wavefront_size32 1
		.amdhsa_uses_dynamic_stack 0
		.amdhsa_enable_private_segment 0
		.amdhsa_system_sgpr_workgroup_id_x 1
		.amdhsa_system_sgpr_workgroup_id_y 0
		.amdhsa_system_sgpr_workgroup_id_z 0
		.amdhsa_system_sgpr_workgroup_info 0
		.amdhsa_system_vgpr_workitem_id 1
		.amdhsa_next_free_vgpr 26
		.amdhsa_next_free_sgpr 18
		.amdhsa_reserve_vcc 1
		.amdhsa_float_round_mode_32 0
		.amdhsa_float_round_mode_16_64 0
		.amdhsa_float_denorm_mode_32 3
		.amdhsa_float_denorm_mode_16_64 3
		.amdhsa_dx10_clamp 1
		.amdhsa_ieee_mode 1
		.amdhsa_fp16_overflow 0
		.amdhsa_workgroup_processor_mode 1
		.amdhsa_memory_ordered 1
		.amdhsa_forward_progress 0
		.amdhsa_shared_vgpr_count 0
		.amdhsa_exception_fp_ieee_invalid_op 0
		.amdhsa_exception_fp_denorm_src 0
		.amdhsa_exception_fp_ieee_div_zero 0
		.amdhsa_exception_fp_ieee_overflow 0
		.amdhsa_exception_fp_ieee_underflow 0
		.amdhsa_exception_fp_ieee_inexact 0
		.amdhsa_exception_int_div_zero 0
	.end_amdhsa_kernel
	.section	.text._ZN4vllm3moe10topkGatingILi4ELi8ELi4ELi16ELi64EifLNS0_11ScoringFuncE1EEEvPKT5_PKbPfiPT4_PiiiibPKf,"axG",@progbits,_ZN4vllm3moe10topkGatingILi4ELi8ELi4ELi16ELi64EifLNS0_11ScoringFuncE1EEEvPKT5_PKbPfiPT4_PiiiibPKf,comdat
.Lfunc_end194:
	.size	_ZN4vllm3moe10topkGatingILi4ELi8ELi4ELi16ELi64EifLNS0_11ScoringFuncE1EEEvPKT5_PKbPfiPT4_PiiiibPKf, .Lfunc_end194-_ZN4vllm3moe10topkGatingILi4ELi8ELi4ELi16ELi64EifLNS0_11ScoringFuncE1EEEvPKT5_PKbPfiPT4_PiiiibPKf
                                        ; -- End function
	.section	.AMDGPU.csdata,"",@progbits
; Kernel info:
; codeLenInByte = 1864
; NumSgprs: 20
; NumVgprs: 26
; ScratchSize: 0
; MemoryBound: 0
; FloatMode: 240
; IeeeMode: 1
; LDSByteSize: 0 bytes/workgroup (compile time only)
; SGPRBlocks: 2
; VGPRBlocks: 3
; NumSGPRsForWavesPerEU: 20
; NumVGPRsForWavesPerEU: 26
; Occupancy: 16
; WaveLimiterHint : 0
; COMPUTE_PGM_RSRC2:SCRATCH_EN: 0
; COMPUTE_PGM_RSRC2:USER_SGPR: 15
; COMPUTE_PGM_RSRC2:TRAP_HANDLER: 0
; COMPUTE_PGM_RSRC2:TGID_X_EN: 1
; COMPUTE_PGM_RSRC2:TGID_Y_EN: 0
; COMPUTE_PGM_RSRC2:TGID_Z_EN: 0
; COMPUTE_PGM_RSRC2:TIDIG_COMP_CNT: 1
	.section	.text._ZN4vllm3moe10topkGatingILi4ELi8ELi4ELi16ELi32EifLNS0_11ScoringFuncE1EEEvPKT5_PKbPfiPT4_PiiiibPKf,"axG",@progbits,_ZN4vllm3moe10topkGatingILi4ELi8ELi4ELi16ELi32EifLNS0_11ScoringFuncE1EEEvPKT5_PKbPfiPT4_PiiiibPKf,comdat
	.protected	_ZN4vllm3moe10topkGatingILi4ELi8ELi4ELi16ELi32EifLNS0_11ScoringFuncE1EEEvPKT5_PKbPfiPT4_PiiiibPKf ; -- Begin function _ZN4vllm3moe10topkGatingILi4ELi8ELi4ELi16ELi32EifLNS0_11ScoringFuncE1EEEvPKT5_PKbPfiPT4_PiiiibPKf
	.globl	_ZN4vllm3moe10topkGatingILi4ELi8ELi4ELi16ELi32EifLNS0_11ScoringFuncE1EEEvPKT5_PKbPfiPT4_PiiiibPKf
	.p2align	8
	.type	_ZN4vllm3moe10topkGatingILi4ELi8ELi4ELi16ELi32EifLNS0_11ScoringFuncE1EEEvPKT5_PKbPfiPT4_PiiiibPKf,@function
_ZN4vllm3moe10topkGatingILi4ELi8ELi4ELi16ELi32EifLNS0_11ScoringFuncE1EEEvPKT5_PKbPfiPT4_PiiiibPKf: ; @_ZN4vllm3moe10topkGatingILi4ELi8ELi4ELi16ELi32EifLNS0_11ScoringFuncE1EEEvPKT5_PKbPfiPT4_PiiiibPKf
; %bb.0:
	s_load_b32 s14, s[0:1], 0x18
	v_bfe_u32 v1, v0, 10, 10
	v_and_b32_e32 v0, 0x3ff, v0
	s_lshl_b32 s2, s15, 6
	s_delay_alu instid0(VALU_DEP_2) | instskip(NEXT) | instid1(VALU_DEP_2)
	v_lshlrev_b32_e32 v1, 4, v1
	v_lshrrev_b32_e32 v2, 1, v0
	s_delay_alu instid0(VALU_DEP_1) | instskip(SKIP_2) | instid1(VALU_DEP_1)
	v_add3_u32 v8, s2, v1, v2
	s_mov_b32 s2, exec_lo
	s_waitcnt lgkmcnt(0)
	v_cmpx_gt_i32_e64 s14, v8
	s_cbranch_execz .LBB195_25
; %bb.1:
	s_clause 0x1
	s_load_b128 s[4:7], s[0:1], 0x0
	s_load_b64 s[12:13], s[0:1], 0x10
	s_mov_b32 s8, -1
	s_mov_b32 s15, -1
	s_waitcnt lgkmcnt(0)
	s_cmp_eq_u64 s[6:7], 0
	s_cbranch_scc1 .LBB195_3
; %bb.2:
	v_ashrrev_i32_e32 v2, 31, v8
	v_add_co_u32 v1, vcc_lo, s6, v8
	s_delay_alu instid0(VALU_DEP_2) | instskip(SKIP_3) | instid1(VALU_DEP_1)
	v_add_co_ci_u32_e32 v2, vcc_lo, s7, v2, vcc_lo
	global_load_u8 v1, v[1:2], off
	s_waitcnt vmcnt(0)
	v_and_b32_e32 v1, 1, v1
	v_cmp_eq_u32_e32 vcc_lo, 1, v1
	s_xor_b32 s2, vcc_lo, -1
	s_delay_alu instid0(SALU_CYCLE_1)
	s_or_not1_b32 s15, s2, exec_lo
.LBB195_3:
	v_lshlrev_b32_e32 v1, 3, v8
	v_and_b32_e32 v9, 1, v0
	s_load_b64 s[6:7], s[0:1], 0x40
	s_delay_alu instid0(VALU_DEP_2) | instskip(NEXT) | instid1(VALU_DEP_1)
	v_ashrrev_i32_e32 v2, 31, v1
	v_lshlrev_b64 v[0:1], 2, v[1:2]
	s_delay_alu instid0(VALU_DEP_3) | instskip(NEXT) | instid1(VALU_DEP_2)
	v_lshlrev_b32_e32 v2, 4, v9
	v_add_co_u32 v0, vcc_lo, s4, v0
	s_delay_alu instid0(VALU_DEP_3) | instskip(NEXT) | instid1(VALU_DEP_2)
	v_add_co_ci_u32_e32 v1, vcc_lo, s5, v1, vcc_lo
	v_add_co_u32 v0, vcc_lo, v0, v2
	s_delay_alu instid0(VALU_DEP_2)
	v_add_co_ci_u32_e32 v1, vcc_lo, 0, v1, vcc_lo
	s_waitcnt lgkmcnt(0)
	s_cmp_eq_u64 s[6:7], 0
	global_load_b128 v[0:3], v[0:1], off
	s_waitcnt vmcnt(0)
	v_dual_mul_f32 v3, 0xbfb8aa3b, v3 :: v_dual_mul_f32 v0, 0xbfb8aa3b, v0
	v_dual_mul_f32 v1, 0xbfb8aa3b, v1 :: v_dual_mul_f32 v2, 0xbfb8aa3b, v2
	s_delay_alu instid0(VALU_DEP_2) | instskip(NEXT) | instid1(VALU_DEP_2)
	v_exp_f32_e32 v3, v3
	v_exp_f32_e32 v0, v0
	s_delay_alu instid0(VALU_DEP_1) | instskip(NEXT) | instid1(VALU_DEP_1)
	v_exp_f32_e32 v1, v1
	v_exp_f32_e32 v2, v2
	s_waitcnt_depctr 0xfff
	v_dual_add_f32 v0, 1.0, v0 :: v_dual_add_f32 v1, 1.0, v1
	v_add_f32_e32 v2, 1.0, v2
	s_delay_alu instid0(VALU_DEP_2) | instskip(NEXT) | instid1(VALU_DEP_3)
	v_div_scale_f32 v4, null, v0, v0, 1.0
	v_div_scale_f32 v5, null, v1, v1, 1.0
	s_delay_alu instid0(VALU_DEP_3) | instskip(NEXT) | instid1(VALU_DEP_3)
	v_div_scale_f32 v6, null, v2, v2, 1.0
	v_rcp_f32_e32 v11, v4
	s_delay_alu instid0(VALU_DEP_2) | instskip(SKIP_1) | instid1(VALU_DEP_2)
	v_rcp_f32_e32 v12, v5
	v_div_scale_f32 v15, vcc_lo, 1.0, v0, 1.0
	v_rcp_f32_e32 v13, v6
	v_div_scale_f32 v16, s2, 1.0, v1, 1.0
	v_div_scale_f32 v17, s3, 1.0, v2, 1.0
	s_delay_alu instid0(TRANS32_DEP_3) | instskip(SKIP_4) | instid1(VALU_DEP_3)
	v_fma_f32 v10, -v4, v11, 1.0
	s_waitcnt_depctr 0xfff
	v_fma_f32 v18, -v5, v12, 1.0
	v_add_f32_e32 v3, 1.0, v3
	v_fma_f32 v19, -v6, v13, 1.0
	v_fmac_f32_e32 v12, v18, v12
	s_delay_alu instid0(VALU_DEP_3) | instskip(SKIP_1) | instid1(VALU_DEP_2)
	v_div_scale_f32 v7, null, v3, v3, 1.0
	v_div_scale_f32 v21, s4, 1.0, v3, 1.0
	v_rcp_f32_e32 v14, v7
	s_waitcnt_depctr 0xfff
	v_fma_f32 v20, -v7, v14, 1.0
	s_delay_alu instid0(VALU_DEP_1) | instskip(NEXT) | instid1(VALU_DEP_1)
	v_dual_fmac_f32 v11, v10, v11 :: v_dual_fmac_f32 v14, v20, v14
	v_mul_f32_e32 v18, v15, v11
	v_fmac_f32_e32 v13, v19, v13
	s_delay_alu instid0(VALU_DEP_3) | instskip(NEXT) | instid1(VALU_DEP_3)
	v_dual_mul_f32 v19, v16, v12 :: v_dual_mul_f32 v22, v21, v14
	v_fma_f32 v10, -v4, v18, v15
	s_delay_alu instid0(VALU_DEP_2) | instskip(NEXT) | instid1(VALU_DEP_4)
	v_fma_f32 v23, -v5, v19, v16
	v_mul_f32_e32 v20, v17, v13
	s_delay_alu instid0(VALU_DEP_4) | instskip(NEXT) | instid1(VALU_DEP_4)
	v_fma_f32 v25, -v7, v22, v21
	v_fmac_f32_e32 v18, v10, v11
	s_delay_alu instid0(VALU_DEP_4) | instskip(NEXT) | instid1(VALU_DEP_4)
	v_dual_fmac_f32 v19, v23, v12 :: v_dual_lshlrev_b32 v10, 2, v9
	v_fma_f32 v24, -v6, v20, v17
	s_delay_alu instid0(VALU_DEP_4) | instskip(NEXT) | instid1(VALU_DEP_4)
	v_fmac_f32_e32 v22, v25, v14
	v_fma_f32 v4, -v4, v18, v15
	s_delay_alu instid0(VALU_DEP_4) | instskip(NEXT) | instid1(VALU_DEP_4)
	v_fma_f32 v5, -v5, v19, v16
	v_fmac_f32_e32 v20, v24, v13
	s_delay_alu instid0(VALU_DEP_4) | instskip(NEXT) | instid1(VALU_DEP_4)
	v_fma_f32 v7, -v7, v22, v21
	v_div_fmas_f32 v4, v4, v11, v18
	s_mov_b32 vcc_lo, s2
	s_delay_alu instid0(VALU_DEP_3) | instskip(SKIP_1) | instid1(VALU_DEP_3)
	v_fma_f32 v6, -v6, v20, v17
	v_div_fmas_f32 v5, v5, v12, v19
	v_div_fixup_f32 v0, v4, v0, 1.0
	s_mov_b32 vcc_lo, s3
	s_delay_alu instid0(VALU_DEP_3)
	v_div_fmas_f32 v6, v6, v13, v20
	s_mov_b32 vcc_lo, s4
	v_div_fixup_f32 v1, v5, v1, 1.0
	v_div_fmas_f32 v4, v7, v14, v22
	v_cmp_class_f32_e64 vcc_lo, v0, 0x1f8
	v_div_fixup_f32 v2, v6, v2, 1.0
	s_delay_alu instid0(VALU_DEP_3)
	v_div_fixup_f32 v3, v4, v3, 1.0
	v_cndmask_b32_e32 v0, 0, v0, vcc_lo
	v_cmp_class_f32_e64 vcc_lo, v1, 0x1f8
	v_cndmask_b32_e32 v1, 0, v1, vcc_lo
	v_cmp_class_f32_e64 vcc_lo, v2, 0x1f8
	;; [unrolled: 2-line block ×3, first 2 shown]
	v_cndmask_b32_e32 v3, 0, v3, vcc_lo
	s_cbranch_scc1 .LBB195_19
; %bb.4:
	v_lshlrev_b32_e32 v4, 2, v10
	global_load_b128 v[4:7], v4, s[6:7]
	s_waitcnt vmcnt(0)
	v_dual_add_f32 v5, v5, v1 :: v_dual_add_f32 v4, v4, v0
	v_dual_add_f32 v7, v7, v3 :: v_dual_add_f32 v6, v6, v2
	s_cbranch_execnz .LBB195_6
.LBB195_5:
	v_dual_mov_b32 v7, v3 :: v_dual_mov_b32 v6, v2
	v_dual_mov_b32 v5, v1 :: v_dual_mov_b32 v4, v0
.LBB195_6:
	s_load_b128 s[4:7], s[0:1], 0x30
	v_cmp_eq_u32_e64 s2, 0, v9
	s_waitcnt lgkmcnt(0)
	s_bitcmp1_b32 s7, 0
	s_mov_b32 s7, 0
	s_cselect_b32 vcc_lo, -1, 0
	s_cmp_gt_i32 s4, 0
	s_cselect_b32 s3, -1, 0
	s_cmp_lt_i32 s4, 1
	s_cbranch_scc1 .LBB195_20
; %bb.7:
	v_mbcnt_lo_u32_b32 v11, -1, 0
	s_load_b128 s[8:11], s[0:1], 0x20
	v_mov_b32_e32 v14, v8
	s_delay_alu instid0(VALU_DEP_2) | instskip(SKIP_1) | instid1(VALU_DEP_2)
	v_and_b32_e32 v12, 30, v11
	v_xor_b32_e32 v13, 1, v11
	v_add_nc_u32_e32 v12, 2, v12
	s_delay_alu instid0(VALU_DEP_1) | instskip(SKIP_1) | instid1(VALU_DEP_2)
	v_cmp_lt_i32_e64 s0, v13, v12
	v_mul_lo_u32 v12, v8, s4
	v_cndmask_b32_e64 v13, v11, v13, s0
	v_mov_b32_e32 v11, 0
	s_delay_alu instid0(VALU_DEP_2)
	v_lshlrev_b32_e32 v13, 2, v13
	s_branch .LBB195_10
.LBB195_8:                              ;   in Loop: Header=BB195_10 Depth=1
	s_or_b32 exec_lo, exec_lo, s1
.LBB195_9:                              ;   in Loop: Header=BB195_10 Depth=1
	v_add_nc_u32_e32 v14, s14, v14
	s_cmp_eq_u32 s4, s7
	s_cbranch_scc1 .LBB195_21
.LBB195_10:                             ; =>This Inner Loop Header: Depth=1
	v_cmp_gt_f32_e64 s0, v5, v4
	s_mov_b32 s17, exec_lo
	s_delay_alu instid0(VALU_DEP_1) | instskip(SKIP_2) | instid1(VALU_DEP_3)
	v_cndmask_b32_e64 v16, v4, v5, s0
	v_cndmask_b32_e64 v15, 0, 1, s0
	v_cndmask_b32_e64 v17, v0, v1, s0
	v_cmp_gt_f32_e64 s1, v6, v16
	s_delay_alu instid0(VALU_DEP_1) | instskip(NEXT) | instid1(VALU_DEP_4)
	v_cndmask_b32_e64 v16, v16, v6, s1
	v_cndmask_b32_e64 v15, v15, 2, s1
	s_delay_alu instid0(VALU_DEP_4) | instskip(NEXT) | instid1(VALU_DEP_3)
	v_cndmask_b32_e64 v17, v17, v2, s1
	v_cmp_gt_f32_e64 s0, v7, v16
	s_delay_alu instid0(VALU_DEP_1) | instskip(SKIP_1) | instid1(VALU_DEP_4)
	v_cndmask_b32_e64 v15, v15, 3, s0
	v_cndmask_b32_e64 v19, v16, v7, s0
	;; [unrolled: 1-line block ×3, first 2 shown]
	s_delay_alu instid0(VALU_DEP_3)
	v_or_b32_e32 v15, v10, v15
	ds_bpermute_b32 v20, v13, v19
	ds_bpermute_b32 v17, v13, v16
	ds_bpermute_b32 v18, v13, v15
	s_waitcnt lgkmcnt(0)
	v_cmp_lt_f32_e64 s16, v19, v20
	v_cmpx_nlt_f32_e32 v19, v20
	s_cbranch_execnz .LBB195_14
; %bb.11:                               ;   in Loop: Header=BB195_10 Depth=1
	s_or_b32 exec_lo, exec_lo, s17
	s_delay_alu instid0(VALU_DEP_2)
	s_and_saveexec_b32 s0, s16
	s_cbranch_execnz .LBB195_15
.LBB195_12:                             ;   in Loop: Header=BB195_10 Depth=1
	s_or_b32 exec_lo, exec_lo, s0
	s_and_saveexec_b32 s16, s2
	s_cbranch_execnz .LBB195_16
.LBB195_13:                             ;   in Loop: Header=BB195_10 Depth=1
	s_or_b32 exec_lo, exec_lo, s16
	s_add_i32 s7, s7, 1
	s_delay_alu instid0(SALU_CYCLE_1)
	s_cmp_ge_i32 s7, s4
	s_cbranch_scc1 .LBB195_9
	s_branch .LBB195_17
.LBB195_14:                             ;   in Loop: Header=BB195_10 Depth=1
	v_cmp_eq_f32_e64 s0, v19, v20
	v_cmp_lt_i32_e64 s1, v18, v15
	s_delay_alu instid0(VALU_DEP_1) | instskip(SKIP_2) | instid1(SALU_CYCLE_1)
	s_and_b32 s0, s0, s1
	s_and_not1_b32 s1, s16, exec_lo
	s_and_b32 s0, s0, exec_lo
	s_or_b32 s16, s1, s0
	s_or_b32 exec_lo, exec_lo, s17
	s_and_saveexec_b32 s0, s16
	s_cbranch_execz .LBB195_12
.LBB195_15:                             ;   in Loop: Header=BB195_10 Depth=1
	v_dual_mov_b32 v15, v18 :: v_dual_mov_b32 v16, v17
	s_or_b32 exec_lo, exec_lo, s0
	s_and_saveexec_b32 s16, s2
	s_cbranch_execz .LBB195_13
.LBB195_16:                             ;   in Loop: Header=BB195_10 Depth=1
	v_add_nc_u32_e32 v17, s7, v12
	v_cmp_le_i32_e64 s0, s5, v15
	v_cmp_gt_i32_e64 s1, s6, v15
	v_subrev_nc_u32_e32 v19, s5, v15
	v_add_f32_e32 v24, v11, v16
	v_ashrrev_i32_e32 v18, 31, v17
	s_delay_alu instid0(VALU_DEP_4) | instskip(NEXT) | instid1(SALU_CYCLE_1)
	s_and_b32 s0, s0, s1
	s_and_b32 s0, s15, s0
	s_delay_alu instid0(VALU_DEP_1) | instskip(SKIP_2) | instid1(VALU_DEP_3)
	v_lshlrev_b64 v[17:18], 2, v[17:18]
	v_cndmask_b32_e64 v23, 8, v19, s0
	v_cndmask_b32_e32 v11, v11, v24, vcc_lo
	v_add_co_u32 v19, s0, s12, v17
	s_delay_alu instid0(VALU_DEP_1) | instskip(SKIP_1) | instid1(VALU_DEP_1)
	v_add_co_ci_u32_e64 v20, s0, s13, v18, s0
	v_add_co_u32 v21, s0, s8, v17
	v_add_co_ci_u32_e64 v22, s0, s9, v18, s0
	v_add_co_u32 v17, s0, s10, v17
	s_delay_alu instid0(VALU_DEP_1)
	v_add_co_ci_u32_e64 v18, s0, s11, v18, s0
	global_store_b32 v[19:20], v16, off
	global_store_b32 v[21:22], v23, off
	;; [unrolled: 1-line block ×3, first 2 shown]
	s_or_b32 exec_lo, exec_lo, s16
	s_add_i32 s7, s7, 1
	s_delay_alu instid0(SALU_CYCLE_1)
	s_cmp_ge_i32 s7, s4
	s_cbranch_scc1 .LBB195_9
.LBB195_17:                             ;   in Loop: Header=BB195_10 Depth=1
	v_ashrrev_i32_e32 v17, 31, v15
	s_mov_b32 s1, exec_lo
	s_delay_alu instid0(VALU_DEP_1) | instskip(NEXT) | instid1(VALU_DEP_1)
	v_lshrrev_b32_e32 v16, 30, v17
	v_add_nc_u32_e32 v18, v15, v16
	s_delay_alu instid0(VALU_DEP_1) | instskip(SKIP_1) | instid1(VALU_DEP_1)
	v_ashrrev_i32_e32 v16, 2, v18
	v_lshrrev_b32_e32 v18, 31, v18
	v_add_nc_u32_e32 v18, v16, v18
	s_delay_alu instid0(VALU_DEP_1) | instskip(NEXT) | instid1(VALU_DEP_1)
	v_and_b32_e32 v18, -2, v18
	v_sub_nc_u32_e32 v18, v16, v18
	s_delay_alu instid0(VALU_DEP_1)
	v_cmpx_eq_u32_e64 v9, v18
	s_cbranch_execz .LBB195_8
; %bb.18:                               ;   in Loop: Header=BB195_10 Depth=1
	v_lshrrev_b32_e32 v17, 29, v17
	v_lshlrev_b32_e32 v16, 2, v16
	s_delay_alu instid0(VALU_DEP_2) | instskip(NEXT) | instid1(VALU_DEP_2)
	v_add_nc_u32_e32 v17, v15, v17
	v_sub_nc_u32_e32 v15, v15, v16
	s_delay_alu instid0(VALU_DEP_2) | instskip(NEXT) | instid1(VALU_DEP_1)
	v_ashrrev_i32_e32 v16, 3, v17
	v_lshl_add_u32 v15, v16, 2, v15
	s_delay_alu instid0(VALU_DEP_1) | instskip(NEXT) | instid1(VALU_DEP_1)
	v_cmp_ne_u32_e64 s0, 3, v15
	v_cndmask_b32_e64 v7, 0xc61c4000, v7, s0
	v_cmp_ne_u32_e64 s0, 2, v15
	s_delay_alu instid0(VALU_DEP_1) | instskip(SKIP_1) | instid1(VALU_DEP_1)
	v_cndmask_b32_e64 v6, 0xc61c4000, v6, s0
	v_cmp_ne_u32_e64 s0, 1, v15
	v_cndmask_b32_e64 v5, 0xc61c4000, v5, s0
	v_cmp_ne_u32_e64 s0, 0, v15
	s_delay_alu instid0(VALU_DEP_1)
	v_cndmask_b32_e64 v4, 0xc61c4000, v4, s0
	s_branch .LBB195_8
.LBB195_19:
                                        ; implicit-def: $vgpr4_vgpr5_vgpr6_vgpr7
	s_and_not1_b32 vcc_lo, exec_lo, s8
	s_cbranch_vccz .LBB195_5
	s_branch .LBB195_6
.LBB195_20:
	v_mov_b32_e32 v11, 0
.LBB195_21:
	v_cmp_eq_u32_e64 s0, 0, v9
	s_delay_alu instid0(VALU_DEP_1) | instskip(NEXT) | instid1(SALU_CYCLE_1)
	s_and_b32 s0, s0, vcc_lo
	s_and_b32 exec_lo, exec_lo, s0
	s_cbranch_execz .LBB195_25
; %bb.22:
	s_and_not1_b32 vcc_lo, exec_lo, s3
	s_cbranch_vccnz .LBB195_25
; %bb.23:
	v_mul_lo_u32 v0, v8, s4
	v_cmp_lt_f32_e32 vcc_lo, 0, v11
	v_cndmask_b32_e32 v2, 1.0, v11, vcc_lo
	s_delay_alu instid0(VALU_DEP_3) | instskip(NEXT) | instid1(VALU_DEP_1)
	v_ashrrev_i32_e32 v1, 31, v0
	v_lshlrev_b64 v[0:1], 2, v[0:1]
	s_delay_alu instid0(VALU_DEP_1) | instskip(NEXT) | instid1(VALU_DEP_2)
	v_add_co_u32 v0, vcc_lo, s12, v0
	v_add_co_ci_u32_e32 v1, vcc_lo, s13, v1, vcc_lo
	.p2align	6
.LBB195_24:                             ; =>This Inner Loop Header: Depth=1
	global_load_b32 v3, v[0:1], off
	s_add_i32 s4, s4, -1
	s_delay_alu instid0(SALU_CYCLE_1) | instskip(SKIP_3) | instid1(VALU_DEP_2)
	s_cmp_lg_u32 s4, 0
	s_waitcnt vmcnt(0)
	v_div_scale_f32 v4, null, v2, v2, v3
	v_div_scale_f32 v7, vcc_lo, v3, v2, v3
	v_rcp_f32_e32 v5, v4
	s_waitcnt_depctr 0xfff
	v_fma_f32 v6, -v4, v5, 1.0
	s_delay_alu instid0(VALU_DEP_1) | instskip(NEXT) | instid1(VALU_DEP_1)
	v_fmac_f32_e32 v5, v6, v5
	v_mul_f32_e32 v6, v7, v5
	s_delay_alu instid0(VALU_DEP_1) | instskip(NEXT) | instid1(VALU_DEP_1)
	v_fma_f32 v8, -v4, v6, v7
	v_fmac_f32_e32 v6, v8, v5
	s_delay_alu instid0(VALU_DEP_1) | instskip(NEXT) | instid1(VALU_DEP_1)
	v_fma_f32 v4, -v4, v6, v7
	v_div_fmas_f32 v4, v4, v5, v6
	s_delay_alu instid0(VALU_DEP_1)
	v_div_fixup_f32 v3, v4, v2, v3
	global_store_b32 v[0:1], v3, off
	v_add_co_u32 v0, vcc_lo, v0, 4
	v_add_co_ci_u32_e32 v1, vcc_lo, 0, v1, vcc_lo
	s_cbranch_scc1 .LBB195_24
.LBB195_25:
	s_nop 0
	s_sendmsg sendmsg(MSG_DEALLOC_VGPRS)
	s_endpgm
	.section	.rodata,"a",@progbits
	.p2align	6, 0x0
	.amdhsa_kernel _ZN4vllm3moe10topkGatingILi4ELi8ELi4ELi16ELi32EifLNS0_11ScoringFuncE1EEEvPKT5_PKbPfiPT4_PiiiibPKf
		.amdhsa_group_segment_fixed_size 0
		.amdhsa_private_segment_fixed_size 0
		.amdhsa_kernarg_size 72
		.amdhsa_user_sgpr_count 15
		.amdhsa_user_sgpr_dispatch_ptr 0
		.amdhsa_user_sgpr_queue_ptr 0
		.amdhsa_user_sgpr_kernarg_segment_ptr 1
		.amdhsa_user_sgpr_dispatch_id 0
		.amdhsa_user_sgpr_private_segment_size 0
		.amdhsa_wavefront_size32 1
		.amdhsa_uses_dynamic_stack 0
		.amdhsa_enable_private_segment 0
		.amdhsa_system_sgpr_workgroup_id_x 1
		.amdhsa_system_sgpr_workgroup_id_y 0
		.amdhsa_system_sgpr_workgroup_id_z 0
		.amdhsa_system_sgpr_workgroup_info 0
		.amdhsa_system_vgpr_workitem_id 1
		.amdhsa_next_free_vgpr 26
		.amdhsa_next_free_sgpr 18
		.amdhsa_reserve_vcc 1
		.amdhsa_float_round_mode_32 0
		.amdhsa_float_round_mode_16_64 0
		.amdhsa_float_denorm_mode_32 3
		.amdhsa_float_denorm_mode_16_64 3
		.amdhsa_dx10_clamp 1
		.amdhsa_ieee_mode 1
		.amdhsa_fp16_overflow 0
		.amdhsa_workgroup_processor_mode 1
		.amdhsa_memory_ordered 1
		.amdhsa_forward_progress 0
		.amdhsa_shared_vgpr_count 0
		.amdhsa_exception_fp_ieee_invalid_op 0
		.amdhsa_exception_fp_denorm_src 0
		.amdhsa_exception_fp_ieee_div_zero 0
		.amdhsa_exception_fp_ieee_overflow 0
		.amdhsa_exception_fp_ieee_underflow 0
		.amdhsa_exception_fp_ieee_inexact 0
		.amdhsa_exception_int_div_zero 0
	.end_amdhsa_kernel
	.section	.text._ZN4vllm3moe10topkGatingILi4ELi8ELi4ELi16ELi32EifLNS0_11ScoringFuncE1EEEvPKT5_PKbPfiPT4_PiiiibPKf,"axG",@progbits,_ZN4vllm3moe10topkGatingILi4ELi8ELi4ELi16ELi32EifLNS0_11ScoringFuncE1EEEvPKT5_PKbPfiPT4_PiiiibPKf,comdat
.Lfunc_end195:
	.size	_ZN4vllm3moe10topkGatingILi4ELi8ELi4ELi16ELi32EifLNS0_11ScoringFuncE1EEEvPKT5_PKbPfiPT4_PiiiibPKf, .Lfunc_end195-_ZN4vllm3moe10topkGatingILi4ELi8ELi4ELi16ELi32EifLNS0_11ScoringFuncE1EEEvPKT5_PKbPfiPT4_PiiiibPKf
                                        ; -- End function
	.section	.AMDGPU.csdata,"",@progbits
; Kernel info:
; codeLenInByte = 1864
; NumSgprs: 20
; NumVgprs: 26
; ScratchSize: 0
; MemoryBound: 0
; FloatMode: 240
; IeeeMode: 1
; LDSByteSize: 0 bytes/workgroup (compile time only)
; SGPRBlocks: 2
; VGPRBlocks: 3
; NumSGPRsForWavesPerEU: 20
; NumVGPRsForWavesPerEU: 26
; Occupancy: 16
; WaveLimiterHint : 0
; COMPUTE_PGM_RSRC2:SCRATCH_EN: 0
; COMPUTE_PGM_RSRC2:USER_SGPR: 15
; COMPUTE_PGM_RSRC2:TRAP_HANDLER: 0
; COMPUTE_PGM_RSRC2:TGID_X_EN: 1
; COMPUTE_PGM_RSRC2:TGID_Y_EN: 0
; COMPUTE_PGM_RSRC2:TGID_Z_EN: 0
; COMPUTE_PGM_RSRC2:TIDIG_COMP_CNT: 1
	.section	.text._ZN4vllm3moe10topkGatingILi4ELi16ELi4ELi16ELi64EifLNS0_11ScoringFuncE1EEEvPKT5_PKbPfiPT4_PiiiibPKf,"axG",@progbits,_ZN4vllm3moe10topkGatingILi4ELi16ELi4ELi16ELi64EifLNS0_11ScoringFuncE1EEEvPKT5_PKbPfiPT4_PiiiibPKf,comdat
	.protected	_ZN4vllm3moe10topkGatingILi4ELi16ELi4ELi16ELi64EifLNS0_11ScoringFuncE1EEEvPKT5_PKbPfiPT4_PiiiibPKf ; -- Begin function _ZN4vllm3moe10topkGatingILi4ELi16ELi4ELi16ELi64EifLNS0_11ScoringFuncE1EEEvPKT5_PKbPfiPT4_PiiiibPKf
	.globl	_ZN4vllm3moe10topkGatingILi4ELi16ELi4ELi16ELi64EifLNS0_11ScoringFuncE1EEEvPKT5_PKbPfiPT4_PiiiibPKf
	.p2align	8
	.type	_ZN4vllm3moe10topkGatingILi4ELi16ELi4ELi16ELi64EifLNS0_11ScoringFuncE1EEEvPKT5_PKbPfiPT4_PiiiibPKf,@function
_ZN4vllm3moe10topkGatingILi4ELi16ELi4ELi16ELi64EifLNS0_11ScoringFuncE1EEEvPKT5_PKbPfiPT4_PiiiibPKf: ; @_ZN4vllm3moe10topkGatingILi4ELi16ELi4ELi16ELi64EifLNS0_11ScoringFuncE1EEEvPKT5_PKbPfiPT4_PiiiibPKf
; %bb.0:
	s_load_b32 s14, s[0:1], 0x18
	v_bfe_u32 v1, v0, 10, 10
	v_and_b32_e32 v0, 0x3ff, v0
	s_lshl_b32 s2, s15, 6
	s_delay_alu instid0(VALU_DEP_2) | instskip(NEXT) | instid1(VALU_DEP_2)
	v_lshlrev_b32_e32 v1, 4, v1
	v_lshrrev_b32_e32 v2, 2, v0
	s_delay_alu instid0(VALU_DEP_1) | instskip(SKIP_2) | instid1(VALU_DEP_1)
	v_add3_u32 v8, s2, v1, v2
	s_mov_b32 s2, exec_lo
	s_waitcnt lgkmcnt(0)
	v_cmpx_gt_i32_e64 s14, v8
	s_cbranch_execz .LBB196_29
; %bb.1:
	s_clause 0x1
	s_load_b128 s[4:7], s[0:1], 0x0
	s_load_b64 s[12:13], s[0:1], 0x10
	s_mov_b32 s8, -1
	s_mov_b32 s15, -1
	s_waitcnt lgkmcnt(0)
	s_cmp_eq_u64 s[6:7], 0
	s_cbranch_scc1 .LBB196_3
; %bb.2:
	v_ashrrev_i32_e32 v2, 31, v8
	v_add_co_u32 v1, vcc_lo, s6, v8
	s_delay_alu instid0(VALU_DEP_2) | instskip(SKIP_3) | instid1(VALU_DEP_1)
	v_add_co_ci_u32_e32 v2, vcc_lo, s7, v2, vcc_lo
	global_load_u8 v1, v[1:2], off
	s_waitcnt vmcnt(0)
	v_and_b32_e32 v1, 1, v1
	v_cmp_eq_u32_e32 vcc_lo, 1, v1
	s_xor_b32 s2, vcc_lo, -1
	s_delay_alu instid0(SALU_CYCLE_1)
	s_or_not1_b32 s15, s2, exec_lo
.LBB196_3:
	v_lshlrev_b32_e32 v1, 4, v8
	v_and_b32_e32 v9, 3, v0
	s_load_b64 s[6:7], s[0:1], 0x40
	s_delay_alu instid0(VALU_DEP_2) | instskip(NEXT) | instid1(VALU_DEP_1)
	v_ashrrev_i32_e32 v2, 31, v1
	v_lshlrev_b64 v[0:1], 2, v[1:2]
	s_delay_alu instid0(VALU_DEP_3) | instskip(NEXT) | instid1(VALU_DEP_2)
	v_lshlrev_b32_e32 v2, 4, v9
	v_add_co_u32 v0, vcc_lo, s4, v0
	s_delay_alu instid0(VALU_DEP_3) | instskip(NEXT) | instid1(VALU_DEP_2)
	v_add_co_ci_u32_e32 v1, vcc_lo, s5, v1, vcc_lo
	v_add_co_u32 v0, vcc_lo, v0, v2
	s_delay_alu instid0(VALU_DEP_2)
	v_add_co_ci_u32_e32 v1, vcc_lo, 0, v1, vcc_lo
	s_waitcnt lgkmcnt(0)
	s_cmp_eq_u64 s[6:7], 0
	global_load_b128 v[0:3], v[0:1], off
	s_waitcnt vmcnt(0)
	v_dual_mul_f32 v3, 0xbfb8aa3b, v3 :: v_dual_mul_f32 v0, 0xbfb8aa3b, v0
	v_dual_mul_f32 v1, 0xbfb8aa3b, v1 :: v_dual_mul_f32 v2, 0xbfb8aa3b, v2
	s_delay_alu instid0(VALU_DEP_2) | instskip(NEXT) | instid1(VALU_DEP_2)
	v_exp_f32_e32 v3, v3
	v_exp_f32_e32 v0, v0
	s_delay_alu instid0(VALU_DEP_1) | instskip(NEXT) | instid1(VALU_DEP_1)
	v_exp_f32_e32 v1, v1
	v_exp_f32_e32 v2, v2
	s_waitcnt_depctr 0xfff
	v_dual_add_f32 v0, 1.0, v0 :: v_dual_add_f32 v1, 1.0, v1
	v_add_f32_e32 v2, 1.0, v2
	s_delay_alu instid0(VALU_DEP_2) | instskip(NEXT) | instid1(VALU_DEP_3)
	v_div_scale_f32 v4, null, v0, v0, 1.0
	v_div_scale_f32 v5, null, v1, v1, 1.0
	s_delay_alu instid0(VALU_DEP_3) | instskip(NEXT) | instid1(VALU_DEP_3)
	v_div_scale_f32 v6, null, v2, v2, 1.0
	v_rcp_f32_e32 v11, v4
	s_delay_alu instid0(VALU_DEP_2) | instskip(SKIP_1) | instid1(VALU_DEP_2)
	v_rcp_f32_e32 v12, v5
	v_div_scale_f32 v15, vcc_lo, 1.0, v0, 1.0
	v_rcp_f32_e32 v13, v6
	v_div_scale_f32 v16, s2, 1.0, v1, 1.0
	v_div_scale_f32 v17, s3, 1.0, v2, 1.0
	s_delay_alu instid0(TRANS32_DEP_3) | instskip(SKIP_4) | instid1(VALU_DEP_3)
	v_fma_f32 v10, -v4, v11, 1.0
	s_waitcnt_depctr 0xfff
	v_fma_f32 v18, -v5, v12, 1.0
	v_add_f32_e32 v3, 1.0, v3
	v_fma_f32 v19, -v6, v13, 1.0
	v_fmac_f32_e32 v12, v18, v12
	s_delay_alu instid0(VALU_DEP_3) | instskip(SKIP_1) | instid1(VALU_DEP_2)
	v_div_scale_f32 v7, null, v3, v3, 1.0
	v_div_scale_f32 v21, s4, 1.0, v3, 1.0
	v_rcp_f32_e32 v14, v7
	s_waitcnt_depctr 0xfff
	v_fma_f32 v20, -v7, v14, 1.0
	s_delay_alu instid0(VALU_DEP_1) | instskip(NEXT) | instid1(VALU_DEP_1)
	v_dual_fmac_f32 v11, v10, v11 :: v_dual_fmac_f32 v14, v20, v14
	v_mul_f32_e32 v18, v15, v11
	v_fmac_f32_e32 v13, v19, v13
	s_delay_alu instid0(VALU_DEP_3) | instskip(NEXT) | instid1(VALU_DEP_3)
	v_dual_mul_f32 v19, v16, v12 :: v_dual_mul_f32 v22, v21, v14
	v_fma_f32 v10, -v4, v18, v15
	s_delay_alu instid0(VALU_DEP_2) | instskip(NEXT) | instid1(VALU_DEP_4)
	v_fma_f32 v23, -v5, v19, v16
	v_mul_f32_e32 v20, v17, v13
	s_delay_alu instid0(VALU_DEP_4) | instskip(NEXT) | instid1(VALU_DEP_4)
	v_fma_f32 v25, -v7, v22, v21
	v_fmac_f32_e32 v18, v10, v11
	s_delay_alu instid0(VALU_DEP_4) | instskip(NEXT) | instid1(VALU_DEP_4)
	v_dual_fmac_f32 v19, v23, v12 :: v_dual_lshlrev_b32 v10, 2, v9
	v_fma_f32 v24, -v6, v20, v17
	s_delay_alu instid0(VALU_DEP_4) | instskip(NEXT) | instid1(VALU_DEP_4)
	v_fmac_f32_e32 v22, v25, v14
	v_fma_f32 v4, -v4, v18, v15
	s_delay_alu instid0(VALU_DEP_4) | instskip(NEXT) | instid1(VALU_DEP_4)
	v_fma_f32 v5, -v5, v19, v16
	v_fmac_f32_e32 v20, v24, v13
	s_delay_alu instid0(VALU_DEP_4) | instskip(NEXT) | instid1(VALU_DEP_4)
	v_fma_f32 v7, -v7, v22, v21
	v_div_fmas_f32 v4, v4, v11, v18
	s_mov_b32 vcc_lo, s2
	s_delay_alu instid0(VALU_DEP_3) | instskip(SKIP_1) | instid1(VALU_DEP_3)
	v_fma_f32 v6, -v6, v20, v17
	v_div_fmas_f32 v5, v5, v12, v19
	v_div_fixup_f32 v0, v4, v0, 1.0
	s_mov_b32 vcc_lo, s3
	s_delay_alu instid0(VALU_DEP_3)
	v_div_fmas_f32 v6, v6, v13, v20
	s_mov_b32 vcc_lo, s4
	v_div_fixup_f32 v1, v5, v1, 1.0
	v_div_fmas_f32 v4, v7, v14, v22
	v_cmp_class_f32_e64 vcc_lo, v0, 0x1f8
	v_div_fixup_f32 v2, v6, v2, 1.0
	s_delay_alu instid0(VALU_DEP_3)
	v_div_fixup_f32 v3, v4, v3, 1.0
	v_cndmask_b32_e32 v0, 0, v0, vcc_lo
	v_cmp_class_f32_e64 vcc_lo, v1, 0x1f8
	v_cndmask_b32_e32 v1, 0, v1, vcc_lo
	v_cmp_class_f32_e64 vcc_lo, v2, 0x1f8
	;; [unrolled: 2-line block ×3, first 2 shown]
	v_cndmask_b32_e32 v3, 0, v3, vcc_lo
	s_cbranch_scc1 .LBB196_23
; %bb.4:
	v_lshlrev_b32_e32 v4, 2, v10
	global_load_b128 v[4:7], v4, s[6:7]
	s_waitcnt vmcnt(0)
	v_dual_add_f32 v5, v5, v1 :: v_dual_add_f32 v4, v4, v0
	v_dual_add_f32 v7, v7, v3 :: v_dual_add_f32 v6, v6, v2
	s_cbranch_execnz .LBB196_6
.LBB196_5:
	v_dual_mov_b32 v7, v3 :: v_dual_mov_b32 v6, v2
	v_dual_mov_b32 v5, v1 :: v_dual_mov_b32 v4, v0
.LBB196_6:
	s_load_b128 s[4:7], s[0:1], 0x30
	v_cmp_eq_u32_e64 s2, 0, v9
	s_waitcnt lgkmcnt(0)
	s_bitcmp1_b32 s7, 0
	s_mov_b32 s7, 0
	s_cselect_b32 vcc_lo, -1, 0
	s_cmp_gt_i32 s4, 0
	s_cselect_b32 s3, -1, 0
	s_cmp_lt_i32 s4, 1
	s_cbranch_scc1 .LBB196_24
; %bb.7:
	v_mbcnt_lo_u32_b32 v11, -1, 0
	s_load_b128 s[8:11], s[0:1], 0x20
	s_delay_alu instid0(VALU_DEP_1) | instskip(SKIP_2) | instid1(VALU_DEP_3)
	v_dual_mov_b32 v15, v8 :: v_dual_and_b32 v12, 28, v11
	v_xor_b32_e32 v13, 2, v11
	v_xor_b32_e32 v14, 1, v11
	v_add_nc_u32_e32 v12, 4, v12
	s_delay_alu instid0(VALU_DEP_1) | instskip(NEXT) | instid1(VALU_DEP_1)
	v_cmp_lt_i32_e64 s0, v13, v12
	v_cndmask_b32_e64 v13, v11, v13, s0
	s_delay_alu instid0(VALU_DEP_4) | instskip(SKIP_1) | instid1(VALU_DEP_3)
	v_cmp_lt_i32_e64 s0, v14, v12
	v_mul_lo_u32 v12, v8, s4
	v_lshlrev_b32_e32 v13, 2, v13
	s_delay_alu instid0(VALU_DEP_3) | instskip(NEXT) | instid1(VALU_DEP_1)
	v_cndmask_b32_e64 v14, v11, v14, s0
	v_dual_mov_b32 v11, 0 :: v_dual_lshlrev_b32 v14, 2, v14
	s_branch .LBB196_10
.LBB196_8:                              ;   in Loop: Header=BB196_10 Depth=1
	s_or_b32 exec_lo, exec_lo, s1
.LBB196_9:                              ;   in Loop: Header=BB196_10 Depth=1
	v_add_nc_u32_e32 v15, s14, v15
	s_cmp_eq_u32 s4, s7
	s_cbranch_scc1 .LBB196_25
.LBB196_10:                             ; =>This Inner Loop Header: Depth=1
	v_cmp_gt_f32_e64 s0, v5, v4
	s_mov_b32 s17, exec_lo
	s_delay_alu instid0(VALU_DEP_1) | instskip(SKIP_2) | instid1(VALU_DEP_3)
	v_cndmask_b32_e64 v17, v4, v5, s0
	v_cndmask_b32_e64 v16, 0, 1, s0
	;; [unrolled: 1-line block ×3, first 2 shown]
	v_cmp_gt_f32_e64 s1, v6, v17
	s_delay_alu instid0(VALU_DEP_1) | instskip(NEXT) | instid1(VALU_DEP_4)
	v_cndmask_b32_e64 v17, v17, v6, s1
	v_cndmask_b32_e64 v16, v16, 2, s1
	s_waitcnt lgkmcnt(0)
	v_cndmask_b32_e64 v19, v18, v2, s1
	s_delay_alu instid0(VALU_DEP_3) | instskip(NEXT) | instid1(VALU_DEP_1)
	v_cmp_gt_f32_e64 s0, v7, v17
	v_cndmask_b32_e64 v16, v16, 3, s0
	v_cndmask_b32_e64 v18, v17, v7, s0
	s_delay_alu instid0(VALU_DEP_4) | instskip(NEXT) | instid1(VALU_DEP_3)
	v_cndmask_b32_e64 v17, v19, v3, s0
	v_or_b32_e32 v16, v10, v16
	ds_bpermute_b32 v19, v13, v18
	ds_bpermute_b32 v21, v13, v17
	;; [unrolled: 1-line block ×3, first 2 shown]
	s_waitcnt lgkmcnt(0)
	v_cmp_lt_f32_e64 s16, v18, v19
	v_cmpx_nlt_f32_e32 v18, v19
; %bb.11:                               ;   in Loop: Header=BB196_10 Depth=1
	v_cmp_eq_f32_e64 s0, v18, v19
	v_cmp_lt_i32_e64 s1, v20, v16
	s_delay_alu instid0(VALU_DEP_1) | instskip(SKIP_2) | instid1(SALU_CYCLE_1)
	s_and_b32 s0, s0, s1
	s_and_not1_b32 s1, s16, exec_lo
	s_and_b32 s0, s0, exec_lo
	s_or_b32 s16, s1, s0
; %bb.12:                               ;   in Loop: Header=BB196_10 Depth=1
	s_or_b32 exec_lo, exec_lo, s17
	s_and_saveexec_b32 s0, s16
; %bb.13:                               ;   in Loop: Header=BB196_10 Depth=1
	v_dual_mov_b32 v17, v21 :: v_dual_mov_b32 v18, v19
	v_mov_b32_e32 v16, v20
; %bb.14:                               ;   in Loop: Header=BB196_10 Depth=1
	s_or_b32 exec_lo, exec_lo, s0
	ds_bpermute_b32 v21, v14, v18
	ds_bpermute_b32 v19, v14, v17
	;; [unrolled: 1-line block ×3, first 2 shown]
	s_mov_b32 s17, exec_lo
	s_waitcnt lgkmcnt(2)
	v_cmp_lt_f32_e64 s16, v18, v21
	v_cmpx_nlt_f32_e32 v18, v21
	s_cbranch_execnz .LBB196_18
; %bb.15:                               ;   in Loop: Header=BB196_10 Depth=1
	s_or_b32 exec_lo, exec_lo, s17
	s_delay_alu instid0(VALU_DEP_2)
	s_and_saveexec_b32 s0, s16
	s_cbranch_execnz .LBB196_19
.LBB196_16:                             ;   in Loop: Header=BB196_10 Depth=1
	s_or_b32 exec_lo, exec_lo, s0
	s_and_saveexec_b32 s16, s2
	s_cbranch_execnz .LBB196_20
.LBB196_17:                             ;   in Loop: Header=BB196_10 Depth=1
	s_or_b32 exec_lo, exec_lo, s16
	s_add_i32 s7, s7, 1
	s_delay_alu instid0(SALU_CYCLE_1)
	s_cmp_ge_i32 s7, s4
	s_cbranch_scc1 .LBB196_9
	s_branch .LBB196_21
.LBB196_18:                             ;   in Loop: Header=BB196_10 Depth=1
	v_cmp_eq_f32_e64 s0, v18, v21
	s_waitcnt lgkmcnt(0)
	v_cmp_lt_i32_e64 s1, v20, v16
	s_delay_alu instid0(VALU_DEP_1) | instskip(SKIP_2) | instid1(SALU_CYCLE_1)
	s_and_b32 s0, s0, s1
	s_and_not1_b32 s1, s16, exec_lo
	s_and_b32 s0, s0, exec_lo
	s_or_b32 s16, s1, s0
	s_or_b32 exec_lo, exec_lo, s17
	s_and_saveexec_b32 s0, s16
	s_cbranch_execz .LBB196_16
.LBB196_19:                             ;   in Loop: Header=BB196_10 Depth=1
	s_waitcnt lgkmcnt(0)
	v_dual_mov_b32 v16, v20 :: v_dual_mov_b32 v17, v19
	s_or_b32 exec_lo, exec_lo, s0
	s_and_saveexec_b32 s16, s2
	s_cbranch_execz .LBB196_17
.LBB196_20:                             ;   in Loop: Header=BB196_10 Depth=1
	s_delay_alu instid0(VALU_DEP_1)
	v_dual_add_f32 v25, v11, v17 :: v_dual_add_nc_u32 v18, s7, v12
	v_cmp_le_i32_e64 s0, s5, v16
	v_cmp_gt_i32_e64 s1, s6, v16
	s_waitcnt lgkmcnt(0)
	v_subrev_nc_u32_e32 v20, s5, v16
	v_ashrrev_i32_e32 v19, 31, v18
	v_cndmask_b32_e32 v11, v11, v25, vcc_lo
	s_and_b32 s0, s0, s1
	s_delay_alu instid0(SALU_CYCLE_1) | instskip(NEXT) | instid1(VALU_DEP_2)
	s_and_b32 s0, s15, s0
	v_lshlrev_b64 v[18:19], 2, v[18:19]
	v_cndmask_b32_e64 v24, 16, v20, s0
	s_delay_alu instid0(VALU_DEP_2) | instskip(NEXT) | instid1(VALU_DEP_1)
	v_add_co_u32 v20, s0, s12, v18
	v_add_co_ci_u32_e64 v21, s0, s13, v19, s0
	v_add_co_u32 v22, s0, s8, v18
	s_delay_alu instid0(VALU_DEP_1) | instskip(SKIP_1) | instid1(VALU_DEP_1)
	v_add_co_ci_u32_e64 v23, s0, s9, v19, s0
	v_add_co_u32 v18, s0, s10, v18
	v_add_co_ci_u32_e64 v19, s0, s11, v19, s0
	global_store_b32 v[20:21], v17, off
	global_store_b32 v[22:23], v24, off
	;; [unrolled: 1-line block ×3, first 2 shown]
	s_or_b32 exec_lo, exec_lo, s16
	s_add_i32 s7, s7, 1
	s_delay_alu instid0(SALU_CYCLE_1)
	s_cmp_ge_i32 s7, s4
	s_cbranch_scc1 .LBB196_9
.LBB196_21:                             ;   in Loop: Header=BB196_10 Depth=1
	v_ashrrev_i32_e32 v18, 31, v16
	s_mov_b32 s1, exec_lo
	s_delay_alu instid0(VALU_DEP_1) | instskip(NEXT) | instid1(VALU_DEP_1)
	v_lshrrev_b32_e32 v17, 30, v18
	v_add_nc_u32_e32 v17, v16, v17
	s_delay_alu instid0(VALU_DEP_1) | instskip(SKIP_1) | instid1(VALU_DEP_1)
	v_ashrrev_i32_e32 v17, 2, v17
	s_waitcnt lgkmcnt(1)
	v_lshrrev_b32_e32 v19, 30, v17
	s_delay_alu instid0(VALU_DEP_1) | instskip(NEXT) | instid1(VALU_DEP_1)
	v_add_nc_u32_e32 v19, v17, v19
	v_and_b32_e32 v19, -4, v19
	s_delay_alu instid0(VALU_DEP_1) | instskip(NEXT) | instid1(VALU_DEP_1)
	v_sub_nc_u32_e32 v19, v17, v19
	v_cmpx_eq_u32_e64 v9, v19
	s_cbranch_execz .LBB196_8
; %bb.22:                               ;   in Loop: Header=BB196_10 Depth=1
	v_lshrrev_b32_e32 v18, 28, v18
	v_lshlrev_b32_e32 v17, 2, v17
	s_delay_alu instid0(VALU_DEP_2) | instskip(NEXT) | instid1(VALU_DEP_2)
	v_add_nc_u32_e32 v18, v16, v18
	v_sub_nc_u32_e32 v16, v16, v17
	s_delay_alu instid0(VALU_DEP_2) | instskip(NEXT) | instid1(VALU_DEP_1)
	v_ashrrev_i32_e32 v17, 4, v18
	v_lshl_add_u32 v16, v17, 2, v16
	s_delay_alu instid0(VALU_DEP_1) | instskip(NEXT) | instid1(VALU_DEP_1)
	v_cmp_ne_u32_e64 s0, 3, v16
	v_cndmask_b32_e64 v7, 0xc61c4000, v7, s0
	v_cmp_ne_u32_e64 s0, 2, v16
	s_delay_alu instid0(VALU_DEP_1) | instskip(SKIP_1) | instid1(VALU_DEP_1)
	v_cndmask_b32_e64 v6, 0xc61c4000, v6, s0
	v_cmp_ne_u32_e64 s0, 1, v16
	v_cndmask_b32_e64 v5, 0xc61c4000, v5, s0
	v_cmp_ne_u32_e64 s0, 0, v16
	s_delay_alu instid0(VALU_DEP_1)
	v_cndmask_b32_e64 v4, 0xc61c4000, v4, s0
	s_branch .LBB196_8
.LBB196_23:
                                        ; implicit-def: $vgpr4_vgpr5_vgpr6_vgpr7
	s_and_not1_b32 vcc_lo, exec_lo, s8
	s_cbranch_vccz .LBB196_5
	s_branch .LBB196_6
.LBB196_24:
	v_mov_b32_e32 v11, 0
.LBB196_25:
	v_cmp_eq_u32_e64 s0, 0, v9
	s_delay_alu instid0(VALU_DEP_1) | instskip(NEXT) | instid1(SALU_CYCLE_1)
	s_and_b32 s0, s0, vcc_lo
	s_and_b32 exec_lo, exec_lo, s0
	s_cbranch_execz .LBB196_29
; %bb.26:
	s_and_not1_b32 vcc_lo, exec_lo, s3
	s_cbranch_vccnz .LBB196_29
; %bb.27:
	v_mul_lo_u32 v0, v8, s4
	v_cmp_lt_f32_e32 vcc_lo, 0, v11
	v_cndmask_b32_e32 v2, 1.0, v11, vcc_lo
	s_delay_alu instid0(VALU_DEP_3) | instskip(NEXT) | instid1(VALU_DEP_1)
	v_ashrrev_i32_e32 v1, 31, v0
	v_lshlrev_b64 v[0:1], 2, v[0:1]
	s_delay_alu instid0(VALU_DEP_1) | instskip(NEXT) | instid1(VALU_DEP_2)
	v_add_co_u32 v0, vcc_lo, s12, v0
	v_add_co_ci_u32_e32 v1, vcc_lo, s13, v1, vcc_lo
	.p2align	6
.LBB196_28:                             ; =>This Inner Loop Header: Depth=1
	global_load_b32 v3, v[0:1], off
	s_add_i32 s4, s4, -1
	s_delay_alu instid0(SALU_CYCLE_1) | instskip(SKIP_3) | instid1(VALU_DEP_2)
	s_cmp_lg_u32 s4, 0
	s_waitcnt vmcnt(0)
	v_div_scale_f32 v4, null, v2, v2, v3
	v_div_scale_f32 v7, vcc_lo, v3, v2, v3
	v_rcp_f32_e32 v5, v4
	s_waitcnt_depctr 0xfff
	v_fma_f32 v6, -v4, v5, 1.0
	s_delay_alu instid0(VALU_DEP_1) | instskip(NEXT) | instid1(VALU_DEP_1)
	v_fmac_f32_e32 v5, v6, v5
	v_mul_f32_e32 v6, v7, v5
	s_delay_alu instid0(VALU_DEP_1) | instskip(NEXT) | instid1(VALU_DEP_1)
	v_fma_f32 v8, -v4, v6, v7
	v_fmac_f32_e32 v6, v8, v5
	s_delay_alu instid0(VALU_DEP_1) | instskip(NEXT) | instid1(VALU_DEP_1)
	v_fma_f32 v4, -v4, v6, v7
	v_div_fmas_f32 v4, v4, v5, v6
	s_delay_alu instid0(VALU_DEP_1)
	v_div_fixup_f32 v3, v4, v2, v3
	global_store_b32 v[0:1], v3, off
	v_add_co_u32 v0, vcc_lo, v0, 4
	v_add_co_ci_u32_e32 v1, vcc_lo, 0, v1, vcc_lo
	s_cbranch_scc1 .LBB196_28
.LBB196_29:
	s_nop 0
	s_sendmsg sendmsg(MSG_DEALLOC_VGPRS)
	s_endpgm
	.section	.rodata,"a",@progbits
	.p2align	6, 0x0
	.amdhsa_kernel _ZN4vllm3moe10topkGatingILi4ELi16ELi4ELi16ELi64EifLNS0_11ScoringFuncE1EEEvPKT5_PKbPfiPT4_PiiiibPKf
		.amdhsa_group_segment_fixed_size 0
		.amdhsa_private_segment_fixed_size 0
		.amdhsa_kernarg_size 72
		.amdhsa_user_sgpr_count 15
		.amdhsa_user_sgpr_dispatch_ptr 0
		.amdhsa_user_sgpr_queue_ptr 0
		.amdhsa_user_sgpr_kernarg_segment_ptr 1
		.amdhsa_user_sgpr_dispatch_id 0
		.amdhsa_user_sgpr_private_segment_size 0
		.amdhsa_wavefront_size32 1
		.amdhsa_uses_dynamic_stack 0
		.amdhsa_enable_private_segment 0
		.amdhsa_system_sgpr_workgroup_id_x 1
		.amdhsa_system_sgpr_workgroup_id_y 0
		.amdhsa_system_sgpr_workgroup_id_z 0
		.amdhsa_system_sgpr_workgroup_info 0
		.amdhsa_system_vgpr_workitem_id 1
		.amdhsa_next_free_vgpr 26
		.amdhsa_next_free_sgpr 18
		.amdhsa_reserve_vcc 1
		.amdhsa_float_round_mode_32 0
		.amdhsa_float_round_mode_16_64 0
		.amdhsa_float_denorm_mode_32 3
		.amdhsa_float_denorm_mode_16_64 3
		.amdhsa_dx10_clamp 1
		.amdhsa_ieee_mode 1
		.amdhsa_fp16_overflow 0
		.amdhsa_workgroup_processor_mode 1
		.amdhsa_memory_ordered 1
		.amdhsa_forward_progress 0
		.amdhsa_shared_vgpr_count 0
		.amdhsa_exception_fp_ieee_invalid_op 0
		.amdhsa_exception_fp_denorm_src 0
		.amdhsa_exception_fp_ieee_div_zero 0
		.amdhsa_exception_fp_ieee_overflow 0
		.amdhsa_exception_fp_ieee_underflow 0
		.amdhsa_exception_fp_ieee_inexact 0
		.amdhsa_exception_int_div_zero 0
	.end_amdhsa_kernel
	.section	.text._ZN4vllm3moe10topkGatingILi4ELi16ELi4ELi16ELi64EifLNS0_11ScoringFuncE1EEEvPKT5_PKbPfiPT4_PiiiibPKf,"axG",@progbits,_ZN4vllm3moe10topkGatingILi4ELi16ELi4ELi16ELi64EifLNS0_11ScoringFuncE1EEEvPKT5_PKbPfiPT4_PiiiibPKf,comdat
.Lfunc_end196:
	.size	_ZN4vllm3moe10topkGatingILi4ELi16ELi4ELi16ELi64EifLNS0_11ScoringFuncE1EEEvPKT5_PKbPfiPT4_PiiiibPKf, .Lfunc_end196-_ZN4vllm3moe10topkGatingILi4ELi16ELi4ELi16ELi64EifLNS0_11ScoringFuncE1EEEvPKT5_PKbPfiPT4_PiiiibPKf
                                        ; -- End function
	.section	.AMDGPU.csdata,"",@progbits
; Kernel info:
; codeLenInByte = 2012
; NumSgprs: 20
; NumVgprs: 26
; ScratchSize: 0
; MemoryBound: 0
; FloatMode: 240
; IeeeMode: 1
; LDSByteSize: 0 bytes/workgroup (compile time only)
; SGPRBlocks: 2
; VGPRBlocks: 3
; NumSGPRsForWavesPerEU: 20
; NumVGPRsForWavesPerEU: 26
; Occupancy: 16
; WaveLimiterHint : 0
; COMPUTE_PGM_RSRC2:SCRATCH_EN: 0
; COMPUTE_PGM_RSRC2:USER_SGPR: 15
; COMPUTE_PGM_RSRC2:TRAP_HANDLER: 0
; COMPUTE_PGM_RSRC2:TGID_X_EN: 1
; COMPUTE_PGM_RSRC2:TGID_Y_EN: 0
; COMPUTE_PGM_RSRC2:TGID_Z_EN: 0
; COMPUTE_PGM_RSRC2:TIDIG_COMP_CNT: 1
	.section	.text._ZN4vllm3moe10topkGatingILi4ELi16ELi4ELi16ELi32EifLNS0_11ScoringFuncE1EEEvPKT5_PKbPfiPT4_PiiiibPKf,"axG",@progbits,_ZN4vllm3moe10topkGatingILi4ELi16ELi4ELi16ELi32EifLNS0_11ScoringFuncE1EEEvPKT5_PKbPfiPT4_PiiiibPKf,comdat
	.protected	_ZN4vllm3moe10topkGatingILi4ELi16ELi4ELi16ELi32EifLNS0_11ScoringFuncE1EEEvPKT5_PKbPfiPT4_PiiiibPKf ; -- Begin function _ZN4vllm3moe10topkGatingILi4ELi16ELi4ELi16ELi32EifLNS0_11ScoringFuncE1EEEvPKT5_PKbPfiPT4_PiiiibPKf
	.globl	_ZN4vllm3moe10topkGatingILi4ELi16ELi4ELi16ELi32EifLNS0_11ScoringFuncE1EEEvPKT5_PKbPfiPT4_PiiiibPKf
	.p2align	8
	.type	_ZN4vllm3moe10topkGatingILi4ELi16ELi4ELi16ELi32EifLNS0_11ScoringFuncE1EEEvPKT5_PKbPfiPT4_PiiiibPKf,@function
_ZN4vllm3moe10topkGatingILi4ELi16ELi4ELi16ELi32EifLNS0_11ScoringFuncE1EEEvPKT5_PKbPfiPT4_PiiiibPKf: ; @_ZN4vllm3moe10topkGatingILi4ELi16ELi4ELi16ELi32EifLNS0_11ScoringFuncE1EEEvPKT5_PKbPfiPT4_PiiiibPKf
; %bb.0:
	s_load_b32 s14, s[0:1], 0x18
	v_bfe_u32 v1, v0, 10, 10
	v_and_b32_e32 v0, 0x3ff, v0
	s_lshl_b32 s2, s15, 5
	s_delay_alu instid0(VALU_DEP_2) | instskip(NEXT) | instid1(VALU_DEP_2)
	v_lshlrev_b32_e32 v1, 3, v1
	v_lshrrev_b32_e32 v2, 2, v0
	s_delay_alu instid0(VALU_DEP_1) | instskip(SKIP_2) | instid1(VALU_DEP_1)
	v_add3_u32 v8, s2, v1, v2
	s_mov_b32 s2, exec_lo
	s_waitcnt lgkmcnt(0)
	v_cmpx_gt_i32_e64 s14, v8
	s_cbranch_execz .LBB197_29
; %bb.1:
	s_clause 0x1
	s_load_b128 s[4:7], s[0:1], 0x0
	s_load_b64 s[12:13], s[0:1], 0x10
	s_mov_b32 s8, -1
	s_mov_b32 s15, -1
	s_waitcnt lgkmcnt(0)
	s_cmp_eq_u64 s[6:7], 0
	s_cbranch_scc1 .LBB197_3
; %bb.2:
	v_ashrrev_i32_e32 v2, 31, v8
	v_add_co_u32 v1, vcc_lo, s6, v8
	s_delay_alu instid0(VALU_DEP_2) | instskip(SKIP_3) | instid1(VALU_DEP_1)
	v_add_co_ci_u32_e32 v2, vcc_lo, s7, v2, vcc_lo
	global_load_u8 v1, v[1:2], off
	s_waitcnt vmcnt(0)
	v_and_b32_e32 v1, 1, v1
	v_cmp_eq_u32_e32 vcc_lo, 1, v1
	s_xor_b32 s2, vcc_lo, -1
	s_delay_alu instid0(SALU_CYCLE_1)
	s_or_not1_b32 s15, s2, exec_lo
.LBB197_3:
	v_lshlrev_b32_e32 v1, 4, v8
	v_and_b32_e32 v9, 3, v0
	s_load_b64 s[6:7], s[0:1], 0x40
	s_delay_alu instid0(VALU_DEP_2) | instskip(NEXT) | instid1(VALU_DEP_1)
	v_ashrrev_i32_e32 v2, 31, v1
	v_lshlrev_b64 v[0:1], 2, v[1:2]
	s_delay_alu instid0(VALU_DEP_3) | instskip(NEXT) | instid1(VALU_DEP_2)
	v_lshlrev_b32_e32 v2, 4, v9
	v_add_co_u32 v0, vcc_lo, s4, v0
	s_delay_alu instid0(VALU_DEP_3) | instskip(NEXT) | instid1(VALU_DEP_2)
	v_add_co_ci_u32_e32 v1, vcc_lo, s5, v1, vcc_lo
	v_add_co_u32 v0, vcc_lo, v0, v2
	s_delay_alu instid0(VALU_DEP_2)
	v_add_co_ci_u32_e32 v1, vcc_lo, 0, v1, vcc_lo
	s_waitcnt lgkmcnt(0)
	s_cmp_eq_u64 s[6:7], 0
	global_load_b128 v[0:3], v[0:1], off
	s_waitcnt vmcnt(0)
	v_dual_mul_f32 v3, 0xbfb8aa3b, v3 :: v_dual_mul_f32 v0, 0xbfb8aa3b, v0
	v_dual_mul_f32 v1, 0xbfb8aa3b, v1 :: v_dual_mul_f32 v2, 0xbfb8aa3b, v2
	s_delay_alu instid0(VALU_DEP_2) | instskip(NEXT) | instid1(VALU_DEP_2)
	v_exp_f32_e32 v3, v3
	v_exp_f32_e32 v0, v0
	s_delay_alu instid0(VALU_DEP_1) | instskip(NEXT) | instid1(VALU_DEP_1)
	v_exp_f32_e32 v1, v1
	v_exp_f32_e32 v2, v2
	s_waitcnt_depctr 0xfff
	v_dual_add_f32 v0, 1.0, v0 :: v_dual_add_f32 v1, 1.0, v1
	v_add_f32_e32 v2, 1.0, v2
	s_delay_alu instid0(VALU_DEP_2) | instskip(NEXT) | instid1(VALU_DEP_3)
	v_div_scale_f32 v4, null, v0, v0, 1.0
	v_div_scale_f32 v5, null, v1, v1, 1.0
	s_delay_alu instid0(VALU_DEP_3) | instskip(NEXT) | instid1(VALU_DEP_3)
	v_div_scale_f32 v6, null, v2, v2, 1.0
	v_rcp_f32_e32 v11, v4
	s_delay_alu instid0(VALU_DEP_2) | instskip(SKIP_1) | instid1(VALU_DEP_2)
	v_rcp_f32_e32 v12, v5
	v_div_scale_f32 v15, vcc_lo, 1.0, v0, 1.0
	v_rcp_f32_e32 v13, v6
	v_div_scale_f32 v16, s2, 1.0, v1, 1.0
	v_div_scale_f32 v17, s3, 1.0, v2, 1.0
	s_delay_alu instid0(TRANS32_DEP_3) | instskip(SKIP_4) | instid1(VALU_DEP_3)
	v_fma_f32 v10, -v4, v11, 1.0
	s_waitcnt_depctr 0xfff
	v_fma_f32 v18, -v5, v12, 1.0
	v_add_f32_e32 v3, 1.0, v3
	v_fma_f32 v19, -v6, v13, 1.0
	v_fmac_f32_e32 v12, v18, v12
	s_delay_alu instid0(VALU_DEP_3) | instskip(SKIP_1) | instid1(VALU_DEP_2)
	v_div_scale_f32 v7, null, v3, v3, 1.0
	v_div_scale_f32 v21, s4, 1.0, v3, 1.0
	v_rcp_f32_e32 v14, v7
	s_waitcnt_depctr 0xfff
	v_fma_f32 v20, -v7, v14, 1.0
	s_delay_alu instid0(VALU_DEP_1) | instskip(NEXT) | instid1(VALU_DEP_1)
	v_dual_fmac_f32 v11, v10, v11 :: v_dual_fmac_f32 v14, v20, v14
	v_mul_f32_e32 v18, v15, v11
	v_fmac_f32_e32 v13, v19, v13
	s_delay_alu instid0(VALU_DEP_3) | instskip(NEXT) | instid1(VALU_DEP_3)
	v_dual_mul_f32 v19, v16, v12 :: v_dual_mul_f32 v22, v21, v14
	v_fma_f32 v10, -v4, v18, v15
	s_delay_alu instid0(VALU_DEP_2) | instskip(NEXT) | instid1(VALU_DEP_4)
	v_fma_f32 v23, -v5, v19, v16
	v_mul_f32_e32 v20, v17, v13
	s_delay_alu instid0(VALU_DEP_4) | instskip(NEXT) | instid1(VALU_DEP_4)
	v_fma_f32 v25, -v7, v22, v21
	v_fmac_f32_e32 v18, v10, v11
	s_delay_alu instid0(VALU_DEP_4) | instskip(NEXT) | instid1(VALU_DEP_4)
	v_dual_fmac_f32 v19, v23, v12 :: v_dual_lshlrev_b32 v10, 2, v9
	v_fma_f32 v24, -v6, v20, v17
	s_delay_alu instid0(VALU_DEP_4) | instskip(NEXT) | instid1(VALU_DEP_4)
	v_fmac_f32_e32 v22, v25, v14
	v_fma_f32 v4, -v4, v18, v15
	s_delay_alu instid0(VALU_DEP_4) | instskip(NEXT) | instid1(VALU_DEP_4)
	v_fma_f32 v5, -v5, v19, v16
	v_fmac_f32_e32 v20, v24, v13
	s_delay_alu instid0(VALU_DEP_4) | instskip(NEXT) | instid1(VALU_DEP_4)
	v_fma_f32 v7, -v7, v22, v21
	v_div_fmas_f32 v4, v4, v11, v18
	s_mov_b32 vcc_lo, s2
	s_delay_alu instid0(VALU_DEP_3) | instskip(SKIP_1) | instid1(VALU_DEP_3)
	v_fma_f32 v6, -v6, v20, v17
	v_div_fmas_f32 v5, v5, v12, v19
	v_div_fixup_f32 v0, v4, v0, 1.0
	s_mov_b32 vcc_lo, s3
	s_delay_alu instid0(VALU_DEP_3)
	v_div_fmas_f32 v6, v6, v13, v20
	s_mov_b32 vcc_lo, s4
	v_div_fixup_f32 v1, v5, v1, 1.0
	v_div_fmas_f32 v4, v7, v14, v22
	v_cmp_class_f32_e64 vcc_lo, v0, 0x1f8
	v_div_fixup_f32 v2, v6, v2, 1.0
	s_delay_alu instid0(VALU_DEP_3)
	v_div_fixup_f32 v3, v4, v3, 1.0
	v_cndmask_b32_e32 v0, 0, v0, vcc_lo
	v_cmp_class_f32_e64 vcc_lo, v1, 0x1f8
	v_cndmask_b32_e32 v1, 0, v1, vcc_lo
	v_cmp_class_f32_e64 vcc_lo, v2, 0x1f8
	v_cndmask_b32_e32 v2, 0, v2, vcc_lo
	v_cmp_class_f32_e64 vcc_lo, v3, 0x1f8
	v_cndmask_b32_e32 v3, 0, v3, vcc_lo
	s_cbranch_scc1 .LBB197_23
; %bb.4:
	v_lshlrev_b32_e32 v4, 2, v10
	global_load_b128 v[4:7], v4, s[6:7]
	s_waitcnt vmcnt(0)
	v_dual_add_f32 v5, v5, v1 :: v_dual_add_f32 v4, v4, v0
	v_dual_add_f32 v7, v7, v3 :: v_dual_add_f32 v6, v6, v2
	s_cbranch_execnz .LBB197_6
.LBB197_5:
	v_dual_mov_b32 v7, v3 :: v_dual_mov_b32 v6, v2
	v_dual_mov_b32 v5, v1 :: v_dual_mov_b32 v4, v0
.LBB197_6:
	s_load_b128 s[4:7], s[0:1], 0x30
	v_cmp_eq_u32_e64 s2, 0, v9
	s_waitcnt lgkmcnt(0)
	s_bitcmp1_b32 s7, 0
	s_mov_b32 s7, 0
	s_cselect_b32 vcc_lo, -1, 0
	s_cmp_gt_i32 s4, 0
	s_cselect_b32 s3, -1, 0
	s_cmp_lt_i32 s4, 1
	s_cbranch_scc1 .LBB197_24
; %bb.7:
	v_mbcnt_lo_u32_b32 v11, -1, 0
	s_load_b128 s[8:11], s[0:1], 0x20
	s_delay_alu instid0(VALU_DEP_1) | instskip(SKIP_2) | instid1(VALU_DEP_3)
	v_dual_mov_b32 v15, v8 :: v_dual_and_b32 v12, 28, v11
	v_xor_b32_e32 v13, 2, v11
	v_xor_b32_e32 v14, 1, v11
	v_add_nc_u32_e32 v12, 4, v12
	s_delay_alu instid0(VALU_DEP_1) | instskip(NEXT) | instid1(VALU_DEP_1)
	v_cmp_lt_i32_e64 s0, v13, v12
	v_cndmask_b32_e64 v13, v11, v13, s0
	s_delay_alu instid0(VALU_DEP_4) | instskip(SKIP_1) | instid1(VALU_DEP_3)
	v_cmp_lt_i32_e64 s0, v14, v12
	v_mul_lo_u32 v12, v8, s4
	v_lshlrev_b32_e32 v13, 2, v13
	s_delay_alu instid0(VALU_DEP_3) | instskip(NEXT) | instid1(VALU_DEP_1)
	v_cndmask_b32_e64 v14, v11, v14, s0
	v_dual_mov_b32 v11, 0 :: v_dual_lshlrev_b32 v14, 2, v14
	s_branch .LBB197_10
.LBB197_8:                              ;   in Loop: Header=BB197_10 Depth=1
	s_or_b32 exec_lo, exec_lo, s1
.LBB197_9:                              ;   in Loop: Header=BB197_10 Depth=1
	v_add_nc_u32_e32 v15, s14, v15
	s_cmp_eq_u32 s4, s7
	s_cbranch_scc1 .LBB197_25
.LBB197_10:                             ; =>This Inner Loop Header: Depth=1
	v_cmp_gt_f32_e64 s0, v5, v4
	s_mov_b32 s17, exec_lo
	s_delay_alu instid0(VALU_DEP_1) | instskip(SKIP_2) | instid1(VALU_DEP_3)
	v_cndmask_b32_e64 v17, v4, v5, s0
	v_cndmask_b32_e64 v16, 0, 1, s0
	;; [unrolled: 1-line block ×3, first 2 shown]
	v_cmp_gt_f32_e64 s1, v6, v17
	s_delay_alu instid0(VALU_DEP_1) | instskip(NEXT) | instid1(VALU_DEP_4)
	v_cndmask_b32_e64 v17, v17, v6, s1
	v_cndmask_b32_e64 v16, v16, 2, s1
	s_waitcnt lgkmcnt(0)
	v_cndmask_b32_e64 v19, v18, v2, s1
	s_delay_alu instid0(VALU_DEP_3) | instskip(NEXT) | instid1(VALU_DEP_1)
	v_cmp_gt_f32_e64 s0, v7, v17
	v_cndmask_b32_e64 v16, v16, 3, s0
	v_cndmask_b32_e64 v18, v17, v7, s0
	s_delay_alu instid0(VALU_DEP_4) | instskip(NEXT) | instid1(VALU_DEP_3)
	v_cndmask_b32_e64 v17, v19, v3, s0
	v_or_b32_e32 v16, v10, v16
	ds_bpermute_b32 v19, v13, v18
	ds_bpermute_b32 v21, v13, v17
	;; [unrolled: 1-line block ×3, first 2 shown]
	s_waitcnt lgkmcnt(0)
	v_cmp_lt_f32_e64 s16, v18, v19
	v_cmpx_nlt_f32_e32 v18, v19
; %bb.11:                               ;   in Loop: Header=BB197_10 Depth=1
	v_cmp_eq_f32_e64 s0, v18, v19
	v_cmp_lt_i32_e64 s1, v20, v16
	s_delay_alu instid0(VALU_DEP_1) | instskip(SKIP_2) | instid1(SALU_CYCLE_1)
	s_and_b32 s0, s0, s1
	s_and_not1_b32 s1, s16, exec_lo
	s_and_b32 s0, s0, exec_lo
	s_or_b32 s16, s1, s0
; %bb.12:                               ;   in Loop: Header=BB197_10 Depth=1
	s_or_b32 exec_lo, exec_lo, s17
	s_and_saveexec_b32 s0, s16
; %bb.13:                               ;   in Loop: Header=BB197_10 Depth=1
	v_dual_mov_b32 v17, v21 :: v_dual_mov_b32 v18, v19
	v_mov_b32_e32 v16, v20
; %bb.14:                               ;   in Loop: Header=BB197_10 Depth=1
	s_or_b32 exec_lo, exec_lo, s0
	ds_bpermute_b32 v21, v14, v18
	ds_bpermute_b32 v19, v14, v17
	;; [unrolled: 1-line block ×3, first 2 shown]
	s_mov_b32 s17, exec_lo
	s_waitcnt lgkmcnt(2)
	v_cmp_lt_f32_e64 s16, v18, v21
	v_cmpx_nlt_f32_e32 v18, v21
	s_cbranch_execnz .LBB197_18
; %bb.15:                               ;   in Loop: Header=BB197_10 Depth=1
	s_or_b32 exec_lo, exec_lo, s17
	s_delay_alu instid0(VALU_DEP_2)
	s_and_saveexec_b32 s0, s16
	s_cbranch_execnz .LBB197_19
.LBB197_16:                             ;   in Loop: Header=BB197_10 Depth=1
	s_or_b32 exec_lo, exec_lo, s0
	s_and_saveexec_b32 s16, s2
	s_cbranch_execnz .LBB197_20
.LBB197_17:                             ;   in Loop: Header=BB197_10 Depth=1
	s_or_b32 exec_lo, exec_lo, s16
	s_add_i32 s7, s7, 1
	s_delay_alu instid0(SALU_CYCLE_1)
	s_cmp_ge_i32 s7, s4
	s_cbranch_scc1 .LBB197_9
	s_branch .LBB197_21
.LBB197_18:                             ;   in Loop: Header=BB197_10 Depth=1
	v_cmp_eq_f32_e64 s0, v18, v21
	s_waitcnt lgkmcnt(0)
	v_cmp_lt_i32_e64 s1, v20, v16
	s_delay_alu instid0(VALU_DEP_1) | instskip(SKIP_2) | instid1(SALU_CYCLE_1)
	s_and_b32 s0, s0, s1
	s_and_not1_b32 s1, s16, exec_lo
	s_and_b32 s0, s0, exec_lo
	s_or_b32 s16, s1, s0
	s_or_b32 exec_lo, exec_lo, s17
	s_and_saveexec_b32 s0, s16
	s_cbranch_execz .LBB197_16
.LBB197_19:                             ;   in Loop: Header=BB197_10 Depth=1
	s_waitcnt lgkmcnt(0)
	v_dual_mov_b32 v16, v20 :: v_dual_mov_b32 v17, v19
	s_or_b32 exec_lo, exec_lo, s0
	s_and_saveexec_b32 s16, s2
	s_cbranch_execz .LBB197_17
.LBB197_20:                             ;   in Loop: Header=BB197_10 Depth=1
	s_delay_alu instid0(VALU_DEP_1)
	v_dual_add_f32 v25, v11, v17 :: v_dual_add_nc_u32 v18, s7, v12
	v_cmp_le_i32_e64 s0, s5, v16
	v_cmp_gt_i32_e64 s1, s6, v16
	s_waitcnt lgkmcnt(0)
	v_subrev_nc_u32_e32 v20, s5, v16
	v_ashrrev_i32_e32 v19, 31, v18
	v_cndmask_b32_e32 v11, v11, v25, vcc_lo
	s_and_b32 s0, s0, s1
	s_delay_alu instid0(SALU_CYCLE_1) | instskip(NEXT) | instid1(VALU_DEP_2)
	s_and_b32 s0, s15, s0
	v_lshlrev_b64 v[18:19], 2, v[18:19]
	v_cndmask_b32_e64 v24, 16, v20, s0
	s_delay_alu instid0(VALU_DEP_2) | instskip(NEXT) | instid1(VALU_DEP_1)
	v_add_co_u32 v20, s0, s12, v18
	v_add_co_ci_u32_e64 v21, s0, s13, v19, s0
	v_add_co_u32 v22, s0, s8, v18
	s_delay_alu instid0(VALU_DEP_1) | instskip(SKIP_1) | instid1(VALU_DEP_1)
	v_add_co_ci_u32_e64 v23, s0, s9, v19, s0
	v_add_co_u32 v18, s0, s10, v18
	v_add_co_ci_u32_e64 v19, s0, s11, v19, s0
	global_store_b32 v[20:21], v17, off
	global_store_b32 v[22:23], v24, off
	global_store_b32 v[18:19], v15, off
	s_or_b32 exec_lo, exec_lo, s16
	s_add_i32 s7, s7, 1
	s_delay_alu instid0(SALU_CYCLE_1)
	s_cmp_ge_i32 s7, s4
	s_cbranch_scc1 .LBB197_9
.LBB197_21:                             ;   in Loop: Header=BB197_10 Depth=1
	v_ashrrev_i32_e32 v18, 31, v16
	s_mov_b32 s1, exec_lo
	s_delay_alu instid0(VALU_DEP_1) | instskip(NEXT) | instid1(VALU_DEP_1)
	v_lshrrev_b32_e32 v17, 30, v18
	v_add_nc_u32_e32 v17, v16, v17
	s_delay_alu instid0(VALU_DEP_1) | instskip(SKIP_1) | instid1(VALU_DEP_1)
	v_ashrrev_i32_e32 v17, 2, v17
	s_waitcnt lgkmcnt(1)
	v_lshrrev_b32_e32 v19, 30, v17
	s_delay_alu instid0(VALU_DEP_1) | instskip(NEXT) | instid1(VALU_DEP_1)
	v_add_nc_u32_e32 v19, v17, v19
	v_and_b32_e32 v19, -4, v19
	s_delay_alu instid0(VALU_DEP_1) | instskip(NEXT) | instid1(VALU_DEP_1)
	v_sub_nc_u32_e32 v19, v17, v19
	v_cmpx_eq_u32_e64 v9, v19
	s_cbranch_execz .LBB197_8
; %bb.22:                               ;   in Loop: Header=BB197_10 Depth=1
	v_lshrrev_b32_e32 v18, 28, v18
	v_lshlrev_b32_e32 v17, 2, v17
	s_delay_alu instid0(VALU_DEP_2) | instskip(NEXT) | instid1(VALU_DEP_2)
	v_add_nc_u32_e32 v18, v16, v18
	v_sub_nc_u32_e32 v16, v16, v17
	s_delay_alu instid0(VALU_DEP_2) | instskip(NEXT) | instid1(VALU_DEP_1)
	v_ashrrev_i32_e32 v17, 4, v18
	v_lshl_add_u32 v16, v17, 2, v16
	s_delay_alu instid0(VALU_DEP_1) | instskip(NEXT) | instid1(VALU_DEP_1)
	v_cmp_ne_u32_e64 s0, 3, v16
	v_cndmask_b32_e64 v7, 0xc61c4000, v7, s0
	v_cmp_ne_u32_e64 s0, 2, v16
	s_delay_alu instid0(VALU_DEP_1) | instskip(SKIP_1) | instid1(VALU_DEP_1)
	v_cndmask_b32_e64 v6, 0xc61c4000, v6, s0
	v_cmp_ne_u32_e64 s0, 1, v16
	v_cndmask_b32_e64 v5, 0xc61c4000, v5, s0
	v_cmp_ne_u32_e64 s0, 0, v16
	s_delay_alu instid0(VALU_DEP_1)
	v_cndmask_b32_e64 v4, 0xc61c4000, v4, s0
	s_branch .LBB197_8
.LBB197_23:
                                        ; implicit-def: $vgpr4_vgpr5_vgpr6_vgpr7
	s_and_not1_b32 vcc_lo, exec_lo, s8
	s_cbranch_vccz .LBB197_5
	s_branch .LBB197_6
.LBB197_24:
	v_mov_b32_e32 v11, 0
.LBB197_25:
	v_cmp_eq_u32_e64 s0, 0, v9
	s_delay_alu instid0(VALU_DEP_1) | instskip(NEXT) | instid1(SALU_CYCLE_1)
	s_and_b32 s0, s0, vcc_lo
	s_and_b32 exec_lo, exec_lo, s0
	s_cbranch_execz .LBB197_29
; %bb.26:
	s_and_not1_b32 vcc_lo, exec_lo, s3
	s_cbranch_vccnz .LBB197_29
; %bb.27:
	v_mul_lo_u32 v0, v8, s4
	v_cmp_lt_f32_e32 vcc_lo, 0, v11
	v_cndmask_b32_e32 v2, 1.0, v11, vcc_lo
	s_delay_alu instid0(VALU_DEP_3) | instskip(NEXT) | instid1(VALU_DEP_1)
	v_ashrrev_i32_e32 v1, 31, v0
	v_lshlrev_b64 v[0:1], 2, v[0:1]
	s_delay_alu instid0(VALU_DEP_1) | instskip(NEXT) | instid1(VALU_DEP_2)
	v_add_co_u32 v0, vcc_lo, s12, v0
	v_add_co_ci_u32_e32 v1, vcc_lo, s13, v1, vcc_lo
	.p2align	6
.LBB197_28:                             ; =>This Inner Loop Header: Depth=1
	global_load_b32 v3, v[0:1], off
	s_add_i32 s4, s4, -1
	s_delay_alu instid0(SALU_CYCLE_1) | instskip(SKIP_3) | instid1(VALU_DEP_2)
	s_cmp_lg_u32 s4, 0
	s_waitcnt vmcnt(0)
	v_div_scale_f32 v4, null, v2, v2, v3
	v_div_scale_f32 v7, vcc_lo, v3, v2, v3
	v_rcp_f32_e32 v5, v4
	s_waitcnt_depctr 0xfff
	v_fma_f32 v6, -v4, v5, 1.0
	s_delay_alu instid0(VALU_DEP_1) | instskip(NEXT) | instid1(VALU_DEP_1)
	v_fmac_f32_e32 v5, v6, v5
	v_mul_f32_e32 v6, v7, v5
	s_delay_alu instid0(VALU_DEP_1) | instskip(NEXT) | instid1(VALU_DEP_1)
	v_fma_f32 v8, -v4, v6, v7
	v_fmac_f32_e32 v6, v8, v5
	s_delay_alu instid0(VALU_DEP_1) | instskip(NEXT) | instid1(VALU_DEP_1)
	v_fma_f32 v4, -v4, v6, v7
	v_div_fmas_f32 v4, v4, v5, v6
	s_delay_alu instid0(VALU_DEP_1)
	v_div_fixup_f32 v3, v4, v2, v3
	global_store_b32 v[0:1], v3, off
	v_add_co_u32 v0, vcc_lo, v0, 4
	v_add_co_ci_u32_e32 v1, vcc_lo, 0, v1, vcc_lo
	s_cbranch_scc1 .LBB197_28
.LBB197_29:
	s_nop 0
	s_sendmsg sendmsg(MSG_DEALLOC_VGPRS)
	s_endpgm
	.section	.rodata,"a",@progbits
	.p2align	6, 0x0
	.amdhsa_kernel _ZN4vllm3moe10topkGatingILi4ELi16ELi4ELi16ELi32EifLNS0_11ScoringFuncE1EEEvPKT5_PKbPfiPT4_PiiiibPKf
		.amdhsa_group_segment_fixed_size 0
		.amdhsa_private_segment_fixed_size 0
		.amdhsa_kernarg_size 72
		.amdhsa_user_sgpr_count 15
		.amdhsa_user_sgpr_dispatch_ptr 0
		.amdhsa_user_sgpr_queue_ptr 0
		.amdhsa_user_sgpr_kernarg_segment_ptr 1
		.amdhsa_user_sgpr_dispatch_id 0
		.amdhsa_user_sgpr_private_segment_size 0
		.amdhsa_wavefront_size32 1
		.amdhsa_uses_dynamic_stack 0
		.amdhsa_enable_private_segment 0
		.amdhsa_system_sgpr_workgroup_id_x 1
		.amdhsa_system_sgpr_workgroup_id_y 0
		.amdhsa_system_sgpr_workgroup_id_z 0
		.amdhsa_system_sgpr_workgroup_info 0
		.amdhsa_system_vgpr_workitem_id 1
		.amdhsa_next_free_vgpr 26
		.amdhsa_next_free_sgpr 18
		.amdhsa_reserve_vcc 1
		.amdhsa_float_round_mode_32 0
		.amdhsa_float_round_mode_16_64 0
		.amdhsa_float_denorm_mode_32 3
		.amdhsa_float_denorm_mode_16_64 3
		.amdhsa_dx10_clamp 1
		.amdhsa_ieee_mode 1
		.amdhsa_fp16_overflow 0
		.amdhsa_workgroup_processor_mode 1
		.amdhsa_memory_ordered 1
		.amdhsa_forward_progress 0
		.amdhsa_shared_vgpr_count 0
		.amdhsa_exception_fp_ieee_invalid_op 0
		.amdhsa_exception_fp_denorm_src 0
		.amdhsa_exception_fp_ieee_div_zero 0
		.amdhsa_exception_fp_ieee_overflow 0
		.amdhsa_exception_fp_ieee_underflow 0
		.amdhsa_exception_fp_ieee_inexact 0
		.amdhsa_exception_int_div_zero 0
	.end_amdhsa_kernel
	.section	.text._ZN4vllm3moe10topkGatingILi4ELi16ELi4ELi16ELi32EifLNS0_11ScoringFuncE1EEEvPKT5_PKbPfiPT4_PiiiibPKf,"axG",@progbits,_ZN4vllm3moe10topkGatingILi4ELi16ELi4ELi16ELi32EifLNS0_11ScoringFuncE1EEEvPKT5_PKbPfiPT4_PiiiibPKf,comdat
.Lfunc_end197:
	.size	_ZN4vllm3moe10topkGatingILi4ELi16ELi4ELi16ELi32EifLNS0_11ScoringFuncE1EEEvPKT5_PKbPfiPT4_PiiiibPKf, .Lfunc_end197-_ZN4vllm3moe10topkGatingILi4ELi16ELi4ELi16ELi32EifLNS0_11ScoringFuncE1EEEvPKT5_PKbPfiPT4_PiiiibPKf
                                        ; -- End function
	.section	.AMDGPU.csdata,"",@progbits
; Kernel info:
; codeLenInByte = 2012
; NumSgprs: 20
; NumVgprs: 26
; ScratchSize: 0
; MemoryBound: 0
; FloatMode: 240
; IeeeMode: 1
; LDSByteSize: 0 bytes/workgroup (compile time only)
; SGPRBlocks: 2
; VGPRBlocks: 3
; NumSGPRsForWavesPerEU: 20
; NumVGPRsForWavesPerEU: 26
; Occupancy: 16
; WaveLimiterHint : 0
; COMPUTE_PGM_RSRC2:SCRATCH_EN: 0
; COMPUTE_PGM_RSRC2:USER_SGPR: 15
; COMPUTE_PGM_RSRC2:TRAP_HANDLER: 0
; COMPUTE_PGM_RSRC2:TGID_X_EN: 1
; COMPUTE_PGM_RSRC2:TGID_Y_EN: 0
; COMPUTE_PGM_RSRC2:TGID_Z_EN: 0
; COMPUTE_PGM_RSRC2:TIDIG_COMP_CNT: 1
	.section	.text._ZN4vllm3moe10topkGatingILi4ELi32ELi4ELi16ELi64EifLNS0_11ScoringFuncE1EEEvPKT5_PKbPfiPT4_PiiiibPKf,"axG",@progbits,_ZN4vllm3moe10topkGatingILi4ELi32ELi4ELi16ELi64EifLNS0_11ScoringFuncE1EEEvPKT5_PKbPfiPT4_PiiiibPKf,comdat
	.protected	_ZN4vllm3moe10topkGatingILi4ELi32ELi4ELi16ELi64EifLNS0_11ScoringFuncE1EEEvPKT5_PKbPfiPT4_PiiiibPKf ; -- Begin function _ZN4vllm3moe10topkGatingILi4ELi32ELi4ELi16ELi64EifLNS0_11ScoringFuncE1EEEvPKT5_PKbPfiPT4_PiiiibPKf
	.globl	_ZN4vllm3moe10topkGatingILi4ELi32ELi4ELi16ELi64EifLNS0_11ScoringFuncE1EEEvPKT5_PKbPfiPT4_PiiiibPKf
	.p2align	8
	.type	_ZN4vllm3moe10topkGatingILi4ELi32ELi4ELi16ELi64EifLNS0_11ScoringFuncE1EEEvPKT5_PKbPfiPT4_PiiiibPKf,@function
_ZN4vllm3moe10topkGatingILi4ELi32ELi4ELi16ELi64EifLNS0_11ScoringFuncE1EEEvPKT5_PKbPfiPT4_PiiiibPKf: ; @_ZN4vllm3moe10topkGatingILi4ELi32ELi4ELi16ELi64EifLNS0_11ScoringFuncE1EEEvPKT5_PKbPfiPT4_PiiiibPKf
; %bb.0:
	s_load_b32 s14, s[0:1], 0x18
	v_bfe_u32 v1, v0, 10, 10
	v_and_b32_e32 v0, 0x3ff, v0
	s_lshl_b32 s2, s15, 5
	s_delay_alu instid0(VALU_DEP_2) | instskip(NEXT) | instid1(VALU_DEP_2)
	v_lshlrev_b32_e32 v1, 3, v1
	v_lshrrev_b32_e32 v2, 3, v0
	s_delay_alu instid0(VALU_DEP_1) | instskip(SKIP_2) | instid1(VALU_DEP_1)
	v_add3_u32 v8, s2, v1, v2
	s_mov_b32 s2, exec_lo
	s_waitcnt lgkmcnt(0)
	v_cmpx_gt_i32_e64 s14, v8
	s_cbranch_execz .LBB198_33
; %bb.1:
	s_clause 0x1
	s_load_b128 s[4:7], s[0:1], 0x0
	s_load_b64 s[12:13], s[0:1], 0x10
	s_mov_b32 s8, -1
	s_mov_b32 s15, -1
	s_waitcnt lgkmcnt(0)
	s_cmp_eq_u64 s[6:7], 0
	s_cbranch_scc1 .LBB198_3
; %bb.2:
	v_ashrrev_i32_e32 v2, 31, v8
	v_add_co_u32 v1, vcc_lo, s6, v8
	s_delay_alu instid0(VALU_DEP_2) | instskip(SKIP_3) | instid1(VALU_DEP_1)
	v_add_co_ci_u32_e32 v2, vcc_lo, s7, v2, vcc_lo
	global_load_u8 v1, v[1:2], off
	s_waitcnt vmcnt(0)
	v_and_b32_e32 v1, 1, v1
	v_cmp_eq_u32_e32 vcc_lo, 1, v1
	s_xor_b32 s2, vcc_lo, -1
	s_delay_alu instid0(SALU_CYCLE_1)
	s_or_not1_b32 s15, s2, exec_lo
.LBB198_3:
	v_lshlrev_b32_e32 v1, 5, v8
	v_and_b32_e32 v9, 7, v0
	s_load_b64 s[6:7], s[0:1], 0x40
	s_delay_alu instid0(VALU_DEP_2) | instskip(NEXT) | instid1(VALU_DEP_1)
	v_ashrrev_i32_e32 v2, 31, v1
	v_lshlrev_b64 v[0:1], 2, v[1:2]
	s_delay_alu instid0(VALU_DEP_3) | instskip(NEXT) | instid1(VALU_DEP_2)
	v_lshlrev_b32_e32 v2, 4, v9
	v_add_co_u32 v0, vcc_lo, s4, v0
	s_delay_alu instid0(VALU_DEP_3) | instskip(NEXT) | instid1(VALU_DEP_2)
	v_add_co_ci_u32_e32 v1, vcc_lo, s5, v1, vcc_lo
	v_add_co_u32 v0, vcc_lo, v0, v2
	s_delay_alu instid0(VALU_DEP_2)
	v_add_co_ci_u32_e32 v1, vcc_lo, 0, v1, vcc_lo
	s_waitcnt lgkmcnt(0)
	s_cmp_eq_u64 s[6:7], 0
	global_load_b128 v[0:3], v[0:1], off
	s_waitcnt vmcnt(0)
	v_dual_mul_f32 v3, 0xbfb8aa3b, v3 :: v_dual_mul_f32 v0, 0xbfb8aa3b, v0
	v_dual_mul_f32 v1, 0xbfb8aa3b, v1 :: v_dual_mul_f32 v2, 0xbfb8aa3b, v2
	s_delay_alu instid0(VALU_DEP_2) | instskip(NEXT) | instid1(VALU_DEP_2)
	v_exp_f32_e32 v3, v3
	v_exp_f32_e32 v0, v0
	s_delay_alu instid0(VALU_DEP_1) | instskip(NEXT) | instid1(VALU_DEP_1)
	v_exp_f32_e32 v1, v1
	v_exp_f32_e32 v2, v2
	s_waitcnt_depctr 0xfff
	v_dual_add_f32 v0, 1.0, v0 :: v_dual_add_f32 v1, 1.0, v1
	v_add_f32_e32 v2, 1.0, v2
	s_delay_alu instid0(VALU_DEP_2) | instskip(NEXT) | instid1(VALU_DEP_3)
	v_div_scale_f32 v4, null, v0, v0, 1.0
	v_div_scale_f32 v5, null, v1, v1, 1.0
	s_delay_alu instid0(VALU_DEP_3) | instskip(NEXT) | instid1(VALU_DEP_3)
	v_div_scale_f32 v6, null, v2, v2, 1.0
	v_rcp_f32_e32 v11, v4
	s_delay_alu instid0(VALU_DEP_2) | instskip(SKIP_1) | instid1(VALU_DEP_2)
	v_rcp_f32_e32 v12, v5
	v_div_scale_f32 v15, vcc_lo, 1.0, v0, 1.0
	v_rcp_f32_e32 v13, v6
	v_div_scale_f32 v16, s2, 1.0, v1, 1.0
	v_div_scale_f32 v17, s3, 1.0, v2, 1.0
	s_delay_alu instid0(TRANS32_DEP_3) | instskip(SKIP_4) | instid1(VALU_DEP_3)
	v_fma_f32 v10, -v4, v11, 1.0
	s_waitcnt_depctr 0xfff
	v_fma_f32 v18, -v5, v12, 1.0
	v_add_f32_e32 v3, 1.0, v3
	v_fma_f32 v19, -v6, v13, 1.0
	v_fmac_f32_e32 v12, v18, v12
	s_delay_alu instid0(VALU_DEP_3) | instskip(SKIP_1) | instid1(VALU_DEP_2)
	v_div_scale_f32 v7, null, v3, v3, 1.0
	v_div_scale_f32 v21, s4, 1.0, v3, 1.0
	v_rcp_f32_e32 v14, v7
	s_waitcnt_depctr 0xfff
	v_fma_f32 v20, -v7, v14, 1.0
	s_delay_alu instid0(VALU_DEP_1) | instskip(NEXT) | instid1(VALU_DEP_1)
	v_dual_fmac_f32 v11, v10, v11 :: v_dual_fmac_f32 v14, v20, v14
	v_mul_f32_e32 v18, v15, v11
	v_fmac_f32_e32 v13, v19, v13
	s_delay_alu instid0(VALU_DEP_3) | instskip(NEXT) | instid1(VALU_DEP_3)
	v_dual_mul_f32 v19, v16, v12 :: v_dual_mul_f32 v22, v21, v14
	v_fma_f32 v10, -v4, v18, v15
	s_delay_alu instid0(VALU_DEP_2) | instskip(NEXT) | instid1(VALU_DEP_4)
	v_fma_f32 v23, -v5, v19, v16
	v_mul_f32_e32 v20, v17, v13
	s_delay_alu instid0(VALU_DEP_4) | instskip(NEXT) | instid1(VALU_DEP_4)
	v_fma_f32 v25, -v7, v22, v21
	v_fmac_f32_e32 v18, v10, v11
	s_delay_alu instid0(VALU_DEP_4) | instskip(NEXT) | instid1(VALU_DEP_4)
	v_dual_fmac_f32 v19, v23, v12 :: v_dual_lshlrev_b32 v10, 2, v9
	v_fma_f32 v24, -v6, v20, v17
	s_delay_alu instid0(VALU_DEP_4) | instskip(NEXT) | instid1(VALU_DEP_4)
	v_fmac_f32_e32 v22, v25, v14
	v_fma_f32 v4, -v4, v18, v15
	s_delay_alu instid0(VALU_DEP_4) | instskip(NEXT) | instid1(VALU_DEP_4)
	v_fma_f32 v5, -v5, v19, v16
	v_fmac_f32_e32 v20, v24, v13
	s_delay_alu instid0(VALU_DEP_4) | instskip(NEXT) | instid1(VALU_DEP_4)
	v_fma_f32 v7, -v7, v22, v21
	v_div_fmas_f32 v4, v4, v11, v18
	s_mov_b32 vcc_lo, s2
	s_delay_alu instid0(VALU_DEP_3) | instskip(SKIP_1) | instid1(VALU_DEP_3)
	v_fma_f32 v6, -v6, v20, v17
	v_div_fmas_f32 v5, v5, v12, v19
	v_div_fixup_f32 v0, v4, v0, 1.0
	s_mov_b32 vcc_lo, s3
	s_delay_alu instid0(VALU_DEP_3)
	v_div_fmas_f32 v6, v6, v13, v20
	s_mov_b32 vcc_lo, s4
	v_div_fixup_f32 v1, v5, v1, 1.0
	v_div_fmas_f32 v4, v7, v14, v22
	v_cmp_class_f32_e64 vcc_lo, v0, 0x1f8
	v_div_fixup_f32 v2, v6, v2, 1.0
	s_delay_alu instid0(VALU_DEP_3)
	v_div_fixup_f32 v3, v4, v3, 1.0
	v_cndmask_b32_e32 v0, 0, v0, vcc_lo
	v_cmp_class_f32_e64 vcc_lo, v1, 0x1f8
	v_cndmask_b32_e32 v1, 0, v1, vcc_lo
	v_cmp_class_f32_e64 vcc_lo, v2, 0x1f8
	;; [unrolled: 2-line block ×3, first 2 shown]
	v_cndmask_b32_e32 v3, 0, v3, vcc_lo
	s_cbranch_scc1 .LBB198_27
; %bb.4:
	v_lshlrev_b32_e32 v4, 2, v10
	global_load_b128 v[4:7], v4, s[6:7]
	s_waitcnt vmcnt(0)
	v_dual_add_f32 v5, v5, v1 :: v_dual_add_f32 v4, v4, v0
	v_dual_add_f32 v7, v7, v3 :: v_dual_add_f32 v6, v6, v2
	s_cbranch_execnz .LBB198_6
.LBB198_5:
	v_dual_mov_b32 v7, v3 :: v_dual_mov_b32 v6, v2
	v_dual_mov_b32 v5, v1 :: v_dual_mov_b32 v4, v0
.LBB198_6:
	s_load_b128 s[4:7], s[0:1], 0x30
	v_cmp_eq_u32_e64 s2, 0, v9
	s_waitcnt lgkmcnt(0)
	s_bitcmp1_b32 s7, 0
	s_mov_b32 s7, 0
	s_cselect_b32 vcc_lo, -1, 0
	s_cmp_gt_i32 s4, 0
	s_cselect_b32 s3, -1, 0
	s_cmp_lt_i32 s4, 1
	s_cbranch_scc1 .LBB198_28
; %bb.7:
	v_mbcnt_lo_u32_b32 v11, -1, 0
	s_load_b128 s[8:11], s[0:1], 0x20
	v_mov_b32_e32 v16, v8
	s_delay_alu instid0(VALU_DEP_2) | instskip(SKIP_3) | instid1(VALU_DEP_4)
	v_and_b32_e32 v12, 24, v11
	v_xor_b32_e32 v13, 4, v11
	v_xor_b32_e32 v14, 2, v11
	;; [unrolled: 1-line block ×3, first 2 shown]
	v_add_nc_u32_e32 v12, 8, v12
	s_delay_alu instid0(VALU_DEP_1) | instskip(NEXT) | instid1(VALU_DEP_1)
	v_cmp_lt_i32_e64 s0, v13, v12
	v_cndmask_b32_e64 v13, v11, v13, s0
	v_cmp_lt_i32_e64 s0, v14, v12
	s_delay_alu instid0(VALU_DEP_2) | instskip(NEXT) | instid1(VALU_DEP_2)
	v_lshlrev_b32_e32 v13, 2, v13
	v_cndmask_b32_e64 v14, v11, v14, s0
	v_cmp_lt_i32_e64 s0, v15, v12
	v_mul_lo_u32 v12, v8, s4
	s_delay_alu instid0(VALU_DEP_3) | instskip(NEXT) | instid1(VALU_DEP_3)
	v_lshlrev_b32_e32 v14, 2, v14
	v_cndmask_b32_e64 v15, v11, v15, s0
	v_mov_b32_e32 v11, 0
	s_delay_alu instid0(VALU_DEP_2)
	v_lshlrev_b32_e32 v15, 2, v15
	s_branch .LBB198_10
.LBB198_8:                              ;   in Loop: Header=BB198_10 Depth=1
	s_or_b32 exec_lo, exec_lo, s1
.LBB198_9:                              ;   in Loop: Header=BB198_10 Depth=1
	v_add_nc_u32_e32 v16, s14, v16
	s_cmp_eq_u32 s4, s7
	s_cbranch_scc1 .LBB198_29
.LBB198_10:                             ; =>This Inner Loop Header: Depth=1
	v_cmp_gt_f32_e64 s0, v5, v4
	s_mov_b32 s17, exec_lo
	s_delay_alu instid0(VALU_DEP_1) | instskip(SKIP_2) | instid1(VALU_DEP_3)
	v_cndmask_b32_e64 v18, v4, v5, s0
	v_cndmask_b32_e64 v17, 0, 1, s0
	;; [unrolled: 1-line block ×3, first 2 shown]
	v_cmp_gt_f32_e64 s1, v6, v18
	s_delay_alu instid0(VALU_DEP_1) | instskip(NEXT) | instid1(VALU_DEP_4)
	v_cndmask_b32_e64 v18, v18, v6, s1
	v_cndmask_b32_e64 v17, v17, 2, s1
	s_waitcnt lgkmcnt(0)
	v_cndmask_b32_e64 v20, v19, v2, s1
	s_delay_alu instid0(VALU_DEP_3) | instskip(NEXT) | instid1(VALU_DEP_1)
	v_cmp_gt_f32_e64 s0, v7, v18
	v_cndmask_b32_e64 v17, v17, 3, s0
	v_cndmask_b32_e64 v19, v18, v7, s0
	s_delay_alu instid0(VALU_DEP_4) | instskip(NEXT) | instid1(VALU_DEP_3)
	v_cndmask_b32_e64 v18, v20, v3, s0
	v_or_b32_e32 v17, v10, v17
	ds_bpermute_b32 v20, v13, v19
	ds_bpermute_b32 v22, v13, v18
	ds_bpermute_b32 v21, v13, v17
	s_waitcnt lgkmcnt(0)
	v_cmp_lt_f32_e64 s16, v19, v20
	v_cmpx_nlt_f32_e32 v19, v20
; %bb.11:                               ;   in Loop: Header=BB198_10 Depth=1
	v_cmp_eq_f32_e64 s0, v19, v20
	v_cmp_lt_i32_e64 s1, v21, v17
	s_delay_alu instid0(VALU_DEP_1) | instskip(SKIP_2) | instid1(SALU_CYCLE_1)
	s_and_b32 s0, s0, s1
	s_and_not1_b32 s1, s16, exec_lo
	s_and_b32 s0, s0, exec_lo
	s_or_b32 s16, s1, s0
; %bb.12:                               ;   in Loop: Header=BB198_10 Depth=1
	s_or_b32 exec_lo, exec_lo, s17
	s_and_saveexec_b32 s0, s16
; %bb.13:                               ;   in Loop: Header=BB198_10 Depth=1
	v_dual_mov_b32 v18, v22 :: v_dual_mov_b32 v19, v20
	v_mov_b32_e32 v17, v21
; %bb.14:                               ;   in Loop: Header=BB198_10 Depth=1
	s_or_b32 exec_lo, exec_lo, s0
	ds_bpermute_b32 v20, v14, v19
	ds_bpermute_b32 v22, v14, v18
	;; [unrolled: 1-line block ×3, first 2 shown]
	s_mov_b32 s17, exec_lo
	s_waitcnt lgkmcnt(2)
	v_cmp_lt_f32_e64 s16, v19, v20
	v_cmpx_nlt_f32_e32 v19, v20
	s_cbranch_execz .LBB198_16
; %bb.15:                               ;   in Loop: Header=BB198_10 Depth=1
	v_cmp_eq_f32_e64 s0, v19, v20
	s_waitcnt lgkmcnt(0)
	v_cmp_lt_i32_e64 s1, v21, v17
	s_delay_alu instid0(VALU_DEP_1) | instskip(SKIP_2) | instid1(SALU_CYCLE_1)
	s_and_b32 s0, s0, s1
	s_and_not1_b32 s1, s16, exec_lo
	s_and_b32 s0, s0, exec_lo
	s_or_b32 s16, s1, s0
.LBB198_16:                             ;   in Loop: Header=BB198_10 Depth=1
	s_or_b32 exec_lo, exec_lo, s17
	s_delay_alu instid0(VALU_DEP_2)
	s_and_saveexec_b32 s0, s16
	s_cbranch_execz .LBB198_18
; %bb.17:                               ;   in Loop: Header=BB198_10 Depth=1
	s_waitcnt lgkmcnt(1)
	v_dual_mov_b32 v18, v22 :: v_dual_mov_b32 v19, v20
	s_waitcnt lgkmcnt(0)
	v_mov_b32_e32 v17, v21
.LBB198_18:                             ;   in Loop: Header=BB198_10 Depth=1
	s_or_b32 exec_lo, exec_lo, s0
	s_waitcnt lgkmcnt(1)
	ds_bpermute_b32 v22, v15, v19
	ds_bpermute_b32 v20, v15, v18
	s_waitcnt lgkmcnt(2)
	ds_bpermute_b32 v21, v15, v17
	s_mov_b32 s17, exec_lo
	s_waitcnt lgkmcnt(2)
	v_cmp_lt_f32_e64 s16, v19, v22
	v_cmpx_nlt_f32_e32 v19, v22
	s_cbranch_execnz .LBB198_22
; %bb.19:                               ;   in Loop: Header=BB198_10 Depth=1
	s_or_b32 exec_lo, exec_lo, s17
	s_delay_alu instid0(VALU_DEP_2)
	s_and_saveexec_b32 s0, s16
	s_cbranch_execnz .LBB198_23
.LBB198_20:                             ;   in Loop: Header=BB198_10 Depth=1
	s_or_b32 exec_lo, exec_lo, s0
	s_and_saveexec_b32 s16, s2
	s_cbranch_execnz .LBB198_24
.LBB198_21:                             ;   in Loop: Header=BB198_10 Depth=1
	s_or_b32 exec_lo, exec_lo, s16
	s_add_i32 s7, s7, 1
	s_delay_alu instid0(SALU_CYCLE_1)
	s_cmp_ge_i32 s7, s4
	s_cbranch_scc1 .LBB198_9
	s_branch .LBB198_25
.LBB198_22:                             ;   in Loop: Header=BB198_10 Depth=1
	v_cmp_eq_f32_e64 s0, v19, v22
	s_waitcnt lgkmcnt(0)
	v_cmp_lt_i32_e64 s1, v21, v17
	s_delay_alu instid0(VALU_DEP_1) | instskip(SKIP_2) | instid1(SALU_CYCLE_1)
	s_and_b32 s0, s0, s1
	s_and_not1_b32 s1, s16, exec_lo
	s_and_b32 s0, s0, exec_lo
	s_or_b32 s16, s1, s0
	s_or_b32 exec_lo, exec_lo, s17
	s_and_saveexec_b32 s0, s16
	s_cbranch_execz .LBB198_20
.LBB198_23:                             ;   in Loop: Header=BB198_10 Depth=1
	s_waitcnt lgkmcnt(0)
	v_dual_mov_b32 v17, v21 :: v_dual_mov_b32 v18, v20
	s_or_b32 exec_lo, exec_lo, s0
	s_and_saveexec_b32 s16, s2
	s_cbranch_execz .LBB198_21
.LBB198_24:                             ;   in Loop: Header=BB198_10 Depth=1
	s_delay_alu instid0(VALU_DEP_1)
	v_dual_add_f32 v26, v11, v18 :: v_dual_add_nc_u32 v19, s7, v12
	v_cmp_le_i32_e64 s0, s5, v17
	v_cmp_gt_i32_e64 s1, s6, v17
	s_waitcnt lgkmcnt(0)
	v_subrev_nc_u32_e32 v21, s5, v17
	v_ashrrev_i32_e32 v20, 31, v19
	v_cndmask_b32_e32 v11, v11, v26, vcc_lo
	s_and_b32 s0, s0, s1
	s_delay_alu instid0(SALU_CYCLE_1) | instskip(NEXT) | instid1(VALU_DEP_2)
	s_and_b32 s0, s15, s0
	v_lshlrev_b64 v[19:20], 2, v[19:20]
	v_cndmask_b32_e64 v25, 32, v21, s0
	s_delay_alu instid0(VALU_DEP_2) | instskip(NEXT) | instid1(VALU_DEP_1)
	v_add_co_u32 v21, s0, s12, v19
	v_add_co_ci_u32_e64 v22, s0, s13, v20, s0
	v_add_co_u32 v23, s0, s8, v19
	s_delay_alu instid0(VALU_DEP_1) | instskip(SKIP_1) | instid1(VALU_DEP_1)
	v_add_co_ci_u32_e64 v24, s0, s9, v20, s0
	v_add_co_u32 v19, s0, s10, v19
	v_add_co_ci_u32_e64 v20, s0, s11, v20, s0
	global_store_b32 v[21:22], v18, off
	global_store_b32 v[23:24], v25, off
	;; [unrolled: 1-line block ×3, first 2 shown]
	s_or_b32 exec_lo, exec_lo, s16
	s_add_i32 s7, s7, 1
	s_delay_alu instid0(SALU_CYCLE_1)
	s_cmp_ge_i32 s7, s4
	s_cbranch_scc1 .LBB198_9
.LBB198_25:                             ;   in Loop: Header=BB198_10 Depth=1
	v_ashrrev_i32_e32 v19, 31, v17
	s_mov_b32 s1, exec_lo
	s_delay_alu instid0(VALU_DEP_1) | instskip(NEXT) | instid1(VALU_DEP_1)
	v_lshrrev_b32_e32 v18, 30, v19
	v_add_nc_u32_e32 v18, v17, v18
	s_delay_alu instid0(VALU_DEP_1) | instskip(SKIP_1) | instid1(VALU_DEP_1)
	v_ashrrev_i32_e32 v18, 2, v18
	s_waitcnt lgkmcnt(1)
	v_lshrrev_b32_e32 v20, 29, v18
	s_delay_alu instid0(VALU_DEP_1) | instskip(NEXT) | instid1(VALU_DEP_1)
	v_add_nc_u32_e32 v20, v18, v20
	v_and_b32_e32 v20, -8, v20
	s_delay_alu instid0(VALU_DEP_1) | instskip(NEXT) | instid1(VALU_DEP_1)
	v_sub_nc_u32_e32 v20, v18, v20
	v_cmpx_eq_u32_e64 v9, v20
	s_cbranch_execz .LBB198_8
; %bb.26:                               ;   in Loop: Header=BB198_10 Depth=1
	v_lshrrev_b32_e32 v19, 27, v19
	v_lshlrev_b32_e32 v18, 2, v18
	s_delay_alu instid0(VALU_DEP_2) | instskip(NEXT) | instid1(VALU_DEP_2)
	v_add_nc_u32_e32 v19, v17, v19
	v_sub_nc_u32_e32 v17, v17, v18
	s_delay_alu instid0(VALU_DEP_2) | instskip(NEXT) | instid1(VALU_DEP_1)
	v_ashrrev_i32_e32 v18, 5, v19
	v_lshl_add_u32 v17, v18, 2, v17
	s_delay_alu instid0(VALU_DEP_1) | instskip(NEXT) | instid1(VALU_DEP_1)
	v_cmp_ne_u32_e64 s0, 3, v17
	v_cndmask_b32_e64 v7, 0xc61c4000, v7, s0
	v_cmp_ne_u32_e64 s0, 2, v17
	s_delay_alu instid0(VALU_DEP_1) | instskip(SKIP_1) | instid1(VALU_DEP_1)
	v_cndmask_b32_e64 v6, 0xc61c4000, v6, s0
	v_cmp_ne_u32_e64 s0, 1, v17
	v_cndmask_b32_e64 v5, 0xc61c4000, v5, s0
	v_cmp_ne_u32_e64 s0, 0, v17
	s_delay_alu instid0(VALU_DEP_1)
	v_cndmask_b32_e64 v4, 0xc61c4000, v4, s0
	s_branch .LBB198_8
.LBB198_27:
                                        ; implicit-def: $vgpr4_vgpr5_vgpr6_vgpr7
	s_and_not1_b32 vcc_lo, exec_lo, s8
	s_cbranch_vccz .LBB198_5
	s_branch .LBB198_6
.LBB198_28:
	v_mov_b32_e32 v11, 0
.LBB198_29:
	v_cmp_eq_u32_e64 s0, 0, v9
	s_delay_alu instid0(VALU_DEP_1) | instskip(NEXT) | instid1(SALU_CYCLE_1)
	s_and_b32 s0, s0, vcc_lo
	s_and_b32 exec_lo, exec_lo, s0
	s_cbranch_execz .LBB198_33
; %bb.30:
	s_and_not1_b32 vcc_lo, exec_lo, s3
	s_cbranch_vccnz .LBB198_33
; %bb.31:
	v_mul_lo_u32 v0, v8, s4
	v_cmp_lt_f32_e32 vcc_lo, 0, v11
	v_cndmask_b32_e32 v2, 1.0, v11, vcc_lo
	s_delay_alu instid0(VALU_DEP_3) | instskip(NEXT) | instid1(VALU_DEP_1)
	v_ashrrev_i32_e32 v1, 31, v0
	v_lshlrev_b64 v[0:1], 2, v[0:1]
	s_delay_alu instid0(VALU_DEP_1) | instskip(NEXT) | instid1(VALU_DEP_2)
	v_add_co_u32 v0, vcc_lo, s12, v0
	v_add_co_ci_u32_e32 v1, vcc_lo, s13, v1, vcc_lo
	.p2align	6
.LBB198_32:                             ; =>This Inner Loop Header: Depth=1
	global_load_b32 v3, v[0:1], off
	s_add_i32 s4, s4, -1
	s_delay_alu instid0(SALU_CYCLE_1) | instskip(SKIP_3) | instid1(VALU_DEP_2)
	s_cmp_lg_u32 s4, 0
	s_waitcnt vmcnt(0)
	v_div_scale_f32 v4, null, v2, v2, v3
	v_div_scale_f32 v7, vcc_lo, v3, v2, v3
	v_rcp_f32_e32 v5, v4
	s_waitcnt_depctr 0xfff
	v_fma_f32 v6, -v4, v5, 1.0
	s_delay_alu instid0(VALU_DEP_1) | instskip(NEXT) | instid1(VALU_DEP_1)
	v_fmac_f32_e32 v5, v6, v5
	v_mul_f32_e32 v6, v7, v5
	s_delay_alu instid0(VALU_DEP_1) | instskip(NEXT) | instid1(VALU_DEP_1)
	v_fma_f32 v8, -v4, v6, v7
	v_fmac_f32_e32 v6, v8, v5
	s_delay_alu instid0(VALU_DEP_1) | instskip(NEXT) | instid1(VALU_DEP_1)
	v_fma_f32 v4, -v4, v6, v7
	v_div_fmas_f32 v4, v4, v5, v6
	s_delay_alu instid0(VALU_DEP_1)
	v_div_fixup_f32 v3, v4, v2, v3
	global_store_b32 v[0:1], v3, off
	v_add_co_u32 v0, vcc_lo, v0, 4
	v_add_co_ci_u32_e32 v1, vcc_lo, 0, v1, vcc_lo
	s_cbranch_scc1 .LBB198_32
.LBB198_33:
	s_nop 0
	s_sendmsg sendmsg(MSG_DEALLOC_VGPRS)
	s_endpgm
	.section	.rodata,"a",@progbits
	.p2align	6, 0x0
	.amdhsa_kernel _ZN4vllm3moe10topkGatingILi4ELi32ELi4ELi16ELi64EifLNS0_11ScoringFuncE1EEEvPKT5_PKbPfiPT4_PiiiibPKf
		.amdhsa_group_segment_fixed_size 0
		.amdhsa_private_segment_fixed_size 0
		.amdhsa_kernarg_size 72
		.amdhsa_user_sgpr_count 15
		.amdhsa_user_sgpr_dispatch_ptr 0
		.amdhsa_user_sgpr_queue_ptr 0
		.amdhsa_user_sgpr_kernarg_segment_ptr 1
		.amdhsa_user_sgpr_dispatch_id 0
		.amdhsa_user_sgpr_private_segment_size 0
		.amdhsa_wavefront_size32 1
		.amdhsa_uses_dynamic_stack 0
		.amdhsa_enable_private_segment 0
		.amdhsa_system_sgpr_workgroup_id_x 1
		.amdhsa_system_sgpr_workgroup_id_y 0
		.amdhsa_system_sgpr_workgroup_id_z 0
		.amdhsa_system_sgpr_workgroup_info 0
		.amdhsa_system_vgpr_workitem_id 1
		.amdhsa_next_free_vgpr 27
		.amdhsa_next_free_sgpr 18
		.amdhsa_reserve_vcc 1
		.amdhsa_float_round_mode_32 0
		.amdhsa_float_round_mode_16_64 0
		.amdhsa_float_denorm_mode_32 3
		.amdhsa_float_denorm_mode_16_64 3
		.amdhsa_dx10_clamp 1
		.amdhsa_ieee_mode 1
		.amdhsa_fp16_overflow 0
		.amdhsa_workgroup_processor_mode 1
		.amdhsa_memory_ordered 1
		.amdhsa_forward_progress 0
		.amdhsa_shared_vgpr_count 0
		.amdhsa_exception_fp_ieee_invalid_op 0
		.amdhsa_exception_fp_denorm_src 0
		.amdhsa_exception_fp_ieee_div_zero 0
		.amdhsa_exception_fp_ieee_overflow 0
		.amdhsa_exception_fp_ieee_underflow 0
		.amdhsa_exception_fp_ieee_inexact 0
		.amdhsa_exception_int_div_zero 0
	.end_amdhsa_kernel
	.section	.text._ZN4vllm3moe10topkGatingILi4ELi32ELi4ELi16ELi64EifLNS0_11ScoringFuncE1EEEvPKT5_PKbPfiPT4_PiiiibPKf,"axG",@progbits,_ZN4vllm3moe10topkGatingILi4ELi32ELi4ELi16ELi64EifLNS0_11ScoringFuncE1EEEvPKT5_PKbPfiPT4_PiiiibPKf,comdat
.Lfunc_end198:
	.size	_ZN4vllm3moe10topkGatingILi4ELi32ELi4ELi16ELi64EifLNS0_11ScoringFuncE1EEEvPKT5_PKbPfiPT4_PiiiibPKf, .Lfunc_end198-_ZN4vllm3moe10topkGatingILi4ELi32ELi4ELi16ELi64EifLNS0_11ScoringFuncE1EEEvPKT5_PKbPfiPT4_PiiiibPKf
                                        ; -- End function
	.section	.AMDGPU.csdata,"",@progbits
; Kernel info:
; codeLenInByte = 2176
; NumSgprs: 20
; NumVgprs: 27
; ScratchSize: 0
; MemoryBound: 0
; FloatMode: 240
; IeeeMode: 1
; LDSByteSize: 0 bytes/workgroup (compile time only)
; SGPRBlocks: 2
; VGPRBlocks: 3
; NumSGPRsForWavesPerEU: 20
; NumVGPRsForWavesPerEU: 27
; Occupancy: 16
; WaveLimiterHint : 0
; COMPUTE_PGM_RSRC2:SCRATCH_EN: 0
; COMPUTE_PGM_RSRC2:USER_SGPR: 15
; COMPUTE_PGM_RSRC2:TRAP_HANDLER: 0
; COMPUTE_PGM_RSRC2:TGID_X_EN: 1
; COMPUTE_PGM_RSRC2:TGID_Y_EN: 0
; COMPUTE_PGM_RSRC2:TGID_Z_EN: 0
; COMPUTE_PGM_RSRC2:TIDIG_COMP_CNT: 1
	.section	.text._ZN4vllm3moe10topkGatingILi4ELi32ELi4ELi16ELi32EifLNS0_11ScoringFuncE1EEEvPKT5_PKbPfiPT4_PiiiibPKf,"axG",@progbits,_ZN4vllm3moe10topkGatingILi4ELi32ELi4ELi16ELi32EifLNS0_11ScoringFuncE1EEEvPKT5_PKbPfiPT4_PiiiibPKf,comdat
	.protected	_ZN4vllm3moe10topkGatingILi4ELi32ELi4ELi16ELi32EifLNS0_11ScoringFuncE1EEEvPKT5_PKbPfiPT4_PiiiibPKf ; -- Begin function _ZN4vllm3moe10topkGatingILi4ELi32ELi4ELi16ELi32EifLNS0_11ScoringFuncE1EEEvPKT5_PKbPfiPT4_PiiiibPKf
	.globl	_ZN4vllm3moe10topkGatingILi4ELi32ELi4ELi16ELi32EifLNS0_11ScoringFuncE1EEEvPKT5_PKbPfiPT4_PiiiibPKf
	.p2align	8
	.type	_ZN4vllm3moe10topkGatingILi4ELi32ELi4ELi16ELi32EifLNS0_11ScoringFuncE1EEEvPKT5_PKbPfiPT4_PiiiibPKf,@function
_ZN4vllm3moe10topkGatingILi4ELi32ELi4ELi16ELi32EifLNS0_11ScoringFuncE1EEEvPKT5_PKbPfiPT4_PiiiibPKf: ; @_ZN4vllm3moe10topkGatingILi4ELi32ELi4ELi16ELi32EifLNS0_11ScoringFuncE1EEEvPKT5_PKbPfiPT4_PiiiibPKf
; %bb.0:
	s_load_b32 s14, s[0:1], 0x18
	v_bfe_u32 v1, v0, 10, 10
	v_and_b32_e32 v0, 0x3ff, v0
	s_lshl_b32 s2, s15, 4
	s_delay_alu instid0(VALU_DEP_2) | instskip(NEXT) | instid1(VALU_DEP_2)
	v_lshlrev_b32_e32 v1, 2, v1
	v_lshrrev_b32_e32 v2, 3, v0
	s_delay_alu instid0(VALU_DEP_1) | instskip(SKIP_2) | instid1(VALU_DEP_1)
	v_add3_u32 v8, s2, v1, v2
	s_mov_b32 s2, exec_lo
	s_waitcnt lgkmcnt(0)
	v_cmpx_gt_i32_e64 s14, v8
	s_cbranch_execz .LBB199_33
; %bb.1:
	s_clause 0x1
	s_load_b128 s[4:7], s[0:1], 0x0
	s_load_b64 s[12:13], s[0:1], 0x10
	s_mov_b32 s8, -1
	s_mov_b32 s15, -1
	s_waitcnt lgkmcnt(0)
	s_cmp_eq_u64 s[6:7], 0
	s_cbranch_scc1 .LBB199_3
; %bb.2:
	v_ashrrev_i32_e32 v2, 31, v8
	v_add_co_u32 v1, vcc_lo, s6, v8
	s_delay_alu instid0(VALU_DEP_2) | instskip(SKIP_3) | instid1(VALU_DEP_1)
	v_add_co_ci_u32_e32 v2, vcc_lo, s7, v2, vcc_lo
	global_load_u8 v1, v[1:2], off
	s_waitcnt vmcnt(0)
	v_and_b32_e32 v1, 1, v1
	v_cmp_eq_u32_e32 vcc_lo, 1, v1
	s_xor_b32 s2, vcc_lo, -1
	s_delay_alu instid0(SALU_CYCLE_1)
	s_or_not1_b32 s15, s2, exec_lo
.LBB199_3:
	v_lshlrev_b32_e32 v1, 5, v8
	v_and_b32_e32 v9, 7, v0
	s_load_b64 s[6:7], s[0:1], 0x40
	s_delay_alu instid0(VALU_DEP_2) | instskip(NEXT) | instid1(VALU_DEP_1)
	v_ashrrev_i32_e32 v2, 31, v1
	v_lshlrev_b64 v[0:1], 2, v[1:2]
	s_delay_alu instid0(VALU_DEP_3) | instskip(NEXT) | instid1(VALU_DEP_2)
	v_lshlrev_b32_e32 v2, 4, v9
	v_add_co_u32 v0, vcc_lo, s4, v0
	s_delay_alu instid0(VALU_DEP_3) | instskip(NEXT) | instid1(VALU_DEP_2)
	v_add_co_ci_u32_e32 v1, vcc_lo, s5, v1, vcc_lo
	v_add_co_u32 v0, vcc_lo, v0, v2
	s_delay_alu instid0(VALU_DEP_2)
	v_add_co_ci_u32_e32 v1, vcc_lo, 0, v1, vcc_lo
	s_waitcnt lgkmcnt(0)
	s_cmp_eq_u64 s[6:7], 0
	global_load_b128 v[0:3], v[0:1], off
	s_waitcnt vmcnt(0)
	v_dual_mul_f32 v3, 0xbfb8aa3b, v3 :: v_dual_mul_f32 v0, 0xbfb8aa3b, v0
	v_dual_mul_f32 v1, 0xbfb8aa3b, v1 :: v_dual_mul_f32 v2, 0xbfb8aa3b, v2
	s_delay_alu instid0(VALU_DEP_2) | instskip(NEXT) | instid1(VALU_DEP_2)
	v_exp_f32_e32 v3, v3
	v_exp_f32_e32 v0, v0
	s_delay_alu instid0(VALU_DEP_1) | instskip(NEXT) | instid1(VALU_DEP_1)
	v_exp_f32_e32 v1, v1
	v_exp_f32_e32 v2, v2
	s_waitcnt_depctr 0xfff
	v_dual_add_f32 v0, 1.0, v0 :: v_dual_add_f32 v1, 1.0, v1
	v_add_f32_e32 v2, 1.0, v2
	s_delay_alu instid0(VALU_DEP_2) | instskip(NEXT) | instid1(VALU_DEP_3)
	v_div_scale_f32 v4, null, v0, v0, 1.0
	v_div_scale_f32 v5, null, v1, v1, 1.0
	s_delay_alu instid0(VALU_DEP_3) | instskip(NEXT) | instid1(VALU_DEP_3)
	v_div_scale_f32 v6, null, v2, v2, 1.0
	v_rcp_f32_e32 v11, v4
	s_delay_alu instid0(VALU_DEP_2) | instskip(SKIP_1) | instid1(VALU_DEP_2)
	v_rcp_f32_e32 v12, v5
	v_div_scale_f32 v15, vcc_lo, 1.0, v0, 1.0
	v_rcp_f32_e32 v13, v6
	v_div_scale_f32 v16, s2, 1.0, v1, 1.0
	v_div_scale_f32 v17, s3, 1.0, v2, 1.0
	s_delay_alu instid0(TRANS32_DEP_3) | instskip(SKIP_4) | instid1(VALU_DEP_3)
	v_fma_f32 v10, -v4, v11, 1.0
	s_waitcnt_depctr 0xfff
	v_fma_f32 v18, -v5, v12, 1.0
	v_add_f32_e32 v3, 1.0, v3
	v_fma_f32 v19, -v6, v13, 1.0
	v_fmac_f32_e32 v12, v18, v12
	s_delay_alu instid0(VALU_DEP_3) | instskip(SKIP_1) | instid1(VALU_DEP_2)
	v_div_scale_f32 v7, null, v3, v3, 1.0
	v_div_scale_f32 v21, s4, 1.0, v3, 1.0
	v_rcp_f32_e32 v14, v7
	s_waitcnt_depctr 0xfff
	v_fma_f32 v20, -v7, v14, 1.0
	s_delay_alu instid0(VALU_DEP_1) | instskip(NEXT) | instid1(VALU_DEP_1)
	v_dual_fmac_f32 v11, v10, v11 :: v_dual_fmac_f32 v14, v20, v14
	v_mul_f32_e32 v18, v15, v11
	v_fmac_f32_e32 v13, v19, v13
	s_delay_alu instid0(VALU_DEP_3) | instskip(NEXT) | instid1(VALU_DEP_3)
	v_dual_mul_f32 v19, v16, v12 :: v_dual_mul_f32 v22, v21, v14
	v_fma_f32 v10, -v4, v18, v15
	s_delay_alu instid0(VALU_DEP_2) | instskip(NEXT) | instid1(VALU_DEP_4)
	v_fma_f32 v23, -v5, v19, v16
	v_mul_f32_e32 v20, v17, v13
	s_delay_alu instid0(VALU_DEP_4) | instskip(NEXT) | instid1(VALU_DEP_4)
	v_fma_f32 v25, -v7, v22, v21
	v_fmac_f32_e32 v18, v10, v11
	s_delay_alu instid0(VALU_DEP_4) | instskip(NEXT) | instid1(VALU_DEP_4)
	v_dual_fmac_f32 v19, v23, v12 :: v_dual_lshlrev_b32 v10, 2, v9
	v_fma_f32 v24, -v6, v20, v17
	s_delay_alu instid0(VALU_DEP_4) | instskip(NEXT) | instid1(VALU_DEP_4)
	v_fmac_f32_e32 v22, v25, v14
	v_fma_f32 v4, -v4, v18, v15
	s_delay_alu instid0(VALU_DEP_4) | instskip(NEXT) | instid1(VALU_DEP_4)
	v_fma_f32 v5, -v5, v19, v16
	v_fmac_f32_e32 v20, v24, v13
	s_delay_alu instid0(VALU_DEP_4) | instskip(NEXT) | instid1(VALU_DEP_4)
	v_fma_f32 v7, -v7, v22, v21
	v_div_fmas_f32 v4, v4, v11, v18
	s_mov_b32 vcc_lo, s2
	s_delay_alu instid0(VALU_DEP_3) | instskip(SKIP_1) | instid1(VALU_DEP_3)
	v_fma_f32 v6, -v6, v20, v17
	v_div_fmas_f32 v5, v5, v12, v19
	v_div_fixup_f32 v0, v4, v0, 1.0
	s_mov_b32 vcc_lo, s3
	s_delay_alu instid0(VALU_DEP_3)
	v_div_fmas_f32 v6, v6, v13, v20
	s_mov_b32 vcc_lo, s4
	v_div_fixup_f32 v1, v5, v1, 1.0
	v_div_fmas_f32 v4, v7, v14, v22
	v_cmp_class_f32_e64 vcc_lo, v0, 0x1f8
	v_div_fixup_f32 v2, v6, v2, 1.0
	s_delay_alu instid0(VALU_DEP_3)
	v_div_fixup_f32 v3, v4, v3, 1.0
	v_cndmask_b32_e32 v0, 0, v0, vcc_lo
	v_cmp_class_f32_e64 vcc_lo, v1, 0x1f8
	v_cndmask_b32_e32 v1, 0, v1, vcc_lo
	v_cmp_class_f32_e64 vcc_lo, v2, 0x1f8
	;; [unrolled: 2-line block ×3, first 2 shown]
	v_cndmask_b32_e32 v3, 0, v3, vcc_lo
	s_cbranch_scc1 .LBB199_27
; %bb.4:
	v_lshlrev_b32_e32 v4, 2, v10
	global_load_b128 v[4:7], v4, s[6:7]
	s_waitcnt vmcnt(0)
	v_dual_add_f32 v5, v5, v1 :: v_dual_add_f32 v4, v4, v0
	v_dual_add_f32 v7, v7, v3 :: v_dual_add_f32 v6, v6, v2
	s_cbranch_execnz .LBB199_6
.LBB199_5:
	v_dual_mov_b32 v7, v3 :: v_dual_mov_b32 v6, v2
	v_dual_mov_b32 v5, v1 :: v_dual_mov_b32 v4, v0
.LBB199_6:
	s_load_b128 s[4:7], s[0:1], 0x30
	v_cmp_eq_u32_e64 s2, 0, v9
	s_waitcnt lgkmcnt(0)
	s_bitcmp1_b32 s7, 0
	s_mov_b32 s7, 0
	s_cselect_b32 vcc_lo, -1, 0
	s_cmp_gt_i32 s4, 0
	s_cselect_b32 s3, -1, 0
	s_cmp_lt_i32 s4, 1
	s_cbranch_scc1 .LBB199_28
; %bb.7:
	v_mbcnt_lo_u32_b32 v11, -1, 0
	s_load_b128 s[8:11], s[0:1], 0x20
	v_mov_b32_e32 v16, v8
	s_delay_alu instid0(VALU_DEP_2) | instskip(SKIP_3) | instid1(VALU_DEP_4)
	v_and_b32_e32 v12, 24, v11
	v_xor_b32_e32 v13, 4, v11
	v_xor_b32_e32 v14, 2, v11
	;; [unrolled: 1-line block ×3, first 2 shown]
	v_add_nc_u32_e32 v12, 8, v12
	s_delay_alu instid0(VALU_DEP_1) | instskip(NEXT) | instid1(VALU_DEP_1)
	v_cmp_lt_i32_e64 s0, v13, v12
	v_cndmask_b32_e64 v13, v11, v13, s0
	v_cmp_lt_i32_e64 s0, v14, v12
	s_delay_alu instid0(VALU_DEP_2) | instskip(NEXT) | instid1(VALU_DEP_2)
	v_lshlrev_b32_e32 v13, 2, v13
	v_cndmask_b32_e64 v14, v11, v14, s0
	v_cmp_lt_i32_e64 s0, v15, v12
	v_mul_lo_u32 v12, v8, s4
	s_delay_alu instid0(VALU_DEP_3) | instskip(NEXT) | instid1(VALU_DEP_3)
	v_lshlrev_b32_e32 v14, 2, v14
	v_cndmask_b32_e64 v15, v11, v15, s0
	v_mov_b32_e32 v11, 0
	s_delay_alu instid0(VALU_DEP_2)
	v_lshlrev_b32_e32 v15, 2, v15
	s_branch .LBB199_10
.LBB199_8:                              ;   in Loop: Header=BB199_10 Depth=1
	s_or_b32 exec_lo, exec_lo, s1
.LBB199_9:                              ;   in Loop: Header=BB199_10 Depth=1
	v_add_nc_u32_e32 v16, s14, v16
	s_cmp_eq_u32 s4, s7
	s_cbranch_scc1 .LBB199_29
.LBB199_10:                             ; =>This Inner Loop Header: Depth=1
	v_cmp_gt_f32_e64 s0, v5, v4
	s_mov_b32 s17, exec_lo
	s_delay_alu instid0(VALU_DEP_1) | instskip(SKIP_2) | instid1(VALU_DEP_3)
	v_cndmask_b32_e64 v18, v4, v5, s0
	v_cndmask_b32_e64 v17, 0, 1, s0
	;; [unrolled: 1-line block ×3, first 2 shown]
	v_cmp_gt_f32_e64 s1, v6, v18
	s_delay_alu instid0(VALU_DEP_1) | instskip(NEXT) | instid1(VALU_DEP_4)
	v_cndmask_b32_e64 v18, v18, v6, s1
	v_cndmask_b32_e64 v17, v17, 2, s1
	s_waitcnt lgkmcnt(0)
	v_cndmask_b32_e64 v20, v19, v2, s1
	s_delay_alu instid0(VALU_DEP_3) | instskip(NEXT) | instid1(VALU_DEP_1)
	v_cmp_gt_f32_e64 s0, v7, v18
	v_cndmask_b32_e64 v17, v17, 3, s0
	v_cndmask_b32_e64 v19, v18, v7, s0
	s_delay_alu instid0(VALU_DEP_4) | instskip(NEXT) | instid1(VALU_DEP_3)
	v_cndmask_b32_e64 v18, v20, v3, s0
	v_or_b32_e32 v17, v10, v17
	ds_bpermute_b32 v20, v13, v19
	ds_bpermute_b32 v22, v13, v18
	;; [unrolled: 1-line block ×3, first 2 shown]
	s_waitcnt lgkmcnt(0)
	v_cmp_lt_f32_e64 s16, v19, v20
	v_cmpx_nlt_f32_e32 v19, v20
; %bb.11:                               ;   in Loop: Header=BB199_10 Depth=1
	v_cmp_eq_f32_e64 s0, v19, v20
	v_cmp_lt_i32_e64 s1, v21, v17
	s_delay_alu instid0(VALU_DEP_1) | instskip(SKIP_2) | instid1(SALU_CYCLE_1)
	s_and_b32 s0, s0, s1
	s_and_not1_b32 s1, s16, exec_lo
	s_and_b32 s0, s0, exec_lo
	s_or_b32 s16, s1, s0
; %bb.12:                               ;   in Loop: Header=BB199_10 Depth=1
	s_or_b32 exec_lo, exec_lo, s17
	s_and_saveexec_b32 s0, s16
; %bb.13:                               ;   in Loop: Header=BB199_10 Depth=1
	v_dual_mov_b32 v18, v22 :: v_dual_mov_b32 v19, v20
	v_mov_b32_e32 v17, v21
; %bb.14:                               ;   in Loop: Header=BB199_10 Depth=1
	s_or_b32 exec_lo, exec_lo, s0
	ds_bpermute_b32 v20, v14, v19
	ds_bpermute_b32 v22, v14, v18
	;; [unrolled: 1-line block ×3, first 2 shown]
	s_mov_b32 s17, exec_lo
	s_waitcnt lgkmcnt(2)
	v_cmp_lt_f32_e64 s16, v19, v20
	v_cmpx_nlt_f32_e32 v19, v20
	s_cbranch_execz .LBB199_16
; %bb.15:                               ;   in Loop: Header=BB199_10 Depth=1
	v_cmp_eq_f32_e64 s0, v19, v20
	s_waitcnt lgkmcnt(0)
	v_cmp_lt_i32_e64 s1, v21, v17
	s_delay_alu instid0(VALU_DEP_1) | instskip(SKIP_2) | instid1(SALU_CYCLE_1)
	s_and_b32 s0, s0, s1
	s_and_not1_b32 s1, s16, exec_lo
	s_and_b32 s0, s0, exec_lo
	s_or_b32 s16, s1, s0
.LBB199_16:                             ;   in Loop: Header=BB199_10 Depth=1
	s_or_b32 exec_lo, exec_lo, s17
	s_delay_alu instid0(VALU_DEP_2)
	s_and_saveexec_b32 s0, s16
	s_cbranch_execz .LBB199_18
; %bb.17:                               ;   in Loop: Header=BB199_10 Depth=1
	s_waitcnt lgkmcnt(1)
	v_dual_mov_b32 v18, v22 :: v_dual_mov_b32 v19, v20
	s_waitcnt lgkmcnt(0)
	v_mov_b32_e32 v17, v21
.LBB199_18:                             ;   in Loop: Header=BB199_10 Depth=1
	s_or_b32 exec_lo, exec_lo, s0
	s_waitcnt lgkmcnt(1)
	ds_bpermute_b32 v22, v15, v19
	ds_bpermute_b32 v20, v15, v18
	s_waitcnt lgkmcnt(2)
	ds_bpermute_b32 v21, v15, v17
	s_mov_b32 s17, exec_lo
	s_waitcnt lgkmcnt(2)
	v_cmp_lt_f32_e64 s16, v19, v22
	v_cmpx_nlt_f32_e32 v19, v22
	s_cbranch_execnz .LBB199_22
; %bb.19:                               ;   in Loop: Header=BB199_10 Depth=1
	s_or_b32 exec_lo, exec_lo, s17
	s_delay_alu instid0(VALU_DEP_2)
	s_and_saveexec_b32 s0, s16
	s_cbranch_execnz .LBB199_23
.LBB199_20:                             ;   in Loop: Header=BB199_10 Depth=1
	s_or_b32 exec_lo, exec_lo, s0
	s_and_saveexec_b32 s16, s2
	s_cbranch_execnz .LBB199_24
.LBB199_21:                             ;   in Loop: Header=BB199_10 Depth=1
	s_or_b32 exec_lo, exec_lo, s16
	s_add_i32 s7, s7, 1
	s_delay_alu instid0(SALU_CYCLE_1)
	s_cmp_ge_i32 s7, s4
	s_cbranch_scc1 .LBB199_9
	s_branch .LBB199_25
.LBB199_22:                             ;   in Loop: Header=BB199_10 Depth=1
	v_cmp_eq_f32_e64 s0, v19, v22
	s_waitcnt lgkmcnt(0)
	v_cmp_lt_i32_e64 s1, v21, v17
	s_delay_alu instid0(VALU_DEP_1) | instskip(SKIP_2) | instid1(SALU_CYCLE_1)
	s_and_b32 s0, s0, s1
	s_and_not1_b32 s1, s16, exec_lo
	s_and_b32 s0, s0, exec_lo
	s_or_b32 s16, s1, s0
	s_or_b32 exec_lo, exec_lo, s17
	s_and_saveexec_b32 s0, s16
	s_cbranch_execz .LBB199_20
.LBB199_23:                             ;   in Loop: Header=BB199_10 Depth=1
	s_waitcnt lgkmcnt(0)
	v_dual_mov_b32 v17, v21 :: v_dual_mov_b32 v18, v20
	s_or_b32 exec_lo, exec_lo, s0
	s_and_saveexec_b32 s16, s2
	s_cbranch_execz .LBB199_21
.LBB199_24:                             ;   in Loop: Header=BB199_10 Depth=1
	s_delay_alu instid0(VALU_DEP_1)
	v_dual_add_f32 v26, v11, v18 :: v_dual_add_nc_u32 v19, s7, v12
	v_cmp_le_i32_e64 s0, s5, v17
	v_cmp_gt_i32_e64 s1, s6, v17
	s_waitcnt lgkmcnt(0)
	v_subrev_nc_u32_e32 v21, s5, v17
	v_ashrrev_i32_e32 v20, 31, v19
	v_cndmask_b32_e32 v11, v11, v26, vcc_lo
	s_and_b32 s0, s0, s1
	s_delay_alu instid0(SALU_CYCLE_1) | instskip(NEXT) | instid1(VALU_DEP_2)
	s_and_b32 s0, s15, s0
	v_lshlrev_b64 v[19:20], 2, v[19:20]
	v_cndmask_b32_e64 v25, 32, v21, s0
	s_delay_alu instid0(VALU_DEP_2) | instskip(NEXT) | instid1(VALU_DEP_1)
	v_add_co_u32 v21, s0, s12, v19
	v_add_co_ci_u32_e64 v22, s0, s13, v20, s0
	v_add_co_u32 v23, s0, s8, v19
	s_delay_alu instid0(VALU_DEP_1) | instskip(SKIP_1) | instid1(VALU_DEP_1)
	v_add_co_ci_u32_e64 v24, s0, s9, v20, s0
	v_add_co_u32 v19, s0, s10, v19
	v_add_co_ci_u32_e64 v20, s0, s11, v20, s0
	global_store_b32 v[21:22], v18, off
	global_store_b32 v[23:24], v25, off
	;; [unrolled: 1-line block ×3, first 2 shown]
	s_or_b32 exec_lo, exec_lo, s16
	s_add_i32 s7, s7, 1
	s_delay_alu instid0(SALU_CYCLE_1)
	s_cmp_ge_i32 s7, s4
	s_cbranch_scc1 .LBB199_9
.LBB199_25:                             ;   in Loop: Header=BB199_10 Depth=1
	v_ashrrev_i32_e32 v19, 31, v17
	s_mov_b32 s1, exec_lo
	s_delay_alu instid0(VALU_DEP_1) | instskip(NEXT) | instid1(VALU_DEP_1)
	v_lshrrev_b32_e32 v18, 30, v19
	v_add_nc_u32_e32 v18, v17, v18
	s_delay_alu instid0(VALU_DEP_1) | instskip(SKIP_1) | instid1(VALU_DEP_1)
	v_ashrrev_i32_e32 v18, 2, v18
	s_waitcnt lgkmcnt(1)
	v_lshrrev_b32_e32 v20, 29, v18
	s_delay_alu instid0(VALU_DEP_1) | instskip(NEXT) | instid1(VALU_DEP_1)
	v_add_nc_u32_e32 v20, v18, v20
	v_and_b32_e32 v20, -8, v20
	s_delay_alu instid0(VALU_DEP_1) | instskip(NEXT) | instid1(VALU_DEP_1)
	v_sub_nc_u32_e32 v20, v18, v20
	v_cmpx_eq_u32_e64 v9, v20
	s_cbranch_execz .LBB199_8
; %bb.26:                               ;   in Loop: Header=BB199_10 Depth=1
	v_lshrrev_b32_e32 v19, 27, v19
	v_lshlrev_b32_e32 v18, 2, v18
	s_delay_alu instid0(VALU_DEP_2) | instskip(NEXT) | instid1(VALU_DEP_2)
	v_add_nc_u32_e32 v19, v17, v19
	v_sub_nc_u32_e32 v17, v17, v18
	s_delay_alu instid0(VALU_DEP_2) | instskip(NEXT) | instid1(VALU_DEP_1)
	v_ashrrev_i32_e32 v18, 5, v19
	v_lshl_add_u32 v17, v18, 2, v17
	s_delay_alu instid0(VALU_DEP_1) | instskip(NEXT) | instid1(VALU_DEP_1)
	v_cmp_ne_u32_e64 s0, 3, v17
	v_cndmask_b32_e64 v7, 0xc61c4000, v7, s0
	v_cmp_ne_u32_e64 s0, 2, v17
	s_delay_alu instid0(VALU_DEP_1) | instskip(SKIP_1) | instid1(VALU_DEP_1)
	v_cndmask_b32_e64 v6, 0xc61c4000, v6, s0
	v_cmp_ne_u32_e64 s0, 1, v17
	v_cndmask_b32_e64 v5, 0xc61c4000, v5, s0
	v_cmp_ne_u32_e64 s0, 0, v17
	s_delay_alu instid0(VALU_DEP_1)
	v_cndmask_b32_e64 v4, 0xc61c4000, v4, s0
	s_branch .LBB199_8
.LBB199_27:
                                        ; implicit-def: $vgpr4_vgpr5_vgpr6_vgpr7
	s_and_not1_b32 vcc_lo, exec_lo, s8
	s_cbranch_vccz .LBB199_5
	s_branch .LBB199_6
.LBB199_28:
	v_mov_b32_e32 v11, 0
.LBB199_29:
	v_cmp_eq_u32_e64 s0, 0, v9
	s_delay_alu instid0(VALU_DEP_1) | instskip(NEXT) | instid1(SALU_CYCLE_1)
	s_and_b32 s0, s0, vcc_lo
	s_and_b32 exec_lo, exec_lo, s0
	s_cbranch_execz .LBB199_33
; %bb.30:
	s_and_not1_b32 vcc_lo, exec_lo, s3
	s_cbranch_vccnz .LBB199_33
; %bb.31:
	v_mul_lo_u32 v0, v8, s4
	v_cmp_lt_f32_e32 vcc_lo, 0, v11
	v_cndmask_b32_e32 v2, 1.0, v11, vcc_lo
	s_delay_alu instid0(VALU_DEP_3) | instskip(NEXT) | instid1(VALU_DEP_1)
	v_ashrrev_i32_e32 v1, 31, v0
	v_lshlrev_b64 v[0:1], 2, v[0:1]
	s_delay_alu instid0(VALU_DEP_1) | instskip(NEXT) | instid1(VALU_DEP_2)
	v_add_co_u32 v0, vcc_lo, s12, v0
	v_add_co_ci_u32_e32 v1, vcc_lo, s13, v1, vcc_lo
	.p2align	6
.LBB199_32:                             ; =>This Inner Loop Header: Depth=1
	global_load_b32 v3, v[0:1], off
	s_add_i32 s4, s4, -1
	s_delay_alu instid0(SALU_CYCLE_1) | instskip(SKIP_3) | instid1(VALU_DEP_2)
	s_cmp_lg_u32 s4, 0
	s_waitcnt vmcnt(0)
	v_div_scale_f32 v4, null, v2, v2, v3
	v_div_scale_f32 v7, vcc_lo, v3, v2, v3
	v_rcp_f32_e32 v5, v4
	s_waitcnt_depctr 0xfff
	v_fma_f32 v6, -v4, v5, 1.0
	s_delay_alu instid0(VALU_DEP_1) | instskip(NEXT) | instid1(VALU_DEP_1)
	v_fmac_f32_e32 v5, v6, v5
	v_mul_f32_e32 v6, v7, v5
	s_delay_alu instid0(VALU_DEP_1) | instskip(NEXT) | instid1(VALU_DEP_1)
	v_fma_f32 v8, -v4, v6, v7
	v_fmac_f32_e32 v6, v8, v5
	s_delay_alu instid0(VALU_DEP_1) | instskip(NEXT) | instid1(VALU_DEP_1)
	v_fma_f32 v4, -v4, v6, v7
	v_div_fmas_f32 v4, v4, v5, v6
	s_delay_alu instid0(VALU_DEP_1)
	v_div_fixup_f32 v3, v4, v2, v3
	global_store_b32 v[0:1], v3, off
	v_add_co_u32 v0, vcc_lo, v0, 4
	v_add_co_ci_u32_e32 v1, vcc_lo, 0, v1, vcc_lo
	s_cbranch_scc1 .LBB199_32
.LBB199_33:
	s_nop 0
	s_sendmsg sendmsg(MSG_DEALLOC_VGPRS)
	s_endpgm
	.section	.rodata,"a",@progbits
	.p2align	6, 0x0
	.amdhsa_kernel _ZN4vllm3moe10topkGatingILi4ELi32ELi4ELi16ELi32EifLNS0_11ScoringFuncE1EEEvPKT5_PKbPfiPT4_PiiiibPKf
		.amdhsa_group_segment_fixed_size 0
		.amdhsa_private_segment_fixed_size 0
		.amdhsa_kernarg_size 72
		.amdhsa_user_sgpr_count 15
		.amdhsa_user_sgpr_dispatch_ptr 0
		.amdhsa_user_sgpr_queue_ptr 0
		.amdhsa_user_sgpr_kernarg_segment_ptr 1
		.amdhsa_user_sgpr_dispatch_id 0
		.amdhsa_user_sgpr_private_segment_size 0
		.amdhsa_wavefront_size32 1
		.amdhsa_uses_dynamic_stack 0
		.amdhsa_enable_private_segment 0
		.amdhsa_system_sgpr_workgroup_id_x 1
		.amdhsa_system_sgpr_workgroup_id_y 0
		.amdhsa_system_sgpr_workgroup_id_z 0
		.amdhsa_system_sgpr_workgroup_info 0
		.amdhsa_system_vgpr_workitem_id 1
		.amdhsa_next_free_vgpr 27
		.amdhsa_next_free_sgpr 18
		.amdhsa_reserve_vcc 1
		.amdhsa_float_round_mode_32 0
		.amdhsa_float_round_mode_16_64 0
		.amdhsa_float_denorm_mode_32 3
		.amdhsa_float_denorm_mode_16_64 3
		.amdhsa_dx10_clamp 1
		.amdhsa_ieee_mode 1
		.amdhsa_fp16_overflow 0
		.amdhsa_workgroup_processor_mode 1
		.amdhsa_memory_ordered 1
		.amdhsa_forward_progress 0
		.amdhsa_shared_vgpr_count 0
		.amdhsa_exception_fp_ieee_invalid_op 0
		.amdhsa_exception_fp_denorm_src 0
		.amdhsa_exception_fp_ieee_div_zero 0
		.amdhsa_exception_fp_ieee_overflow 0
		.amdhsa_exception_fp_ieee_underflow 0
		.amdhsa_exception_fp_ieee_inexact 0
		.amdhsa_exception_int_div_zero 0
	.end_amdhsa_kernel
	.section	.text._ZN4vllm3moe10topkGatingILi4ELi32ELi4ELi16ELi32EifLNS0_11ScoringFuncE1EEEvPKT5_PKbPfiPT4_PiiiibPKf,"axG",@progbits,_ZN4vllm3moe10topkGatingILi4ELi32ELi4ELi16ELi32EifLNS0_11ScoringFuncE1EEEvPKT5_PKbPfiPT4_PiiiibPKf,comdat
.Lfunc_end199:
	.size	_ZN4vllm3moe10topkGatingILi4ELi32ELi4ELi16ELi32EifLNS0_11ScoringFuncE1EEEvPKT5_PKbPfiPT4_PiiiibPKf, .Lfunc_end199-_ZN4vllm3moe10topkGatingILi4ELi32ELi4ELi16ELi32EifLNS0_11ScoringFuncE1EEEvPKT5_PKbPfiPT4_PiiiibPKf
                                        ; -- End function
	.section	.AMDGPU.csdata,"",@progbits
; Kernel info:
; codeLenInByte = 2176
; NumSgprs: 20
; NumVgprs: 27
; ScratchSize: 0
; MemoryBound: 0
; FloatMode: 240
; IeeeMode: 1
; LDSByteSize: 0 bytes/workgroup (compile time only)
; SGPRBlocks: 2
; VGPRBlocks: 3
; NumSGPRsForWavesPerEU: 20
; NumVGPRsForWavesPerEU: 27
; Occupancy: 16
; WaveLimiterHint : 0
; COMPUTE_PGM_RSRC2:SCRATCH_EN: 0
; COMPUTE_PGM_RSRC2:USER_SGPR: 15
; COMPUTE_PGM_RSRC2:TRAP_HANDLER: 0
; COMPUTE_PGM_RSRC2:TGID_X_EN: 1
; COMPUTE_PGM_RSRC2:TGID_Y_EN: 0
; COMPUTE_PGM_RSRC2:TGID_Z_EN: 0
; COMPUTE_PGM_RSRC2:TIDIG_COMP_CNT: 1
	.section	.text._ZN4vllm3moe10topkGatingILi4ELi64ELi4ELi16ELi64EifLNS0_11ScoringFuncE1EEEvPKT5_PKbPfiPT4_PiiiibPKf,"axG",@progbits,_ZN4vllm3moe10topkGatingILi4ELi64ELi4ELi16ELi64EifLNS0_11ScoringFuncE1EEEvPKT5_PKbPfiPT4_PiiiibPKf,comdat
	.protected	_ZN4vllm3moe10topkGatingILi4ELi64ELi4ELi16ELi64EifLNS0_11ScoringFuncE1EEEvPKT5_PKbPfiPT4_PiiiibPKf ; -- Begin function _ZN4vllm3moe10topkGatingILi4ELi64ELi4ELi16ELi64EifLNS0_11ScoringFuncE1EEEvPKT5_PKbPfiPT4_PiiiibPKf
	.globl	_ZN4vllm3moe10topkGatingILi4ELi64ELi4ELi16ELi64EifLNS0_11ScoringFuncE1EEEvPKT5_PKbPfiPT4_PiiiibPKf
	.p2align	8
	.type	_ZN4vllm3moe10topkGatingILi4ELi64ELi4ELi16ELi64EifLNS0_11ScoringFuncE1EEEvPKT5_PKbPfiPT4_PiiiibPKf,@function
_ZN4vllm3moe10topkGatingILi4ELi64ELi4ELi16ELi64EifLNS0_11ScoringFuncE1EEEvPKT5_PKbPfiPT4_PiiiibPKf: ; @_ZN4vllm3moe10topkGatingILi4ELi64ELi4ELi16ELi64EifLNS0_11ScoringFuncE1EEEvPKT5_PKbPfiPT4_PiiiibPKf
; %bb.0:
	s_load_b32 s14, s[0:1], 0x18
	v_bfe_u32 v1, v0, 10, 10
	v_and_b32_e32 v0, 0x3ff, v0
	s_lshl_b32 s2, s15, 4
	s_delay_alu instid0(VALU_DEP_2) | instskip(NEXT) | instid1(VALU_DEP_2)
	v_lshlrev_b32_e32 v1, 2, v1
	v_lshrrev_b32_e32 v2, 4, v0
	s_delay_alu instid0(VALU_DEP_1) | instskip(SKIP_2) | instid1(VALU_DEP_1)
	v_add3_u32 v8, s2, v1, v2
	s_mov_b32 s2, exec_lo
	s_waitcnt lgkmcnt(0)
	v_cmpx_gt_i32_e64 s14, v8
	s_cbranch_execz .LBB200_37
; %bb.1:
	s_clause 0x1
	s_load_b128 s[4:7], s[0:1], 0x0
	s_load_b64 s[12:13], s[0:1], 0x10
	s_mov_b32 s8, -1
	s_mov_b32 s15, -1
	s_waitcnt lgkmcnt(0)
	s_cmp_eq_u64 s[6:7], 0
	s_cbranch_scc1 .LBB200_3
; %bb.2:
	v_ashrrev_i32_e32 v2, 31, v8
	v_add_co_u32 v1, vcc_lo, s6, v8
	s_delay_alu instid0(VALU_DEP_2) | instskip(SKIP_3) | instid1(VALU_DEP_1)
	v_add_co_ci_u32_e32 v2, vcc_lo, s7, v2, vcc_lo
	global_load_u8 v1, v[1:2], off
	s_waitcnt vmcnt(0)
	v_and_b32_e32 v1, 1, v1
	v_cmp_eq_u32_e32 vcc_lo, 1, v1
	s_xor_b32 s2, vcc_lo, -1
	s_delay_alu instid0(SALU_CYCLE_1)
	s_or_not1_b32 s15, s2, exec_lo
.LBB200_3:
	v_lshlrev_b32_e32 v1, 6, v8
	v_and_b32_e32 v9, 15, v0
	s_load_b64 s[6:7], s[0:1], 0x40
	s_delay_alu instid0(VALU_DEP_2) | instskip(NEXT) | instid1(VALU_DEP_1)
	v_ashrrev_i32_e32 v2, 31, v1
	v_lshlrev_b64 v[0:1], 2, v[1:2]
	s_delay_alu instid0(VALU_DEP_3) | instskip(NEXT) | instid1(VALU_DEP_2)
	v_lshlrev_b32_e32 v2, 4, v9
	v_add_co_u32 v0, vcc_lo, s4, v0
	s_delay_alu instid0(VALU_DEP_3) | instskip(NEXT) | instid1(VALU_DEP_2)
	v_add_co_ci_u32_e32 v1, vcc_lo, s5, v1, vcc_lo
	v_add_co_u32 v0, vcc_lo, v0, v2
	s_delay_alu instid0(VALU_DEP_2)
	v_add_co_ci_u32_e32 v1, vcc_lo, 0, v1, vcc_lo
	s_waitcnt lgkmcnt(0)
	s_cmp_eq_u64 s[6:7], 0
	global_load_b128 v[0:3], v[0:1], off
	s_waitcnt vmcnt(0)
	v_dual_mul_f32 v3, 0xbfb8aa3b, v3 :: v_dual_mul_f32 v0, 0xbfb8aa3b, v0
	v_dual_mul_f32 v1, 0xbfb8aa3b, v1 :: v_dual_mul_f32 v2, 0xbfb8aa3b, v2
	s_delay_alu instid0(VALU_DEP_2) | instskip(NEXT) | instid1(VALU_DEP_2)
	v_exp_f32_e32 v3, v3
	v_exp_f32_e32 v0, v0
	s_delay_alu instid0(VALU_DEP_1) | instskip(NEXT) | instid1(VALU_DEP_1)
	v_exp_f32_e32 v1, v1
	v_exp_f32_e32 v2, v2
	s_waitcnt_depctr 0xfff
	v_dual_add_f32 v0, 1.0, v0 :: v_dual_add_f32 v1, 1.0, v1
	v_add_f32_e32 v2, 1.0, v2
	s_delay_alu instid0(VALU_DEP_2) | instskip(NEXT) | instid1(VALU_DEP_3)
	v_div_scale_f32 v4, null, v0, v0, 1.0
	v_div_scale_f32 v5, null, v1, v1, 1.0
	s_delay_alu instid0(VALU_DEP_3) | instskip(NEXT) | instid1(VALU_DEP_3)
	v_div_scale_f32 v6, null, v2, v2, 1.0
	v_rcp_f32_e32 v11, v4
	s_delay_alu instid0(VALU_DEP_2) | instskip(SKIP_1) | instid1(VALU_DEP_2)
	v_rcp_f32_e32 v12, v5
	v_div_scale_f32 v15, vcc_lo, 1.0, v0, 1.0
	v_rcp_f32_e32 v13, v6
	v_div_scale_f32 v16, s2, 1.0, v1, 1.0
	v_div_scale_f32 v17, s3, 1.0, v2, 1.0
	s_delay_alu instid0(TRANS32_DEP_3) | instskip(SKIP_4) | instid1(VALU_DEP_3)
	v_fma_f32 v10, -v4, v11, 1.0
	s_waitcnt_depctr 0xfff
	v_fma_f32 v18, -v5, v12, 1.0
	v_add_f32_e32 v3, 1.0, v3
	v_fma_f32 v19, -v6, v13, 1.0
	v_fmac_f32_e32 v12, v18, v12
	s_delay_alu instid0(VALU_DEP_3) | instskip(SKIP_1) | instid1(VALU_DEP_2)
	v_div_scale_f32 v7, null, v3, v3, 1.0
	v_div_scale_f32 v21, s4, 1.0, v3, 1.0
	v_rcp_f32_e32 v14, v7
	s_waitcnt_depctr 0xfff
	v_fma_f32 v20, -v7, v14, 1.0
	s_delay_alu instid0(VALU_DEP_1) | instskip(NEXT) | instid1(VALU_DEP_1)
	v_dual_fmac_f32 v11, v10, v11 :: v_dual_fmac_f32 v14, v20, v14
	v_mul_f32_e32 v18, v15, v11
	v_fmac_f32_e32 v13, v19, v13
	s_delay_alu instid0(VALU_DEP_3) | instskip(NEXT) | instid1(VALU_DEP_3)
	v_dual_mul_f32 v19, v16, v12 :: v_dual_mul_f32 v22, v21, v14
	v_fma_f32 v10, -v4, v18, v15
	s_delay_alu instid0(VALU_DEP_2) | instskip(NEXT) | instid1(VALU_DEP_4)
	v_fma_f32 v23, -v5, v19, v16
	v_mul_f32_e32 v20, v17, v13
	s_delay_alu instid0(VALU_DEP_4) | instskip(NEXT) | instid1(VALU_DEP_4)
	v_fma_f32 v25, -v7, v22, v21
	v_fmac_f32_e32 v18, v10, v11
	s_delay_alu instid0(VALU_DEP_4) | instskip(NEXT) | instid1(VALU_DEP_4)
	v_dual_fmac_f32 v19, v23, v12 :: v_dual_lshlrev_b32 v10, 2, v9
	v_fma_f32 v24, -v6, v20, v17
	s_delay_alu instid0(VALU_DEP_4) | instskip(NEXT) | instid1(VALU_DEP_4)
	v_fmac_f32_e32 v22, v25, v14
	v_fma_f32 v4, -v4, v18, v15
	s_delay_alu instid0(VALU_DEP_4) | instskip(NEXT) | instid1(VALU_DEP_4)
	v_fma_f32 v5, -v5, v19, v16
	v_fmac_f32_e32 v20, v24, v13
	s_delay_alu instid0(VALU_DEP_4) | instskip(NEXT) | instid1(VALU_DEP_4)
	v_fma_f32 v7, -v7, v22, v21
	v_div_fmas_f32 v4, v4, v11, v18
	s_mov_b32 vcc_lo, s2
	s_delay_alu instid0(VALU_DEP_3) | instskip(SKIP_1) | instid1(VALU_DEP_3)
	v_fma_f32 v6, -v6, v20, v17
	v_div_fmas_f32 v5, v5, v12, v19
	v_div_fixup_f32 v0, v4, v0, 1.0
	s_mov_b32 vcc_lo, s3
	s_delay_alu instid0(VALU_DEP_3)
	v_div_fmas_f32 v6, v6, v13, v20
	s_mov_b32 vcc_lo, s4
	v_div_fixup_f32 v1, v5, v1, 1.0
	v_div_fmas_f32 v4, v7, v14, v22
	v_cmp_class_f32_e64 vcc_lo, v0, 0x1f8
	v_div_fixup_f32 v2, v6, v2, 1.0
	s_delay_alu instid0(VALU_DEP_3)
	v_div_fixup_f32 v3, v4, v3, 1.0
	v_cndmask_b32_e32 v0, 0, v0, vcc_lo
	v_cmp_class_f32_e64 vcc_lo, v1, 0x1f8
	v_cndmask_b32_e32 v1, 0, v1, vcc_lo
	v_cmp_class_f32_e64 vcc_lo, v2, 0x1f8
	;; [unrolled: 2-line block ×3, first 2 shown]
	v_cndmask_b32_e32 v3, 0, v3, vcc_lo
	s_cbranch_scc1 .LBB200_31
; %bb.4:
	v_lshlrev_b32_e32 v4, 2, v10
	global_load_b128 v[4:7], v4, s[6:7]
	s_waitcnt vmcnt(0)
	v_dual_add_f32 v5, v5, v1 :: v_dual_add_f32 v4, v4, v0
	v_dual_add_f32 v7, v7, v3 :: v_dual_add_f32 v6, v6, v2
	s_cbranch_execnz .LBB200_6
.LBB200_5:
	v_dual_mov_b32 v7, v3 :: v_dual_mov_b32 v6, v2
	v_dual_mov_b32 v5, v1 :: v_dual_mov_b32 v4, v0
.LBB200_6:
	s_load_b128 s[4:7], s[0:1], 0x30
	v_cmp_eq_u32_e64 s2, 0, v9
	s_waitcnt lgkmcnt(0)
	s_bitcmp1_b32 s7, 0
	s_mov_b32 s7, 0
	s_cselect_b32 vcc_lo, -1, 0
	s_cmp_gt_i32 s4, 0
	s_cselect_b32 s3, -1, 0
	s_cmp_lt_i32 s4, 1
	s_cbranch_scc1 .LBB200_32
; %bb.7:
	v_mbcnt_lo_u32_b32 v11, -1, 0
	s_load_b128 s[8:11], s[0:1], 0x20
	s_delay_alu instid0(VALU_DEP_1)
	v_dual_mov_b32 v17, v8 :: v_dual_and_b32 v12, 16, v11
	v_xor_b32_e32 v13, 8, v11
	v_xor_b32_e32 v14, 4, v11
	;; [unrolled: 1-line block ×4, first 2 shown]
	v_add_nc_u32_e32 v12, 16, v12
	s_delay_alu instid0(VALU_DEP_1) | instskip(NEXT) | instid1(VALU_DEP_1)
	v_cmp_lt_i32_e64 s0, v13, v12
	v_cndmask_b32_e64 v13, v11, v13, s0
	v_cmp_lt_i32_e64 s0, v14, v12
	s_delay_alu instid0(VALU_DEP_2) | instskip(NEXT) | instid1(VALU_DEP_2)
	v_lshlrev_b32_e32 v13, 2, v13
	v_cndmask_b32_e64 v14, v11, v14, s0
	v_cmp_lt_i32_e64 s0, v15, v12
	s_delay_alu instid0(VALU_DEP_2) | instskip(NEXT) | instid1(VALU_DEP_2)
	v_lshlrev_b32_e32 v14, 2, v14
	v_cndmask_b32_e64 v15, v11, v15, s0
	v_cmp_lt_i32_e64 s0, v16, v12
	v_mul_lo_u32 v12, v8, s4
	s_delay_alu instid0(VALU_DEP_3) | instskip(NEXT) | instid1(VALU_DEP_3)
	v_lshlrev_b32_e32 v15, 2, v15
	v_cndmask_b32_e64 v11, v11, v16, s0
	s_delay_alu instid0(VALU_DEP_1)
	v_dual_mov_b32 v11, 0 :: v_dual_lshlrev_b32 v16, 2, v11
	s_branch .LBB200_10
.LBB200_8:                              ;   in Loop: Header=BB200_10 Depth=1
	s_or_b32 exec_lo, exec_lo, s1
.LBB200_9:                              ;   in Loop: Header=BB200_10 Depth=1
	v_add_nc_u32_e32 v17, s14, v17
	s_cmp_eq_u32 s4, s7
	s_cbranch_scc1 .LBB200_33
.LBB200_10:                             ; =>This Inner Loop Header: Depth=1
	v_cmp_gt_f32_e64 s0, v5, v4
	s_mov_b32 s17, exec_lo
	s_delay_alu instid0(VALU_DEP_1) | instskip(SKIP_2) | instid1(VALU_DEP_3)
	v_cndmask_b32_e64 v19, v4, v5, s0
	v_cndmask_b32_e64 v18, 0, 1, s0
	v_cndmask_b32_e64 v20, v0, v1, s0
	v_cmp_gt_f32_e64 s1, v6, v19
	s_delay_alu instid0(VALU_DEP_1) | instskip(NEXT) | instid1(VALU_DEP_4)
	v_cndmask_b32_e64 v19, v19, v6, s1
	v_cndmask_b32_e64 v18, v18, 2, s1
	s_waitcnt lgkmcnt(0)
	v_cndmask_b32_e64 v21, v20, v2, s1
	s_delay_alu instid0(VALU_DEP_3) | instskip(NEXT) | instid1(VALU_DEP_1)
	v_cmp_gt_f32_e64 s0, v7, v19
	v_cndmask_b32_e64 v18, v18, 3, s0
	v_cndmask_b32_e64 v20, v19, v7, s0
	s_delay_alu instid0(VALU_DEP_4) | instskip(NEXT) | instid1(VALU_DEP_3)
	v_cndmask_b32_e64 v19, v21, v3, s0
	v_or_b32_e32 v18, v10, v18
	ds_bpermute_b32 v21, v13, v20
	ds_bpermute_b32 v23, v13, v19
	;; [unrolled: 1-line block ×3, first 2 shown]
	s_waitcnt lgkmcnt(0)
	v_cmp_lt_f32_e64 s16, v20, v21
	v_cmpx_nlt_f32_e32 v20, v21
; %bb.11:                               ;   in Loop: Header=BB200_10 Depth=1
	v_cmp_eq_f32_e64 s0, v20, v21
	v_cmp_lt_i32_e64 s1, v22, v18
	s_delay_alu instid0(VALU_DEP_1) | instskip(SKIP_2) | instid1(SALU_CYCLE_1)
	s_and_b32 s0, s0, s1
	s_and_not1_b32 s1, s16, exec_lo
	s_and_b32 s0, s0, exec_lo
	s_or_b32 s16, s1, s0
; %bb.12:                               ;   in Loop: Header=BB200_10 Depth=1
	s_or_b32 exec_lo, exec_lo, s17
	s_and_saveexec_b32 s0, s16
; %bb.13:                               ;   in Loop: Header=BB200_10 Depth=1
	v_dual_mov_b32 v19, v23 :: v_dual_mov_b32 v20, v21
	v_mov_b32_e32 v18, v22
; %bb.14:                               ;   in Loop: Header=BB200_10 Depth=1
	s_or_b32 exec_lo, exec_lo, s0
	ds_bpermute_b32 v21, v14, v20
	ds_bpermute_b32 v23, v14, v19
	;; [unrolled: 1-line block ×3, first 2 shown]
	s_mov_b32 s17, exec_lo
	s_waitcnt lgkmcnt(2)
	v_cmp_lt_f32_e64 s16, v20, v21
	v_cmpx_nlt_f32_e32 v20, v21
	s_cbranch_execz .LBB200_16
; %bb.15:                               ;   in Loop: Header=BB200_10 Depth=1
	v_cmp_eq_f32_e64 s0, v20, v21
	s_waitcnt lgkmcnt(0)
	v_cmp_lt_i32_e64 s1, v22, v18
	s_delay_alu instid0(VALU_DEP_1) | instskip(SKIP_2) | instid1(SALU_CYCLE_1)
	s_and_b32 s0, s0, s1
	s_and_not1_b32 s1, s16, exec_lo
	s_and_b32 s0, s0, exec_lo
	s_or_b32 s16, s1, s0
.LBB200_16:                             ;   in Loop: Header=BB200_10 Depth=1
	s_or_b32 exec_lo, exec_lo, s17
	s_delay_alu instid0(VALU_DEP_2)
	s_and_saveexec_b32 s0, s16
	s_cbranch_execz .LBB200_18
; %bb.17:                               ;   in Loop: Header=BB200_10 Depth=1
	s_waitcnt lgkmcnt(1)
	v_dual_mov_b32 v19, v23 :: v_dual_mov_b32 v20, v21
	s_waitcnt lgkmcnt(0)
	v_mov_b32_e32 v18, v22
.LBB200_18:                             ;   in Loop: Header=BB200_10 Depth=1
	s_or_b32 exec_lo, exec_lo, s0
	ds_bpermute_b32 v21, v15, v20
	s_waitcnt lgkmcnt(2)
	ds_bpermute_b32 v23, v15, v19
	s_waitcnt lgkmcnt(2)
	ds_bpermute_b32 v22, v15, v18
	s_mov_b32 s17, exec_lo
	s_waitcnt lgkmcnt(2)
	v_cmp_lt_f32_e64 s16, v20, v21
	v_cmpx_nlt_f32_e32 v20, v21
	s_cbranch_execz .LBB200_20
; %bb.19:                               ;   in Loop: Header=BB200_10 Depth=1
	v_cmp_eq_f32_e64 s0, v20, v21
	s_waitcnt lgkmcnt(0)
	v_cmp_lt_i32_e64 s1, v22, v18
	s_delay_alu instid0(VALU_DEP_1) | instskip(SKIP_2) | instid1(SALU_CYCLE_1)
	s_and_b32 s0, s0, s1
	s_and_not1_b32 s1, s16, exec_lo
	s_and_b32 s0, s0, exec_lo
	s_or_b32 s16, s1, s0
.LBB200_20:                             ;   in Loop: Header=BB200_10 Depth=1
	s_or_b32 exec_lo, exec_lo, s17
	s_delay_alu instid0(VALU_DEP_2)
	s_and_saveexec_b32 s0, s16
	s_cbranch_execz .LBB200_22
; %bb.21:                               ;   in Loop: Header=BB200_10 Depth=1
	s_waitcnt lgkmcnt(1)
	v_dual_mov_b32 v19, v23 :: v_dual_mov_b32 v20, v21
	s_waitcnt lgkmcnt(0)
	v_mov_b32_e32 v18, v22
.LBB200_22:                             ;   in Loop: Header=BB200_10 Depth=1
	s_or_b32 exec_lo, exec_lo, s0
	s_waitcnt lgkmcnt(1)
	ds_bpermute_b32 v23, v16, v20
	ds_bpermute_b32 v21, v16, v19
	s_waitcnt lgkmcnt(2)
	ds_bpermute_b32 v22, v16, v18
	s_mov_b32 s17, exec_lo
	s_waitcnt lgkmcnt(2)
	v_cmp_lt_f32_e64 s16, v20, v23
	v_cmpx_nlt_f32_e32 v20, v23
	s_cbranch_execnz .LBB200_26
; %bb.23:                               ;   in Loop: Header=BB200_10 Depth=1
	s_or_b32 exec_lo, exec_lo, s17
	s_delay_alu instid0(VALU_DEP_2)
	s_and_saveexec_b32 s0, s16
	s_cbranch_execnz .LBB200_27
.LBB200_24:                             ;   in Loop: Header=BB200_10 Depth=1
	s_or_b32 exec_lo, exec_lo, s0
	s_and_saveexec_b32 s16, s2
	s_cbranch_execnz .LBB200_28
.LBB200_25:                             ;   in Loop: Header=BB200_10 Depth=1
	s_or_b32 exec_lo, exec_lo, s16
	s_add_i32 s7, s7, 1
	s_delay_alu instid0(SALU_CYCLE_1)
	s_cmp_ge_i32 s7, s4
	s_cbranch_scc1 .LBB200_9
	s_branch .LBB200_29
.LBB200_26:                             ;   in Loop: Header=BB200_10 Depth=1
	v_cmp_eq_f32_e64 s0, v20, v23
	s_waitcnt lgkmcnt(0)
	v_cmp_lt_i32_e64 s1, v22, v18
	s_delay_alu instid0(VALU_DEP_1) | instskip(SKIP_2) | instid1(SALU_CYCLE_1)
	s_and_b32 s0, s0, s1
	s_and_not1_b32 s1, s16, exec_lo
	s_and_b32 s0, s0, exec_lo
	s_or_b32 s16, s1, s0
	s_or_b32 exec_lo, exec_lo, s17
	s_and_saveexec_b32 s0, s16
	s_cbranch_execz .LBB200_24
.LBB200_27:                             ;   in Loop: Header=BB200_10 Depth=1
	s_waitcnt lgkmcnt(0)
	v_dual_mov_b32 v18, v22 :: v_dual_mov_b32 v19, v21
	s_or_b32 exec_lo, exec_lo, s0
	s_and_saveexec_b32 s16, s2
	s_cbranch_execz .LBB200_25
.LBB200_28:                             ;   in Loop: Header=BB200_10 Depth=1
	s_delay_alu instid0(VALU_DEP_1)
	v_dual_add_f32 v27, v11, v19 :: v_dual_add_nc_u32 v20, s7, v12
	v_cmp_le_i32_e64 s0, s5, v18
	v_cmp_gt_i32_e64 s1, s6, v18
	s_waitcnt lgkmcnt(0)
	v_subrev_nc_u32_e32 v22, s5, v18
	v_ashrrev_i32_e32 v21, 31, v20
	v_cndmask_b32_e32 v11, v11, v27, vcc_lo
	s_and_b32 s0, s0, s1
	s_delay_alu instid0(SALU_CYCLE_1) | instskip(NEXT) | instid1(VALU_DEP_2)
	s_and_b32 s0, s15, s0
	v_lshlrev_b64 v[20:21], 2, v[20:21]
	v_cndmask_b32_e64 v26, 64, v22, s0
	s_delay_alu instid0(VALU_DEP_2) | instskip(NEXT) | instid1(VALU_DEP_1)
	v_add_co_u32 v22, s0, s12, v20
	v_add_co_ci_u32_e64 v23, s0, s13, v21, s0
	v_add_co_u32 v24, s0, s8, v20
	s_delay_alu instid0(VALU_DEP_1) | instskip(SKIP_1) | instid1(VALU_DEP_1)
	v_add_co_ci_u32_e64 v25, s0, s9, v21, s0
	v_add_co_u32 v20, s0, s10, v20
	v_add_co_ci_u32_e64 v21, s0, s11, v21, s0
	global_store_b32 v[22:23], v19, off
	global_store_b32 v[24:25], v26, off
	;; [unrolled: 1-line block ×3, first 2 shown]
	s_or_b32 exec_lo, exec_lo, s16
	s_add_i32 s7, s7, 1
	s_delay_alu instid0(SALU_CYCLE_1)
	s_cmp_ge_i32 s7, s4
	s_cbranch_scc1 .LBB200_9
.LBB200_29:                             ;   in Loop: Header=BB200_10 Depth=1
	v_ashrrev_i32_e32 v19, 31, v18
	s_mov_b32 s1, exec_lo
	s_delay_alu instid0(VALU_DEP_1) | instskip(NEXT) | instid1(VALU_DEP_1)
	v_lshrrev_b32_e32 v20, 30, v19
	v_add_nc_u32_e32 v20, v18, v20
	s_waitcnt lgkmcnt(1)
	s_delay_alu instid0(VALU_DEP_1) | instskip(SKIP_1) | instid1(VALU_DEP_2)
	v_ashrrev_i32_e32 v21, 31, v20
	v_ashrrev_i32_e32 v20, 2, v20
	v_lshrrev_b32_e32 v21, 28, v21
	s_delay_alu instid0(VALU_DEP_1) | instskip(NEXT) | instid1(VALU_DEP_1)
	v_add_nc_u32_e32 v21, v20, v21
	v_and_b32_e32 v21, -16, v21
	s_delay_alu instid0(VALU_DEP_1) | instskip(NEXT) | instid1(VALU_DEP_1)
	v_sub_nc_u32_e32 v21, v20, v21
	v_cmpx_eq_u32_e64 v9, v21
	s_cbranch_execz .LBB200_8
; %bb.30:                               ;   in Loop: Header=BB200_10 Depth=1
	v_lshrrev_b32_e32 v19, 26, v19
	v_lshlrev_b32_e32 v20, 2, v20
	s_delay_alu instid0(VALU_DEP_2) | instskip(NEXT) | instid1(VALU_DEP_2)
	v_add_nc_u32_e32 v19, v18, v19
	v_sub_nc_u32_e32 v18, v18, v20
	s_delay_alu instid0(VALU_DEP_2) | instskip(NEXT) | instid1(VALU_DEP_1)
	v_ashrrev_i32_e32 v19, 6, v19
	v_lshl_add_u32 v18, v19, 2, v18
	s_delay_alu instid0(VALU_DEP_1) | instskip(NEXT) | instid1(VALU_DEP_1)
	v_cmp_ne_u32_e64 s0, 3, v18
	v_cndmask_b32_e64 v7, 0xc61c4000, v7, s0
	v_cmp_ne_u32_e64 s0, 2, v18
	s_delay_alu instid0(VALU_DEP_1) | instskip(SKIP_1) | instid1(VALU_DEP_1)
	v_cndmask_b32_e64 v6, 0xc61c4000, v6, s0
	v_cmp_ne_u32_e64 s0, 1, v18
	v_cndmask_b32_e64 v5, 0xc61c4000, v5, s0
	v_cmp_ne_u32_e64 s0, 0, v18
	s_delay_alu instid0(VALU_DEP_1)
	v_cndmask_b32_e64 v4, 0xc61c4000, v4, s0
	s_branch .LBB200_8
.LBB200_31:
                                        ; implicit-def: $vgpr4_vgpr5_vgpr6_vgpr7
	s_and_not1_b32 vcc_lo, exec_lo, s8
	s_cbranch_vccz .LBB200_5
	s_branch .LBB200_6
.LBB200_32:
	v_mov_b32_e32 v11, 0
.LBB200_33:
	v_cmp_eq_u32_e64 s0, 0, v9
	s_delay_alu instid0(VALU_DEP_1) | instskip(NEXT) | instid1(SALU_CYCLE_1)
	s_and_b32 s0, s0, vcc_lo
	s_and_b32 exec_lo, exec_lo, s0
	s_cbranch_execz .LBB200_37
; %bb.34:
	s_and_not1_b32 vcc_lo, exec_lo, s3
	s_cbranch_vccnz .LBB200_37
; %bb.35:
	v_mul_lo_u32 v0, v8, s4
	v_cmp_lt_f32_e32 vcc_lo, 0, v11
	v_cndmask_b32_e32 v2, 1.0, v11, vcc_lo
	s_delay_alu instid0(VALU_DEP_3) | instskip(NEXT) | instid1(VALU_DEP_1)
	v_ashrrev_i32_e32 v1, 31, v0
	v_lshlrev_b64 v[0:1], 2, v[0:1]
	s_delay_alu instid0(VALU_DEP_1) | instskip(NEXT) | instid1(VALU_DEP_2)
	v_add_co_u32 v0, vcc_lo, s12, v0
	v_add_co_ci_u32_e32 v1, vcc_lo, s13, v1, vcc_lo
	.p2align	6
.LBB200_36:                             ; =>This Inner Loop Header: Depth=1
	global_load_b32 v3, v[0:1], off
	s_add_i32 s4, s4, -1
	s_delay_alu instid0(SALU_CYCLE_1) | instskip(SKIP_3) | instid1(VALU_DEP_2)
	s_cmp_lg_u32 s4, 0
	s_waitcnt vmcnt(0)
	v_div_scale_f32 v4, null, v2, v2, v3
	v_div_scale_f32 v7, vcc_lo, v3, v2, v3
	v_rcp_f32_e32 v5, v4
	s_waitcnt_depctr 0xfff
	v_fma_f32 v6, -v4, v5, 1.0
	s_delay_alu instid0(VALU_DEP_1) | instskip(NEXT) | instid1(VALU_DEP_1)
	v_fmac_f32_e32 v5, v6, v5
	v_mul_f32_e32 v6, v7, v5
	s_delay_alu instid0(VALU_DEP_1) | instskip(NEXT) | instid1(VALU_DEP_1)
	v_fma_f32 v8, -v4, v6, v7
	v_fmac_f32_e32 v6, v8, v5
	s_delay_alu instid0(VALU_DEP_1) | instskip(NEXT) | instid1(VALU_DEP_1)
	v_fma_f32 v4, -v4, v6, v7
	v_div_fmas_f32 v4, v4, v5, v6
	s_delay_alu instid0(VALU_DEP_1)
	v_div_fixup_f32 v3, v4, v2, v3
	global_store_b32 v[0:1], v3, off
	v_add_co_u32 v0, vcc_lo, v0, 4
	v_add_co_ci_u32_e32 v1, vcc_lo, 0, v1, vcc_lo
	s_cbranch_scc1 .LBB200_36
.LBB200_37:
	s_nop 0
	s_sendmsg sendmsg(MSG_DEALLOC_VGPRS)
	s_endpgm
	.section	.rodata,"a",@progbits
	.p2align	6, 0x0
	.amdhsa_kernel _ZN4vllm3moe10topkGatingILi4ELi64ELi4ELi16ELi64EifLNS0_11ScoringFuncE1EEEvPKT5_PKbPfiPT4_PiiiibPKf
		.amdhsa_group_segment_fixed_size 0
		.amdhsa_private_segment_fixed_size 0
		.amdhsa_kernarg_size 72
		.amdhsa_user_sgpr_count 15
		.amdhsa_user_sgpr_dispatch_ptr 0
		.amdhsa_user_sgpr_queue_ptr 0
		.amdhsa_user_sgpr_kernarg_segment_ptr 1
		.amdhsa_user_sgpr_dispatch_id 0
		.amdhsa_user_sgpr_private_segment_size 0
		.amdhsa_wavefront_size32 1
		.amdhsa_uses_dynamic_stack 0
		.amdhsa_enable_private_segment 0
		.amdhsa_system_sgpr_workgroup_id_x 1
		.amdhsa_system_sgpr_workgroup_id_y 0
		.amdhsa_system_sgpr_workgroup_id_z 0
		.amdhsa_system_sgpr_workgroup_info 0
		.amdhsa_system_vgpr_workitem_id 1
		.amdhsa_next_free_vgpr 28
		.amdhsa_next_free_sgpr 18
		.amdhsa_reserve_vcc 1
		.amdhsa_float_round_mode_32 0
		.amdhsa_float_round_mode_16_64 0
		.amdhsa_float_denorm_mode_32 3
		.amdhsa_float_denorm_mode_16_64 3
		.amdhsa_dx10_clamp 1
		.amdhsa_ieee_mode 1
		.amdhsa_fp16_overflow 0
		.amdhsa_workgroup_processor_mode 1
		.amdhsa_memory_ordered 1
		.amdhsa_forward_progress 0
		.amdhsa_shared_vgpr_count 0
		.amdhsa_exception_fp_ieee_invalid_op 0
		.amdhsa_exception_fp_denorm_src 0
		.amdhsa_exception_fp_ieee_div_zero 0
		.amdhsa_exception_fp_ieee_overflow 0
		.amdhsa_exception_fp_ieee_underflow 0
		.amdhsa_exception_fp_ieee_inexact 0
		.amdhsa_exception_int_div_zero 0
	.end_amdhsa_kernel
	.section	.text._ZN4vllm3moe10topkGatingILi4ELi64ELi4ELi16ELi64EifLNS0_11ScoringFuncE1EEEvPKT5_PKbPfiPT4_PiiiibPKf,"axG",@progbits,_ZN4vllm3moe10topkGatingILi4ELi64ELi4ELi16ELi64EifLNS0_11ScoringFuncE1EEEvPKT5_PKbPfiPT4_PiiiibPKf,comdat
.Lfunc_end200:
	.size	_ZN4vllm3moe10topkGatingILi4ELi64ELi4ELi16ELi64EifLNS0_11ScoringFuncE1EEEvPKT5_PKbPfiPT4_PiiiibPKf, .Lfunc_end200-_ZN4vllm3moe10topkGatingILi4ELi64ELi4ELi16ELi64EifLNS0_11ScoringFuncE1EEEvPKT5_PKbPfiPT4_PiiiibPKf
                                        ; -- End function
	.section	.AMDGPU.csdata,"",@progbits
; Kernel info:
; codeLenInByte = 2344
; NumSgprs: 20
; NumVgprs: 28
; ScratchSize: 0
; MemoryBound: 0
; FloatMode: 240
; IeeeMode: 1
; LDSByteSize: 0 bytes/workgroup (compile time only)
; SGPRBlocks: 2
; VGPRBlocks: 3
; NumSGPRsForWavesPerEU: 20
; NumVGPRsForWavesPerEU: 28
; Occupancy: 16
; WaveLimiterHint : 0
; COMPUTE_PGM_RSRC2:SCRATCH_EN: 0
; COMPUTE_PGM_RSRC2:USER_SGPR: 15
; COMPUTE_PGM_RSRC2:TRAP_HANDLER: 0
; COMPUTE_PGM_RSRC2:TGID_X_EN: 1
; COMPUTE_PGM_RSRC2:TGID_Y_EN: 0
; COMPUTE_PGM_RSRC2:TGID_Z_EN: 0
; COMPUTE_PGM_RSRC2:TIDIG_COMP_CNT: 1
	.section	.text._ZN4vllm3moe10topkGatingILi4ELi64ELi4ELi16ELi32EifLNS0_11ScoringFuncE1EEEvPKT5_PKbPfiPT4_PiiiibPKf,"axG",@progbits,_ZN4vllm3moe10topkGatingILi4ELi64ELi4ELi16ELi32EifLNS0_11ScoringFuncE1EEEvPKT5_PKbPfiPT4_PiiiibPKf,comdat
	.protected	_ZN4vllm3moe10topkGatingILi4ELi64ELi4ELi16ELi32EifLNS0_11ScoringFuncE1EEEvPKT5_PKbPfiPT4_PiiiibPKf ; -- Begin function _ZN4vllm3moe10topkGatingILi4ELi64ELi4ELi16ELi32EifLNS0_11ScoringFuncE1EEEvPKT5_PKbPfiPT4_PiiiibPKf
	.globl	_ZN4vllm3moe10topkGatingILi4ELi64ELi4ELi16ELi32EifLNS0_11ScoringFuncE1EEEvPKT5_PKbPfiPT4_PiiiibPKf
	.p2align	8
	.type	_ZN4vllm3moe10topkGatingILi4ELi64ELi4ELi16ELi32EifLNS0_11ScoringFuncE1EEEvPKT5_PKbPfiPT4_PiiiibPKf,@function
_ZN4vllm3moe10topkGatingILi4ELi64ELi4ELi16ELi32EifLNS0_11ScoringFuncE1EEEvPKT5_PKbPfiPT4_PiiiibPKf: ; @_ZN4vllm3moe10topkGatingILi4ELi64ELi4ELi16ELi32EifLNS0_11ScoringFuncE1EEEvPKT5_PKbPfiPT4_PiiiibPKf
; %bb.0:
	s_load_b32 s14, s[0:1], 0x18
	v_bfe_u32 v1, v0, 10, 10
	v_and_b32_e32 v0, 0x3ff, v0
	s_lshl_b32 s2, s15, 3
	s_delay_alu instid0(VALU_DEP_2) | instskip(NEXT) | instid1(VALU_DEP_2)
	v_lshlrev_b32_e32 v1, 1, v1
	v_lshrrev_b32_e32 v2, 4, v0
	s_delay_alu instid0(VALU_DEP_1) | instskip(SKIP_2) | instid1(VALU_DEP_1)
	v_add3_u32 v8, s2, v1, v2
	s_mov_b32 s2, exec_lo
	s_waitcnt lgkmcnt(0)
	v_cmpx_gt_i32_e64 s14, v8
	s_cbranch_execz .LBB201_37
; %bb.1:
	s_clause 0x1
	s_load_b128 s[4:7], s[0:1], 0x0
	s_load_b64 s[12:13], s[0:1], 0x10
	s_mov_b32 s8, -1
	s_mov_b32 s15, -1
	s_waitcnt lgkmcnt(0)
	s_cmp_eq_u64 s[6:7], 0
	s_cbranch_scc1 .LBB201_3
; %bb.2:
	v_ashrrev_i32_e32 v2, 31, v8
	v_add_co_u32 v1, vcc_lo, s6, v8
	s_delay_alu instid0(VALU_DEP_2) | instskip(SKIP_3) | instid1(VALU_DEP_1)
	v_add_co_ci_u32_e32 v2, vcc_lo, s7, v2, vcc_lo
	global_load_u8 v1, v[1:2], off
	s_waitcnt vmcnt(0)
	v_and_b32_e32 v1, 1, v1
	v_cmp_eq_u32_e32 vcc_lo, 1, v1
	s_xor_b32 s2, vcc_lo, -1
	s_delay_alu instid0(SALU_CYCLE_1)
	s_or_not1_b32 s15, s2, exec_lo
.LBB201_3:
	v_lshlrev_b32_e32 v1, 6, v8
	v_and_b32_e32 v9, 15, v0
	s_load_b64 s[6:7], s[0:1], 0x40
	s_delay_alu instid0(VALU_DEP_2) | instskip(NEXT) | instid1(VALU_DEP_1)
	v_ashrrev_i32_e32 v2, 31, v1
	v_lshlrev_b64 v[0:1], 2, v[1:2]
	s_delay_alu instid0(VALU_DEP_3) | instskip(NEXT) | instid1(VALU_DEP_2)
	v_lshlrev_b32_e32 v2, 4, v9
	v_add_co_u32 v0, vcc_lo, s4, v0
	s_delay_alu instid0(VALU_DEP_3) | instskip(NEXT) | instid1(VALU_DEP_2)
	v_add_co_ci_u32_e32 v1, vcc_lo, s5, v1, vcc_lo
	v_add_co_u32 v0, vcc_lo, v0, v2
	s_delay_alu instid0(VALU_DEP_2)
	v_add_co_ci_u32_e32 v1, vcc_lo, 0, v1, vcc_lo
	s_waitcnt lgkmcnt(0)
	s_cmp_eq_u64 s[6:7], 0
	global_load_b128 v[0:3], v[0:1], off
	s_waitcnt vmcnt(0)
	v_dual_mul_f32 v3, 0xbfb8aa3b, v3 :: v_dual_mul_f32 v0, 0xbfb8aa3b, v0
	v_dual_mul_f32 v1, 0xbfb8aa3b, v1 :: v_dual_mul_f32 v2, 0xbfb8aa3b, v2
	s_delay_alu instid0(VALU_DEP_2) | instskip(NEXT) | instid1(VALU_DEP_2)
	v_exp_f32_e32 v3, v3
	v_exp_f32_e32 v0, v0
	s_delay_alu instid0(VALU_DEP_1) | instskip(NEXT) | instid1(VALU_DEP_1)
	v_exp_f32_e32 v1, v1
	v_exp_f32_e32 v2, v2
	s_waitcnt_depctr 0xfff
	v_dual_add_f32 v0, 1.0, v0 :: v_dual_add_f32 v1, 1.0, v1
	v_add_f32_e32 v2, 1.0, v2
	s_delay_alu instid0(VALU_DEP_2) | instskip(NEXT) | instid1(VALU_DEP_3)
	v_div_scale_f32 v4, null, v0, v0, 1.0
	v_div_scale_f32 v5, null, v1, v1, 1.0
	s_delay_alu instid0(VALU_DEP_3) | instskip(NEXT) | instid1(VALU_DEP_3)
	v_div_scale_f32 v6, null, v2, v2, 1.0
	v_rcp_f32_e32 v11, v4
	s_delay_alu instid0(VALU_DEP_2) | instskip(SKIP_1) | instid1(VALU_DEP_2)
	v_rcp_f32_e32 v12, v5
	v_div_scale_f32 v15, vcc_lo, 1.0, v0, 1.0
	v_rcp_f32_e32 v13, v6
	v_div_scale_f32 v16, s2, 1.0, v1, 1.0
	v_div_scale_f32 v17, s3, 1.0, v2, 1.0
	s_delay_alu instid0(TRANS32_DEP_3) | instskip(SKIP_4) | instid1(VALU_DEP_3)
	v_fma_f32 v10, -v4, v11, 1.0
	s_waitcnt_depctr 0xfff
	v_fma_f32 v18, -v5, v12, 1.0
	v_add_f32_e32 v3, 1.0, v3
	v_fma_f32 v19, -v6, v13, 1.0
	v_fmac_f32_e32 v12, v18, v12
	s_delay_alu instid0(VALU_DEP_3) | instskip(SKIP_1) | instid1(VALU_DEP_2)
	v_div_scale_f32 v7, null, v3, v3, 1.0
	v_div_scale_f32 v21, s4, 1.0, v3, 1.0
	v_rcp_f32_e32 v14, v7
	s_waitcnt_depctr 0xfff
	v_fma_f32 v20, -v7, v14, 1.0
	s_delay_alu instid0(VALU_DEP_1) | instskip(NEXT) | instid1(VALU_DEP_1)
	v_dual_fmac_f32 v11, v10, v11 :: v_dual_fmac_f32 v14, v20, v14
	v_mul_f32_e32 v18, v15, v11
	v_fmac_f32_e32 v13, v19, v13
	s_delay_alu instid0(VALU_DEP_3) | instskip(NEXT) | instid1(VALU_DEP_3)
	v_dual_mul_f32 v19, v16, v12 :: v_dual_mul_f32 v22, v21, v14
	v_fma_f32 v10, -v4, v18, v15
	s_delay_alu instid0(VALU_DEP_2) | instskip(NEXT) | instid1(VALU_DEP_4)
	v_fma_f32 v23, -v5, v19, v16
	v_mul_f32_e32 v20, v17, v13
	s_delay_alu instid0(VALU_DEP_4) | instskip(NEXT) | instid1(VALU_DEP_4)
	v_fma_f32 v25, -v7, v22, v21
	v_fmac_f32_e32 v18, v10, v11
	s_delay_alu instid0(VALU_DEP_4) | instskip(NEXT) | instid1(VALU_DEP_4)
	v_dual_fmac_f32 v19, v23, v12 :: v_dual_lshlrev_b32 v10, 2, v9
	v_fma_f32 v24, -v6, v20, v17
	s_delay_alu instid0(VALU_DEP_4) | instskip(NEXT) | instid1(VALU_DEP_4)
	v_fmac_f32_e32 v22, v25, v14
	v_fma_f32 v4, -v4, v18, v15
	s_delay_alu instid0(VALU_DEP_4) | instskip(NEXT) | instid1(VALU_DEP_4)
	v_fma_f32 v5, -v5, v19, v16
	v_fmac_f32_e32 v20, v24, v13
	s_delay_alu instid0(VALU_DEP_4) | instskip(NEXT) | instid1(VALU_DEP_4)
	v_fma_f32 v7, -v7, v22, v21
	v_div_fmas_f32 v4, v4, v11, v18
	s_mov_b32 vcc_lo, s2
	s_delay_alu instid0(VALU_DEP_3) | instskip(SKIP_1) | instid1(VALU_DEP_3)
	v_fma_f32 v6, -v6, v20, v17
	v_div_fmas_f32 v5, v5, v12, v19
	v_div_fixup_f32 v0, v4, v0, 1.0
	s_mov_b32 vcc_lo, s3
	s_delay_alu instid0(VALU_DEP_3)
	v_div_fmas_f32 v6, v6, v13, v20
	s_mov_b32 vcc_lo, s4
	v_div_fixup_f32 v1, v5, v1, 1.0
	v_div_fmas_f32 v4, v7, v14, v22
	v_cmp_class_f32_e64 vcc_lo, v0, 0x1f8
	v_div_fixup_f32 v2, v6, v2, 1.0
	s_delay_alu instid0(VALU_DEP_3)
	v_div_fixup_f32 v3, v4, v3, 1.0
	v_cndmask_b32_e32 v0, 0, v0, vcc_lo
	v_cmp_class_f32_e64 vcc_lo, v1, 0x1f8
	v_cndmask_b32_e32 v1, 0, v1, vcc_lo
	v_cmp_class_f32_e64 vcc_lo, v2, 0x1f8
	;; [unrolled: 2-line block ×3, first 2 shown]
	v_cndmask_b32_e32 v3, 0, v3, vcc_lo
	s_cbranch_scc1 .LBB201_31
; %bb.4:
	v_lshlrev_b32_e32 v4, 2, v10
	global_load_b128 v[4:7], v4, s[6:7]
	s_waitcnt vmcnt(0)
	v_dual_add_f32 v5, v5, v1 :: v_dual_add_f32 v4, v4, v0
	v_dual_add_f32 v7, v7, v3 :: v_dual_add_f32 v6, v6, v2
	s_cbranch_execnz .LBB201_6
.LBB201_5:
	v_dual_mov_b32 v7, v3 :: v_dual_mov_b32 v6, v2
	v_dual_mov_b32 v5, v1 :: v_dual_mov_b32 v4, v0
.LBB201_6:
	s_load_b128 s[4:7], s[0:1], 0x30
	v_cmp_eq_u32_e64 s2, 0, v9
	s_waitcnt lgkmcnt(0)
	s_bitcmp1_b32 s7, 0
	s_mov_b32 s7, 0
	s_cselect_b32 vcc_lo, -1, 0
	s_cmp_gt_i32 s4, 0
	s_cselect_b32 s3, -1, 0
	s_cmp_lt_i32 s4, 1
	s_cbranch_scc1 .LBB201_32
; %bb.7:
	v_mbcnt_lo_u32_b32 v11, -1, 0
	s_load_b128 s[8:11], s[0:1], 0x20
	s_delay_alu instid0(VALU_DEP_1)
	v_dual_mov_b32 v17, v8 :: v_dual_and_b32 v12, 16, v11
	v_xor_b32_e32 v13, 8, v11
	v_xor_b32_e32 v14, 4, v11
	;; [unrolled: 1-line block ×4, first 2 shown]
	v_add_nc_u32_e32 v12, 16, v12
	s_delay_alu instid0(VALU_DEP_1) | instskip(NEXT) | instid1(VALU_DEP_1)
	v_cmp_lt_i32_e64 s0, v13, v12
	v_cndmask_b32_e64 v13, v11, v13, s0
	v_cmp_lt_i32_e64 s0, v14, v12
	s_delay_alu instid0(VALU_DEP_2) | instskip(NEXT) | instid1(VALU_DEP_2)
	v_lshlrev_b32_e32 v13, 2, v13
	v_cndmask_b32_e64 v14, v11, v14, s0
	v_cmp_lt_i32_e64 s0, v15, v12
	s_delay_alu instid0(VALU_DEP_2) | instskip(NEXT) | instid1(VALU_DEP_2)
	v_lshlrev_b32_e32 v14, 2, v14
	v_cndmask_b32_e64 v15, v11, v15, s0
	v_cmp_lt_i32_e64 s0, v16, v12
	v_mul_lo_u32 v12, v8, s4
	s_delay_alu instid0(VALU_DEP_3) | instskip(NEXT) | instid1(VALU_DEP_3)
	v_lshlrev_b32_e32 v15, 2, v15
	v_cndmask_b32_e64 v11, v11, v16, s0
	s_delay_alu instid0(VALU_DEP_1)
	v_dual_mov_b32 v11, 0 :: v_dual_lshlrev_b32 v16, 2, v11
	s_branch .LBB201_10
.LBB201_8:                              ;   in Loop: Header=BB201_10 Depth=1
	s_or_b32 exec_lo, exec_lo, s1
.LBB201_9:                              ;   in Loop: Header=BB201_10 Depth=1
	v_add_nc_u32_e32 v17, s14, v17
	s_cmp_eq_u32 s4, s7
	s_cbranch_scc1 .LBB201_33
.LBB201_10:                             ; =>This Inner Loop Header: Depth=1
	v_cmp_gt_f32_e64 s0, v5, v4
	s_mov_b32 s17, exec_lo
	s_delay_alu instid0(VALU_DEP_1) | instskip(SKIP_2) | instid1(VALU_DEP_3)
	v_cndmask_b32_e64 v19, v4, v5, s0
	v_cndmask_b32_e64 v18, 0, 1, s0
	v_cndmask_b32_e64 v20, v0, v1, s0
	v_cmp_gt_f32_e64 s1, v6, v19
	s_delay_alu instid0(VALU_DEP_1) | instskip(NEXT) | instid1(VALU_DEP_4)
	v_cndmask_b32_e64 v19, v19, v6, s1
	v_cndmask_b32_e64 v18, v18, 2, s1
	s_waitcnt lgkmcnt(0)
	v_cndmask_b32_e64 v21, v20, v2, s1
	s_delay_alu instid0(VALU_DEP_3) | instskip(NEXT) | instid1(VALU_DEP_1)
	v_cmp_gt_f32_e64 s0, v7, v19
	v_cndmask_b32_e64 v18, v18, 3, s0
	v_cndmask_b32_e64 v20, v19, v7, s0
	s_delay_alu instid0(VALU_DEP_4) | instskip(NEXT) | instid1(VALU_DEP_3)
	v_cndmask_b32_e64 v19, v21, v3, s0
	v_or_b32_e32 v18, v10, v18
	ds_bpermute_b32 v21, v13, v20
	ds_bpermute_b32 v23, v13, v19
	;; [unrolled: 1-line block ×3, first 2 shown]
	s_waitcnt lgkmcnt(0)
	v_cmp_lt_f32_e64 s16, v20, v21
	v_cmpx_nlt_f32_e32 v20, v21
; %bb.11:                               ;   in Loop: Header=BB201_10 Depth=1
	v_cmp_eq_f32_e64 s0, v20, v21
	v_cmp_lt_i32_e64 s1, v22, v18
	s_delay_alu instid0(VALU_DEP_1) | instskip(SKIP_2) | instid1(SALU_CYCLE_1)
	s_and_b32 s0, s0, s1
	s_and_not1_b32 s1, s16, exec_lo
	s_and_b32 s0, s0, exec_lo
	s_or_b32 s16, s1, s0
; %bb.12:                               ;   in Loop: Header=BB201_10 Depth=1
	s_or_b32 exec_lo, exec_lo, s17
	s_and_saveexec_b32 s0, s16
; %bb.13:                               ;   in Loop: Header=BB201_10 Depth=1
	v_dual_mov_b32 v19, v23 :: v_dual_mov_b32 v20, v21
	v_mov_b32_e32 v18, v22
; %bb.14:                               ;   in Loop: Header=BB201_10 Depth=1
	s_or_b32 exec_lo, exec_lo, s0
	ds_bpermute_b32 v21, v14, v20
	ds_bpermute_b32 v23, v14, v19
	;; [unrolled: 1-line block ×3, first 2 shown]
	s_mov_b32 s17, exec_lo
	s_waitcnt lgkmcnt(2)
	v_cmp_lt_f32_e64 s16, v20, v21
	v_cmpx_nlt_f32_e32 v20, v21
	s_cbranch_execz .LBB201_16
; %bb.15:                               ;   in Loop: Header=BB201_10 Depth=1
	v_cmp_eq_f32_e64 s0, v20, v21
	s_waitcnt lgkmcnt(0)
	v_cmp_lt_i32_e64 s1, v22, v18
	s_delay_alu instid0(VALU_DEP_1) | instskip(SKIP_2) | instid1(SALU_CYCLE_1)
	s_and_b32 s0, s0, s1
	s_and_not1_b32 s1, s16, exec_lo
	s_and_b32 s0, s0, exec_lo
	s_or_b32 s16, s1, s0
.LBB201_16:                             ;   in Loop: Header=BB201_10 Depth=1
	s_or_b32 exec_lo, exec_lo, s17
	s_delay_alu instid0(VALU_DEP_2)
	s_and_saveexec_b32 s0, s16
	s_cbranch_execz .LBB201_18
; %bb.17:                               ;   in Loop: Header=BB201_10 Depth=1
	s_waitcnt lgkmcnt(1)
	v_dual_mov_b32 v19, v23 :: v_dual_mov_b32 v20, v21
	s_waitcnt lgkmcnt(0)
	v_mov_b32_e32 v18, v22
.LBB201_18:                             ;   in Loop: Header=BB201_10 Depth=1
	s_or_b32 exec_lo, exec_lo, s0
	ds_bpermute_b32 v21, v15, v20
	s_waitcnt lgkmcnt(2)
	ds_bpermute_b32 v23, v15, v19
	s_waitcnt lgkmcnt(2)
	ds_bpermute_b32 v22, v15, v18
	s_mov_b32 s17, exec_lo
	s_waitcnt lgkmcnt(2)
	v_cmp_lt_f32_e64 s16, v20, v21
	v_cmpx_nlt_f32_e32 v20, v21
	s_cbranch_execz .LBB201_20
; %bb.19:                               ;   in Loop: Header=BB201_10 Depth=1
	v_cmp_eq_f32_e64 s0, v20, v21
	s_waitcnt lgkmcnt(0)
	v_cmp_lt_i32_e64 s1, v22, v18
	s_delay_alu instid0(VALU_DEP_1) | instskip(SKIP_2) | instid1(SALU_CYCLE_1)
	s_and_b32 s0, s0, s1
	s_and_not1_b32 s1, s16, exec_lo
	s_and_b32 s0, s0, exec_lo
	s_or_b32 s16, s1, s0
.LBB201_20:                             ;   in Loop: Header=BB201_10 Depth=1
	s_or_b32 exec_lo, exec_lo, s17
	s_delay_alu instid0(VALU_DEP_2)
	s_and_saveexec_b32 s0, s16
	s_cbranch_execz .LBB201_22
; %bb.21:                               ;   in Loop: Header=BB201_10 Depth=1
	s_waitcnt lgkmcnt(1)
	v_dual_mov_b32 v19, v23 :: v_dual_mov_b32 v20, v21
	s_waitcnt lgkmcnt(0)
	v_mov_b32_e32 v18, v22
.LBB201_22:                             ;   in Loop: Header=BB201_10 Depth=1
	s_or_b32 exec_lo, exec_lo, s0
	s_waitcnt lgkmcnt(1)
	ds_bpermute_b32 v23, v16, v20
	ds_bpermute_b32 v21, v16, v19
	s_waitcnt lgkmcnt(2)
	ds_bpermute_b32 v22, v16, v18
	s_mov_b32 s17, exec_lo
	s_waitcnt lgkmcnt(2)
	v_cmp_lt_f32_e64 s16, v20, v23
	v_cmpx_nlt_f32_e32 v20, v23
	s_cbranch_execnz .LBB201_26
; %bb.23:                               ;   in Loop: Header=BB201_10 Depth=1
	s_or_b32 exec_lo, exec_lo, s17
	s_delay_alu instid0(VALU_DEP_2)
	s_and_saveexec_b32 s0, s16
	s_cbranch_execnz .LBB201_27
.LBB201_24:                             ;   in Loop: Header=BB201_10 Depth=1
	s_or_b32 exec_lo, exec_lo, s0
	s_and_saveexec_b32 s16, s2
	s_cbranch_execnz .LBB201_28
.LBB201_25:                             ;   in Loop: Header=BB201_10 Depth=1
	s_or_b32 exec_lo, exec_lo, s16
	s_add_i32 s7, s7, 1
	s_delay_alu instid0(SALU_CYCLE_1)
	s_cmp_ge_i32 s7, s4
	s_cbranch_scc1 .LBB201_9
	s_branch .LBB201_29
.LBB201_26:                             ;   in Loop: Header=BB201_10 Depth=1
	v_cmp_eq_f32_e64 s0, v20, v23
	s_waitcnt lgkmcnt(0)
	v_cmp_lt_i32_e64 s1, v22, v18
	s_delay_alu instid0(VALU_DEP_1) | instskip(SKIP_2) | instid1(SALU_CYCLE_1)
	s_and_b32 s0, s0, s1
	s_and_not1_b32 s1, s16, exec_lo
	s_and_b32 s0, s0, exec_lo
	s_or_b32 s16, s1, s0
	s_or_b32 exec_lo, exec_lo, s17
	s_and_saveexec_b32 s0, s16
	s_cbranch_execz .LBB201_24
.LBB201_27:                             ;   in Loop: Header=BB201_10 Depth=1
	s_waitcnt lgkmcnt(0)
	v_dual_mov_b32 v18, v22 :: v_dual_mov_b32 v19, v21
	s_or_b32 exec_lo, exec_lo, s0
	s_and_saveexec_b32 s16, s2
	s_cbranch_execz .LBB201_25
.LBB201_28:                             ;   in Loop: Header=BB201_10 Depth=1
	s_delay_alu instid0(VALU_DEP_1)
	v_dual_add_f32 v27, v11, v19 :: v_dual_add_nc_u32 v20, s7, v12
	v_cmp_le_i32_e64 s0, s5, v18
	v_cmp_gt_i32_e64 s1, s6, v18
	s_waitcnt lgkmcnt(0)
	v_subrev_nc_u32_e32 v22, s5, v18
	v_ashrrev_i32_e32 v21, 31, v20
	v_cndmask_b32_e32 v11, v11, v27, vcc_lo
	s_and_b32 s0, s0, s1
	s_delay_alu instid0(SALU_CYCLE_1) | instskip(NEXT) | instid1(VALU_DEP_2)
	s_and_b32 s0, s15, s0
	v_lshlrev_b64 v[20:21], 2, v[20:21]
	v_cndmask_b32_e64 v26, 64, v22, s0
	s_delay_alu instid0(VALU_DEP_2) | instskip(NEXT) | instid1(VALU_DEP_1)
	v_add_co_u32 v22, s0, s12, v20
	v_add_co_ci_u32_e64 v23, s0, s13, v21, s0
	v_add_co_u32 v24, s0, s8, v20
	s_delay_alu instid0(VALU_DEP_1) | instskip(SKIP_1) | instid1(VALU_DEP_1)
	v_add_co_ci_u32_e64 v25, s0, s9, v21, s0
	v_add_co_u32 v20, s0, s10, v20
	v_add_co_ci_u32_e64 v21, s0, s11, v21, s0
	global_store_b32 v[22:23], v19, off
	global_store_b32 v[24:25], v26, off
	;; [unrolled: 1-line block ×3, first 2 shown]
	s_or_b32 exec_lo, exec_lo, s16
	s_add_i32 s7, s7, 1
	s_delay_alu instid0(SALU_CYCLE_1)
	s_cmp_ge_i32 s7, s4
	s_cbranch_scc1 .LBB201_9
.LBB201_29:                             ;   in Loop: Header=BB201_10 Depth=1
	v_ashrrev_i32_e32 v19, 31, v18
	s_mov_b32 s1, exec_lo
	s_delay_alu instid0(VALU_DEP_1) | instskip(NEXT) | instid1(VALU_DEP_1)
	v_lshrrev_b32_e32 v20, 30, v19
	v_add_nc_u32_e32 v20, v18, v20
	s_waitcnt lgkmcnt(1)
	s_delay_alu instid0(VALU_DEP_1) | instskip(SKIP_1) | instid1(VALU_DEP_2)
	v_ashrrev_i32_e32 v21, 31, v20
	v_ashrrev_i32_e32 v20, 2, v20
	v_lshrrev_b32_e32 v21, 28, v21
	s_delay_alu instid0(VALU_DEP_1) | instskip(NEXT) | instid1(VALU_DEP_1)
	v_add_nc_u32_e32 v21, v20, v21
	v_and_b32_e32 v21, -16, v21
	s_delay_alu instid0(VALU_DEP_1) | instskip(NEXT) | instid1(VALU_DEP_1)
	v_sub_nc_u32_e32 v21, v20, v21
	v_cmpx_eq_u32_e64 v9, v21
	s_cbranch_execz .LBB201_8
; %bb.30:                               ;   in Loop: Header=BB201_10 Depth=1
	v_lshrrev_b32_e32 v19, 26, v19
	v_lshlrev_b32_e32 v20, 2, v20
	s_delay_alu instid0(VALU_DEP_2) | instskip(NEXT) | instid1(VALU_DEP_2)
	v_add_nc_u32_e32 v19, v18, v19
	v_sub_nc_u32_e32 v18, v18, v20
	s_delay_alu instid0(VALU_DEP_2) | instskip(NEXT) | instid1(VALU_DEP_1)
	v_ashrrev_i32_e32 v19, 6, v19
	v_lshl_add_u32 v18, v19, 2, v18
	s_delay_alu instid0(VALU_DEP_1) | instskip(NEXT) | instid1(VALU_DEP_1)
	v_cmp_ne_u32_e64 s0, 3, v18
	v_cndmask_b32_e64 v7, 0xc61c4000, v7, s0
	v_cmp_ne_u32_e64 s0, 2, v18
	s_delay_alu instid0(VALU_DEP_1) | instskip(SKIP_1) | instid1(VALU_DEP_1)
	v_cndmask_b32_e64 v6, 0xc61c4000, v6, s0
	v_cmp_ne_u32_e64 s0, 1, v18
	v_cndmask_b32_e64 v5, 0xc61c4000, v5, s0
	v_cmp_ne_u32_e64 s0, 0, v18
	s_delay_alu instid0(VALU_DEP_1)
	v_cndmask_b32_e64 v4, 0xc61c4000, v4, s0
	s_branch .LBB201_8
.LBB201_31:
                                        ; implicit-def: $vgpr4_vgpr5_vgpr6_vgpr7
	s_and_not1_b32 vcc_lo, exec_lo, s8
	s_cbranch_vccz .LBB201_5
	s_branch .LBB201_6
.LBB201_32:
	v_mov_b32_e32 v11, 0
.LBB201_33:
	v_cmp_eq_u32_e64 s0, 0, v9
	s_delay_alu instid0(VALU_DEP_1) | instskip(NEXT) | instid1(SALU_CYCLE_1)
	s_and_b32 s0, s0, vcc_lo
	s_and_b32 exec_lo, exec_lo, s0
	s_cbranch_execz .LBB201_37
; %bb.34:
	s_and_not1_b32 vcc_lo, exec_lo, s3
	s_cbranch_vccnz .LBB201_37
; %bb.35:
	v_mul_lo_u32 v0, v8, s4
	v_cmp_lt_f32_e32 vcc_lo, 0, v11
	v_cndmask_b32_e32 v2, 1.0, v11, vcc_lo
	s_delay_alu instid0(VALU_DEP_3) | instskip(NEXT) | instid1(VALU_DEP_1)
	v_ashrrev_i32_e32 v1, 31, v0
	v_lshlrev_b64 v[0:1], 2, v[0:1]
	s_delay_alu instid0(VALU_DEP_1) | instskip(NEXT) | instid1(VALU_DEP_2)
	v_add_co_u32 v0, vcc_lo, s12, v0
	v_add_co_ci_u32_e32 v1, vcc_lo, s13, v1, vcc_lo
	.p2align	6
.LBB201_36:                             ; =>This Inner Loop Header: Depth=1
	global_load_b32 v3, v[0:1], off
	s_add_i32 s4, s4, -1
	s_delay_alu instid0(SALU_CYCLE_1) | instskip(SKIP_3) | instid1(VALU_DEP_2)
	s_cmp_lg_u32 s4, 0
	s_waitcnt vmcnt(0)
	v_div_scale_f32 v4, null, v2, v2, v3
	v_div_scale_f32 v7, vcc_lo, v3, v2, v3
	v_rcp_f32_e32 v5, v4
	s_waitcnt_depctr 0xfff
	v_fma_f32 v6, -v4, v5, 1.0
	s_delay_alu instid0(VALU_DEP_1) | instskip(NEXT) | instid1(VALU_DEP_1)
	v_fmac_f32_e32 v5, v6, v5
	v_mul_f32_e32 v6, v7, v5
	s_delay_alu instid0(VALU_DEP_1) | instskip(NEXT) | instid1(VALU_DEP_1)
	v_fma_f32 v8, -v4, v6, v7
	v_fmac_f32_e32 v6, v8, v5
	s_delay_alu instid0(VALU_DEP_1) | instskip(NEXT) | instid1(VALU_DEP_1)
	v_fma_f32 v4, -v4, v6, v7
	v_div_fmas_f32 v4, v4, v5, v6
	s_delay_alu instid0(VALU_DEP_1)
	v_div_fixup_f32 v3, v4, v2, v3
	global_store_b32 v[0:1], v3, off
	v_add_co_u32 v0, vcc_lo, v0, 4
	v_add_co_ci_u32_e32 v1, vcc_lo, 0, v1, vcc_lo
	s_cbranch_scc1 .LBB201_36
.LBB201_37:
	s_nop 0
	s_sendmsg sendmsg(MSG_DEALLOC_VGPRS)
	s_endpgm
	.section	.rodata,"a",@progbits
	.p2align	6, 0x0
	.amdhsa_kernel _ZN4vllm3moe10topkGatingILi4ELi64ELi4ELi16ELi32EifLNS0_11ScoringFuncE1EEEvPKT5_PKbPfiPT4_PiiiibPKf
		.amdhsa_group_segment_fixed_size 0
		.amdhsa_private_segment_fixed_size 0
		.amdhsa_kernarg_size 72
		.amdhsa_user_sgpr_count 15
		.amdhsa_user_sgpr_dispatch_ptr 0
		.amdhsa_user_sgpr_queue_ptr 0
		.amdhsa_user_sgpr_kernarg_segment_ptr 1
		.amdhsa_user_sgpr_dispatch_id 0
		.amdhsa_user_sgpr_private_segment_size 0
		.amdhsa_wavefront_size32 1
		.amdhsa_uses_dynamic_stack 0
		.amdhsa_enable_private_segment 0
		.amdhsa_system_sgpr_workgroup_id_x 1
		.amdhsa_system_sgpr_workgroup_id_y 0
		.amdhsa_system_sgpr_workgroup_id_z 0
		.amdhsa_system_sgpr_workgroup_info 0
		.amdhsa_system_vgpr_workitem_id 1
		.amdhsa_next_free_vgpr 28
		.amdhsa_next_free_sgpr 18
		.amdhsa_reserve_vcc 1
		.amdhsa_float_round_mode_32 0
		.amdhsa_float_round_mode_16_64 0
		.amdhsa_float_denorm_mode_32 3
		.amdhsa_float_denorm_mode_16_64 3
		.amdhsa_dx10_clamp 1
		.amdhsa_ieee_mode 1
		.amdhsa_fp16_overflow 0
		.amdhsa_workgroup_processor_mode 1
		.amdhsa_memory_ordered 1
		.amdhsa_forward_progress 0
		.amdhsa_shared_vgpr_count 0
		.amdhsa_exception_fp_ieee_invalid_op 0
		.amdhsa_exception_fp_denorm_src 0
		.amdhsa_exception_fp_ieee_div_zero 0
		.amdhsa_exception_fp_ieee_overflow 0
		.amdhsa_exception_fp_ieee_underflow 0
		.amdhsa_exception_fp_ieee_inexact 0
		.amdhsa_exception_int_div_zero 0
	.end_amdhsa_kernel
	.section	.text._ZN4vllm3moe10topkGatingILi4ELi64ELi4ELi16ELi32EifLNS0_11ScoringFuncE1EEEvPKT5_PKbPfiPT4_PiiiibPKf,"axG",@progbits,_ZN4vllm3moe10topkGatingILi4ELi64ELi4ELi16ELi32EifLNS0_11ScoringFuncE1EEEvPKT5_PKbPfiPT4_PiiiibPKf,comdat
.Lfunc_end201:
	.size	_ZN4vllm3moe10topkGatingILi4ELi64ELi4ELi16ELi32EifLNS0_11ScoringFuncE1EEEvPKT5_PKbPfiPT4_PiiiibPKf, .Lfunc_end201-_ZN4vllm3moe10topkGatingILi4ELi64ELi4ELi16ELi32EifLNS0_11ScoringFuncE1EEEvPKT5_PKbPfiPT4_PiiiibPKf
                                        ; -- End function
	.section	.AMDGPU.csdata,"",@progbits
; Kernel info:
; codeLenInByte = 2344
; NumSgprs: 20
; NumVgprs: 28
; ScratchSize: 0
; MemoryBound: 0
; FloatMode: 240
; IeeeMode: 1
; LDSByteSize: 0 bytes/workgroup (compile time only)
; SGPRBlocks: 2
; VGPRBlocks: 3
; NumSGPRsForWavesPerEU: 20
; NumVGPRsForWavesPerEU: 28
; Occupancy: 16
; WaveLimiterHint : 0
; COMPUTE_PGM_RSRC2:SCRATCH_EN: 0
; COMPUTE_PGM_RSRC2:USER_SGPR: 15
; COMPUTE_PGM_RSRC2:TRAP_HANDLER: 0
; COMPUTE_PGM_RSRC2:TGID_X_EN: 1
; COMPUTE_PGM_RSRC2:TGID_Y_EN: 0
; COMPUTE_PGM_RSRC2:TGID_Z_EN: 0
; COMPUTE_PGM_RSRC2:TIDIG_COMP_CNT: 1
	.section	.text._ZN4vllm3moe10topkGatingILi4ELi128ELi4ELi16ELi64EifLNS0_11ScoringFuncE1EEEvPKT5_PKbPfiPT4_PiiiibPKf,"axG",@progbits,_ZN4vllm3moe10topkGatingILi4ELi128ELi4ELi16ELi64EifLNS0_11ScoringFuncE1EEEvPKT5_PKbPfiPT4_PiiiibPKf,comdat
	.protected	_ZN4vllm3moe10topkGatingILi4ELi128ELi4ELi16ELi64EifLNS0_11ScoringFuncE1EEEvPKT5_PKbPfiPT4_PiiiibPKf ; -- Begin function _ZN4vllm3moe10topkGatingILi4ELi128ELi4ELi16ELi64EifLNS0_11ScoringFuncE1EEEvPKT5_PKbPfiPT4_PiiiibPKf
	.globl	_ZN4vllm3moe10topkGatingILi4ELi128ELi4ELi16ELi64EifLNS0_11ScoringFuncE1EEEvPKT5_PKbPfiPT4_PiiiibPKf
	.p2align	8
	.type	_ZN4vllm3moe10topkGatingILi4ELi128ELi4ELi16ELi64EifLNS0_11ScoringFuncE1EEEvPKT5_PKbPfiPT4_PiiiibPKf,@function
_ZN4vllm3moe10topkGatingILi4ELi128ELi4ELi16ELi64EifLNS0_11ScoringFuncE1EEEvPKT5_PKbPfiPT4_PiiiibPKf: ; @_ZN4vllm3moe10topkGatingILi4ELi128ELi4ELi16ELi64EifLNS0_11ScoringFuncE1EEEvPKT5_PKbPfiPT4_PiiiibPKf
; %bb.0:
	s_load_b32 s14, s[0:1], 0x18
	v_bfe_u32 v1, v0, 10, 10
	v_and_b32_e32 v0, 0x3ff, v0
	s_lshl_b32 s2, s15, 3
	s_delay_alu instid0(VALU_DEP_2) | instskip(NEXT) | instid1(VALU_DEP_2)
	v_lshlrev_b32_e32 v1, 1, v1
	v_lshrrev_b32_e32 v2, 5, v0
	s_delay_alu instid0(VALU_DEP_1) | instskip(SKIP_2) | instid1(VALU_DEP_1)
	v_add3_u32 v8, s2, v1, v2
	s_mov_b32 s2, exec_lo
	s_waitcnt lgkmcnt(0)
	v_cmpx_gt_i32_e64 s14, v8
	s_cbranch_execz .LBB202_41
; %bb.1:
	s_clause 0x1
	s_load_b128 s[4:7], s[0:1], 0x0
	s_load_b64 s[12:13], s[0:1], 0x10
	s_mov_b32 s8, -1
	s_mov_b32 s15, -1
	s_waitcnt lgkmcnt(0)
	s_cmp_eq_u64 s[6:7], 0
	s_cbranch_scc1 .LBB202_3
; %bb.2:
	v_ashrrev_i32_e32 v2, 31, v8
	v_add_co_u32 v1, vcc_lo, s6, v8
	s_delay_alu instid0(VALU_DEP_2) | instskip(SKIP_3) | instid1(VALU_DEP_1)
	v_add_co_ci_u32_e32 v2, vcc_lo, s7, v2, vcc_lo
	global_load_u8 v1, v[1:2], off
	s_waitcnt vmcnt(0)
	v_and_b32_e32 v1, 1, v1
	v_cmp_eq_u32_e32 vcc_lo, 1, v1
	s_xor_b32 s2, vcc_lo, -1
	s_delay_alu instid0(SALU_CYCLE_1)
	s_or_not1_b32 s15, s2, exec_lo
.LBB202_3:
	v_lshlrev_b32_e32 v1, 7, v8
	v_and_b32_e32 v9, 31, v0
	s_load_b64 s[6:7], s[0:1], 0x40
	s_delay_alu instid0(VALU_DEP_2) | instskip(NEXT) | instid1(VALU_DEP_1)
	v_ashrrev_i32_e32 v2, 31, v1
	v_lshlrev_b64 v[0:1], 2, v[1:2]
	s_delay_alu instid0(VALU_DEP_3) | instskip(NEXT) | instid1(VALU_DEP_2)
	v_lshlrev_b32_e32 v2, 4, v9
	v_add_co_u32 v0, vcc_lo, s4, v0
	s_delay_alu instid0(VALU_DEP_3) | instskip(NEXT) | instid1(VALU_DEP_2)
	v_add_co_ci_u32_e32 v1, vcc_lo, s5, v1, vcc_lo
	v_add_co_u32 v0, vcc_lo, v0, v2
	s_delay_alu instid0(VALU_DEP_2)
	v_add_co_ci_u32_e32 v1, vcc_lo, 0, v1, vcc_lo
	s_waitcnt lgkmcnt(0)
	s_cmp_eq_u64 s[6:7], 0
	global_load_b128 v[0:3], v[0:1], off
	s_waitcnt vmcnt(0)
	v_dual_mul_f32 v3, 0xbfb8aa3b, v3 :: v_dual_mul_f32 v0, 0xbfb8aa3b, v0
	v_dual_mul_f32 v1, 0xbfb8aa3b, v1 :: v_dual_mul_f32 v2, 0xbfb8aa3b, v2
	s_delay_alu instid0(VALU_DEP_2) | instskip(NEXT) | instid1(VALU_DEP_2)
	v_exp_f32_e32 v3, v3
	v_exp_f32_e32 v0, v0
	s_delay_alu instid0(VALU_DEP_1) | instskip(NEXT) | instid1(VALU_DEP_1)
	v_exp_f32_e32 v1, v1
	v_exp_f32_e32 v2, v2
	s_waitcnt_depctr 0xfff
	v_dual_add_f32 v0, 1.0, v0 :: v_dual_add_f32 v1, 1.0, v1
	v_add_f32_e32 v2, 1.0, v2
	s_delay_alu instid0(VALU_DEP_2) | instskip(NEXT) | instid1(VALU_DEP_3)
	v_div_scale_f32 v4, null, v0, v0, 1.0
	v_div_scale_f32 v5, null, v1, v1, 1.0
	s_delay_alu instid0(VALU_DEP_3) | instskip(NEXT) | instid1(VALU_DEP_3)
	v_div_scale_f32 v6, null, v2, v2, 1.0
	v_rcp_f32_e32 v11, v4
	s_delay_alu instid0(VALU_DEP_2) | instskip(SKIP_1) | instid1(VALU_DEP_2)
	v_rcp_f32_e32 v12, v5
	v_div_scale_f32 v15, vcc_lo, 1.0, v0, 1.0
	v_rcp_f32_e32 v13, v6
	v_div_scale_f32 v16, s2, 1.0, v1, 1.0
	v_div_scale_f32 v17, s3, 1.0, v2, 1.0
	s_delay_alu instid0(TRANS32_DEP_3) | instskip(SKIP_4) | instid1(VALU_DEP_3)
	v_fma_f32 v10, -v4, v11, 1.0
	s_waitcnt_depctr 0xfff
	v_fma_f32 v18, -v5, v12, 1.0
	v_add_f32_e32 v3, 1.0, v3
	v_fma_f32 v19, -v6, v13, 1.0
	v_fmac_f32_e32 v12, v18, v12
	s_delay_alu instid0(VALU_DEP_3) | instskip(SKIP_1) | instid1(VALU_DEP_2)
	v_div_scale_f32 v7, null, v3, v3, 1.0
	v_div_scale_f32 v21, s4, 1.0, v3, 1.0
	v_rcp_f32_e32 v14, v7
	s_waitcnt_depctr 0xfff
	v_fma_f32 v20, -v7, v14, 1.0
	s_delay_alu instid0(VALU_DEP_1) | instskip(NEXT) | instid1(VALU_DEP_1)
	v_dual_fmac_f32 v11, v10, v11 :: v_dual_fmac_f32 v14, v20, v14
	v_mul_f32_e32 v18, v15, v11
	v_fmac_f32_e32 v13, v19, v13
	s_delay_alu instid0(VALU_DEP_3) | instskip(NEXT) | instid1(VALU_DEP_3)
	v_dual_mul_f32 v19, v16, v12 :: v_dual_mul_f32 v22, v21, v14
	v_fma_f32 v10, -v4, v18, v15
	s_delay_alu instid0(VALU_DEP_2) | instskip(NEXT) | instid1(VALU_DEP_4)
	v_fma_f32 v23, -v5, v19, v16
	v_mul_f32_e32 v20, v17, v13
	s_delay_alu instid0(VALU_DEP_4) | instskip(NEXT) | instid1(VALU_DEP_4)
	v_fma_f32 v25, -v7, v22, v21
	v_fmac_f32_e32 v18, v10, v11
	s_delay_alu instid0(VALU_DEP_4) | instskip(NEXT) | instid1(VALU_DEP_4)
	v_dual_fmac_f32 v19, v23, v12 :: v_dual_lshlrev_b32 v10, 2, v9
	v_fma_f32 v24, -v6, v20, v17
	s_delay_alu instid0(VALU_DEP_4) | instskip(NEXT) | instid1(VALU_DEP_4)
	v_fmac_f32_e32 v22, v25, v14
	v_fma_f32 v4, -v4, v18, v15
	s_delay_alu instid0(VALU_DEP_4) | instskip(NEXT) | instid1(VALU_DEP_4)
	v_fma_f32 v5, -v5, v19, v16
	v_fmac_f32_e32 v20, v24, v13
	s_delay_alu instid0(VALU_DEP_4) | instskip(NEXT) | instid1(VALU_DEP_4)
	v_fma_f32 v7, -v7, v22, v21
	v_div_fmas_f32 v4, v4, v11, v18
	s_mov_b32 vcc_lo, s2
	s_delay_alu instid0(VALU_DEP_3) | instskip(SKIP_1) | instid1(VALU_DEP_3)
	v_fma_f32 v6, -v6, v20, v17
	v_div_fmas_f32 v5, v5, v12, v19
	v_div_fixup_f32 v0, v4, v0, 1.0
	s_mov_b32 vcc_lo, s3
	s_delay_alu instid0(VALU_DEP_3)
	v_div_fmas_f32 v6, v6, v13, v20
	s_mov_b32 vcc_lo, s4
	v_div_fixup_f32 v1, v5, v1, 1.0
	v_div_fmas_f32 v4, v7, v14, v22
	v_cmp_class_f32_e64 vcc_lo, v0, 0x1f8
	v_div_fixup_f32 v2, v6, v2, 1.0
	s_delay_alu instid0(VALU_DEP_3)
	v_div_fixup_f32 v3, v4, v3, 1.0
	v_cndmask_b32_e32 v0, 0, v0, vcc_lo
	v_cmp_class_f32_e64 vcc_lo, v1, 0x1f8
	v_cndmask_b32_e32 v1, 0, v1, vcc_lo
	v_cmp_class_f32_e64 vcc_lo, v2, 0x1f8
	;; [unrolled: 2-line block ×3, first 2 shown]
	v_cndmask_b32_e32 v3, 0, v3, vcc_lo
	s_cbranch_scc1 .LBB202_35
; %bb.4:
	v_lshlrev_b32_e32 v4, 2, v10
	global_load_b128 v[4:7], v4, s[6:7]
	s_waitcnt vmcnt(0)
	v_dual_add_f32 v5, v5, v1 :: v_dual_add_f32 v4, v4, v0
	v_dual_add_f32 v7, v7, v3 :: v_dual_add_f32 v6, v6, v2
	s_cbranch_execnz .LBB202_6
.LBB202_5:
	v_dual_mov_b32 v7, v3 :: v_dual_mov_b32 v6, v2
	v_dual_mov_b32 v5, v1 :: v_dual_mov_b32 v4, v0
.LBB202_6:
	s_load_b128 s[4:7], s[0:1], 0x30
	v_cmp_eq_u32_e64 s2, 0, v9
	s_waitcnt lgkmcnt(0)
	s_bitcmp1_b32 s7, 0
	s_mov_b32 s7, 0
	s_cselect_b32 vcc_lo, -1, 0
	s_cmp_gt_i32 s4, 0
	s_cselect_b32 s3, -1, 0
	s_cmp_lt_i32 s4, 1
	s_cbranch_scc1 .LBB202_36
; %bb.7:
	v_mbcnt_lo_u32_b32 v12, -1, 0
	s_load_b128 s[8:11], s[0:1], 0x20
	v_mul_lo_u32 v11, v8, s4
	v_mov_b32_e32 v18, v8
	s_delay_alu instid0(VALU_DEP_3)
	v_xor_b32_e32 v13, 16, v12
	v_xor_b32_e32 v14, 8, v12
	;; [unrolled: 1-line block ×5, first 2 shown]
	v_cmp_gt_i32_e64 s0, 32, v13
	s_delay_alu instid0(VALU_DEP_1) | instskip(SKIP_1) | instid1(VALU_DEP_2)
	v_cndmask_b32_e64 v13, v12, v13, s0
	v_cmp_gt_i32_e64 s0, 32, v14
	v_lshlrev_b32_e32 v13, 2, v13
	s_delay_alu instid0(VALU_DEP_2) | instskip(SKIP_1) | instid1(VALU_DEP_2)
	v_cndmask_b32_e64 v14, v12, v14, s0
	v_cmp_gt_i32_e64 s0, 32, v15
	v_lshlrev_b32_e32 v14, 2, v14
	s_delay_alu instid0(VALU_DEP_2) | instskip(SKIP_1) | instid1(VALU_DEP_2)
	v_cndmask_b32_e64 v15, v12, v15, s0
	v_cmp_gt_i32_e64 s0, 32, v16
	v_lshlrev_b32_e32 v15, 2, v15
	s_delay_alu instid0(VALU_DEP_2) | instskip(SKIP_1) | instid1(VALU_DEP_2)
	v_cndmask_b32_e64 v16, v12, v16, s0
	v_cmp_gt_i32_e64 s0, 32, v17
	v_lshlrev_b32_e32 v16, 2, v16
	s_delay_alu instid0(VALU_DEP_2) | instskip(NEXT) | instid1(VALU_DEP_1)
	v_cndmask_b32_e64 v12, v12, v17, s0
	v_dual_mov_b32 v12, 0 :: v_dual_lshlrev_b32 v17, 2, v12
	s_branch .LBB202_10
.LBB202_8:                              ;   in Loop: Header=BB202_10 Depth=1
	s_or_b32 exec_lo, exec_lo, s1
.LBB202_9:                              ;   in Loop: Header=BB202_10 Depth=1
	v_add_nc_u32_e32 v18, s14, v18
	s_cmp_eq_u32 s4, s7
	s_cbranch_scc1 .LBB202_37
.LBB202_10:                             ; =>This Inner Loop Header: Depth=1
	v_cmp_gt_f32_e64 s0, v5, v4
	s_mov_b32 s17, exec_lo
	s_delay_alu instid0(VALU_DEP_1) | instskip(SKIP_2) | instid1(VALU_DEP_3)
	v_cndmask_b32_e64 v20, v4, v5, s0
	v_cndmask_b32_e64 v19, 0, 1, s0
	;; [unrolled: 1-line block ×3, first 2 shown]
	v_cmp_gt_f32_e64 s1, v6, v20
	s_delay_alu instid0(VALU_DEP_1) | instskip(NEXT) | instid1(VALU_DEP_4)
	v_cndmask_b32_e64 v20, v20, v6, s1
	v_cndmask_b32_e64 v19, v19, 2, s1
	s_waitcnt lgkmcnt(0)
	v_cndmask_b32_e64 v22, v21, v2, s1
	s_delay_alu instid0(VALU_DEP_3) | instskip(NEXT) | instid1(VALU_DEP_1)
	v_cmp_gt_f32_e64 s0, v7, v20
	v_cndmask_b32_e64 v19, v19, 3, s0
	v_cndmask_b32_e64 v21, v20, v7, s0
	s_delay_alu instid0(VALU_DEP_4) | instskip(NEXT) | instid1(VALU_DEP_3)
	v_cndmask_b32_e64 v20, v22, v3, s0
	v_or_b32_e32 v19, v10, v19
	ds_bpermute_b32 v22, v13, v21
	ds_bpermute_b32 v24, v13, v20
	;; [unrolled: 1-line block ×3, first 2 shown]
	s_waitcnt lgkmcnt(0)
	v_cmp_lt_f32_e64 s16, v21, v22
	v_cmpx_nlt_f32_e32 v21, v22
; %bb.11:                               ;   in Loop: Header=BB202_10 Depth=1
	v_cmp_eq_f32_e64 s0, v21, v22
	v_cmp_lt_i32_e64 s1, v23, v19
	s_delay_alu instid0(VALU_DEP_1) | instskip(SKIP_2) | instid1(SALU_CYCLE_1)
	s_and_b32 s0, s0, s1
	s_and_not1_b32 s1, s16, exec_lo
	s_and_b32 s0, s0, exec_lo
	s_or_b32 s16, s1, s0
; %bb.12:                               ;   in Loop: Header=BB202_10 Depth=1
	s_or_b32 exec_lo, exec_lo, s17
	s_and_saveexec_b32 s0, s16
; %bb.13:                               ;   in Loop: Header=BB202_10 Depth=1
	v_dual_mov_b32 v20, v24 :: v_dual_mov_b32 v21, v22
	v_mov_b32_e32 v19, v23
; %bb.14:                               ;   in Loop: Header=BB202_10 Depth=1
	s_or_b32 exec_lo, exec_lo, s0
	ds_bpermute_b32 v22, v14, v21
	ds_bpermute_b32 v24, v14, v20
	;; [unrolled: 1-line block ×3, first 2 shown]
	s_mov_b32 s17, exec_lo
	s_waitcnt lgkmcnt(2)
	v_cmp_lt_f32_e64 s16, v21, v22
	v_cmpx_nlt_f32_e32 v21, v22
	s_cbranch_execz .LBB202_16
; %bb.15:                               ;   in Loop: Header=BB202_10 Depth=1
	v_cmp_eq_f32_e64 s0, v21, v22
	s_waitcnt lgkmcnt(0)
	v_cmp_lt_i32_e64 s1, v23, v19
	s_delay_alu instid0(VALU_DEP_1) | instskip(SKIP_2) | instid1(SALU_CYCLE_1)
	s_and_b32 s0, s0, s1
	s_and_not1_b32 s1, s16, exec_lo
	s_and_b32 s0, s0, exec_lo
	s_or_b32 s16, s1, s0
.LBB202_16:                             ;   in Loop: Header=BB202_10 Depth=1
	s_or_b32 exec_lo, exec_lo, s17
	s_delay_alu instid0(VALU_DEP_2)
	s_and_saveexec_b32 s0, s16
	s_cbranch_execz .LBB202_18
; %bb.17:                               ;   in Loop: Header=BB202_10 Depth=1
	s_waitcnt lgkmcnt(1)
	v_dual_mov_b32 v20, v24 :: v_dual_mov_b32 v21, v22
	s_waitcnt lgkmcnt(0)
	v_mov_b32_e32 v19, v23
.LBB202_18:                             ;   in Loop: Header=BB202_10 Depth=1
	s_or_b32 exec_lo, exec_lo, s0
	ds_bpermute_b32 v22, v15, v21
	s_waitcnt lgkmcnt(2)
	ds_bpermute_b32 v24, v15, v20
	s_waitcnt lgkmcnt(2)
	ds_bpermute_b32 v23, v15, v19
	s_mov_b32 s17, exec_lo
	s_waitcnt lgkmcnt(2)
	v_cmp_lt_f32_e64 s16, v21, v22
	v_cmpx_nlt_f32_e32 v21, v22
	s_cbranch_execz .LBB202_20
; %bb.19:                               ;   in Loop: Header=BB202_10 Depth=1
	v_cmp_eq_f32_e64 s0, v21, v22
	s_waitcnt lgkmcnt(0)
	v_cmp_lt_i32_e64 s1, v23, v19
	s_delay_alu instid0(VALU_DEP_1) | instskip(SKIP_2) | instid1(SALU_CYCLE_1)
	s_and_b32 s0, s0, s1
	s_and_not1_b32 s1, s16, exec_lo
	s_and_b32 s0, s0, exec_lo
	s_or_b32 s16, s1, s0
.LBB202_20:                             ;   in Loop: Header=BB202_10 Depth=1
	s_or_b32 exec_lo, exec_lo, s17
	s_delay_alu instid0(VALU_DEP_2)
	s_and_saveexec_b32 s0, s16
	s_cbranch_execz .LBB202_22
; %bb.21:                               ;   in Loop: Header=BB202_10 Depth=1
	s_waitcnt lgkmcnt(1)
	v_dual_mov_b32 v20, v24 :: v_dual_mov_b32 v21, v22
	s_waitcnt lgkmcnt(0)
	v_mov_b32_e32 v19, v23
.LBB202_22:                             ;   in Loop: Header=BB202_10 Depth=1
	s_or_b32 exec_lo, exec_lo, s0
	ds_bpermute_b32 v22, v16, v21
	s_waitcnt lgkmcnt(2)
	ds_bpermute_b32 v24, v16, v20
	s_waitcnt lgkmcnt(2)
	ds_bpermute_b32 v23, v16, v19
	s_mov_b32 s17, exec_lo
	s_waitcnt lgkmcnt(2)
	v_cmp_lt_f32_e64 s16, v21, v22
	v_cmpx_nlt_f32_e32 v21, v22
	s_cbranch_execz .LBB202_24
; %bb.23:                               ;   in Loop: Header=BB202_10 Depth=1
	v_cmp_eq_f32_e64 s0, v21, v22
	s_waitcnt lgkmcnt(0)
	v_cmp_lt_i32_e64 s1, v23, v19
	s_delay_alu instid0(VALU_DEP_1) | instskip(SKIP_2) | instid1(SALU_CYCLE_1)
	s_and_b32 s0, s0, s1
	s_and_not1_b32 s1, s16, exec_lo
	s_and_b32 s0, s0, exec_lo
	s_or_b32 s16, s1, s0
.LBB202_24:                             ;   in Loop: Header=BB202_10 Depth=1
	s_or_b32 exec_lo, exec_lo, s17
	s_delay_alu instid0(VALU_DEP_2)
	s_and_saveexec_b32 s0, s16
	s_cbranch_execz .LBB202_26
; %bb.25:                               ;   in Loop: Header=BB202_10 Depth=1
	s_waitcnt lgkmcnt(1)
	v_dual_mov_b32 v20, v24 :: v_dual_mov_b32 v21, v22
	s_waitcnt lgkmcnt(0)
	v_mov_b32_e32 v19, v23
.LBB202_26:                             ;   in Loop: Header=BB202_10 Depth=1
	s_or_b32 exec_lo, exec_lo, s0
	s_waitcnt lgkmcnt(1)
	ds_bpermute_b32 v24, v17, v21
	ds_bpermute_b32 v22, v17, v20
	s_waitcnt lgkmcnt(2)
	ds_bpermute_b32 v23, v17, v19
	s_mov_b32 s17, exec_lo
	s_waitcnt lgkmcnt(2)
	v_cmp_lt_f32_e64 s16, v21, v24
	v_cmpx_nlt_f32_e32 v21, v24
	s_cbranch_execnz .LBB202_30
; %bb.27:                               ;   in Loop: Header=BB202_10 Depth=1
	s_or_b32 exec_lo, exec_lo, s17
	s_delay_alu instid0(VALU_DEP_2)
	s_and_saveexec_b32 s0, s16
	s_cbranch_execnz .LBB202_31
.LBB202_28:                             ;   in Loop: Header=BB202_10 Depth=1
	s_or_b32 exec_lo, exec_lo, s0
	s_and_saveexec_b32 s16, s2
	s_cbranch_execnz .LBB202_32
.LBB202_29:                             ;   in Loop: Header=BB202_10 Depth=1
	s_or_b32 exec_lo, exec_lo, s16
	s_add_i32 s7, s7, 1
	s_delay_alu instid0(SALU_CYCLE_1)
	s_cmp_ge_i32 s7, s4
	s_cbranch_scc1 .LBB202_9
	s_branch .LBB202_33
.LBB202_30:                             ;   in Loop: Header=BB202_10 Depth=1
	v_cmp_eq_f32_e64 s0, v21, v24
	s_waitcnt lgkmcnt(0)
	v_cmp_lt_i32_e64 s1, v23, v19
	s_delay_alu instid0(VALU_DEP_1) | instskip(SKIP_2) | instid1(SALU_CYCLE_1)
	s_and_b32 s0, s0, s1
	s_and_not1_b32 s1, s16, exec_lo
	s_and_b32 s0, s0, exec_lo
	s_or_b32 s16, s1, s0
	s_or_b32 exec_lo, exec_lo, s17
	s_and_saveexec_b32 s0, s16
	s_cbranch_execz .LBB202_28
.LBB202_31:                             ;   in Loop: Header=BB202_10 Depth=1
	s_waitcnt lgkmcnt(0)
	v_dual_mov_b32 v19, v23 :: v_dual_mov_b32 v20, v22
	s_or_b32 exec_lo, exec_lo, s0
	s_and_saveexec_b32 s16, s2
	s_cbranch_execz .LBB202_29
.LBB202_32:                             ;   in Loop: Header=BB202_10 Depth=1
	s_delay_alu instid0(VALU_DEP_1)
	v_dual_add_f32 v28, v12, v20 :: v_dual_add_nc_u32 v21, s7, v11
	v_cmp_le_i32_e64 s0, s5, v19
	v_cmp_gt_i32_e64 s1, s6, v19
	s_waitcnt lgkmcnt(0)
	v_subrev_nc_u32_e32 v23, s5, v19
	v_ashrrev_i32_e32 v22, 31, v21
	v_cndmask_b32_e32 v12, v12, v28, vcc_lo
	s_and_b32 s0, s0, s1
	s_delay_alu instid0(SALU_CYCLE_1) | instskip(NEXT) | instid1(VALU_DEP_2)
	s_and_b32 s0, s15, s0
	v_lshlrev_b64 v[21:22], 2, v[21:22]
	v_cndmask_b32_e64 v27, 0x80, v23, s0
	s_delay_alu instid0(VALU_DEP_2) | instskip(NEXT) | instid1(VALU_DEP_1)
	v_add_co_u32 v23, s0, s12, v21
	v_add_co_ci_u32_e64 v24, s0, s13, v22, s0
	v_add_co_u32 v25, s0, s8, v21
	s_delay_alu instid0(VALU_DEP_1) | instskip(SKIP_1) | instid1(VALU_DEP_1)
	v_add_co_ci_u32_e64 v26, s0, s9, v22, s0
	v_add_co_u32 v21, s0, s10, v21
	v_add_co_ci_u32_e64 v22, s0, s11, v22, s0
	global_store_b32 v[23:24], v20, off
	global_store_b32 v[25:26], v27, off
	;; [unrolled: 1-line block ×3, first 2 shown]
	s_or_b32 exec_lo, exec_lo, s16
	s_add_i32 s7, s7, 1
	s_delay_alu instid0(SALU_CYCLE_1)
	s_cmp_ge_i32 s7, s4
	s_cbranch_scc1 .LBB202_9
.LBB202_33:                             ;   in Loop: Header=BB202_10 Depth=1
	v_ashrrev_i32_e32 v20, 31, v19
	s_mov_b32 s1, exec_lo
	s_delay_alu instid0(VALU_DEP_1) | instskip(NEXT) | instid1(VALU_DEP_1)
	v_lshrrev_b32_e32 v21, 30, v20
	v_add_nc_u32_e32 v21, v19, v21
	s_waitcnt lgkmcnt(1)
	s_delay_alu instid0(VALU_DEP_1) | instskip(SKIP_1) | instid1(VALU_DEP_2)
	v_ashrrev_i32_e32 v22, 31, v21
	v_ashrrev_i32_e32 v21, 2, v21
	v_lshrrev_b32_e32 v22, 27, v22
	s_delay_alu instid0(VALU_DEP_1) | instskip(NEXT) | instid1(VALU_DEP_1)
	v_add_nc_u32_e32 v22, v21, v22
	v_and_b32_e32 v22, 0xffffffe0, v22
	s_delay_alu instid0(VALU_DEP_1) | instskip(NEXT) | instid1(VALU_DEP_1)
	v_sub_nc_u32_e32 v22, v21, v22
	v_cmpx_eq_u32_e64 v9, v22
	s_cbranch_execz .LBB202_8
; %bb.34:                               ;   in Loop: Header=BB202_10 Depth=1
	v_lshrrev_b32_e32 v20, 25, v20
	v_lshlrev_b32_e32 v21, 2, v21
	s_delay_alu instid0(VALU_DEP_2) | instskip(NEXT) | instid1(VALU_DEP_2)
	v_add_nc_u32_e32 v20, v19, v20
	v_sub_nc_u32_e32 v19, v19, v21
	s_delay_alu instid0(VALU_DEP_2) | instskip(NEXT) | instid1(VALU_DEP_1)
	v_ashrrev_i32_e32 v20, 7, v20
	v_lshl_add_u32 v19, v20, 2, v19
	s_delay_alu instid0(VALU_DEP_1) | instskip(NEXT) | instid1(VALU_DEP_1)
	v_cmp_ne_u32_e64 s0, 3, v19
	v_cndmask_b32_e64 v7, 0xc61c4000, v7, s0
	v_cmp_ne_u32_e64 s0, 2, v19
	s_delay_alu instid0(VALU_DEP_1) | instskip(SKIP_1) | instid1(VALU_DEP_1)
	v_cndmask_b32_e64 v6, 0xc61c4000, v6, s0
	v_cmp_ne_u32_e64 s0, 1, v19
	v_cndmask_b32_e64 v5, 0xc61c4000, v5, s0
	v_cmp_ne_u32_e64 s0, 0, v19
	s_delay_alu instid0(VALU_DEP_1)
	v_cndmask_b32_e64 v4, 0xc61c4000, v4, s0
	s_branch .LBB202_8
.LBB202_35:
                                        ; implicit-def: $vgpr4_vgpr5_vgpr6_vgpr7
	s_and_not1_b32 vcc_lo, exec_lo, s8
	s_cbranch_vccz .LBB202_5
	s_branch .LBB202_6
.LBB202_36:
	v_mov_b32_e32 v12, 0
.LBB202_37:
	v_cmp_eq_u32_e64 s0, 0, v9
	s_delay_alu instid0(VALU_DEP_1) | instskip(NEXT) | instid1(SALU_CYCLE_1)
	s_and_b32 s0, s0, vcc_lo
	s_and_b32 exec_lo, exec_lo, s0
	s_cbranch_execz .LBB202_41
; %bb.38:
	s_and_not1_b32 vcc_lo, exec_lo, s3
	s_cbranch_vccnz .LBB202_41
; %bb.39:
	v_mul_lo_u32 v0, v8, s4
	v_cmp_lt_f32_e32 vcc_lo, 0, v12
	v_cndmask_b32_e32 v2, 1.0, v12, vcc_lo
	s_delay_alu instid0(VALU_DEP_3) | instskip(NEXT) | instid1(VALU_DEP_1)
	v_ashrrev_i32_e32 v1, 31, v0
	v_lshlrev_b64 v[0:1], 2, v[0:1]
	s_delay_alu instid0(VALU_DEP_1) | instskip(NEXT) | instid1(VALU_DEP_2)
	v_add_co_u32 v0, vcc_lo, s12, v0
	v_add_co_ci_u32_e32 v1, vcc_lo, s13, v1, vcc_lo
	.p2align	6
.LBB202_40:                             ; =>This Inner Loop Header: Depth=1
	global_load_b32 v3, v[0:1], off
	s_add_i32 s4, s4, -1
	s_delay_alu instid0(SALU_CYCLE_1) | instskip(SKIP_3) | instid1(VALU_DEP_2)
	s_cmp_lg_u32 s4, 0
	s_waitcnt vmcnt(0)
	v_div_scale_f32 v4, null, v2, v2, v3
	v_div_scale_f32 v7, vcc_lo, v3, v2, v3
	v_rcp_f32_e32 v5, v4
	s_waitcnt_depctr 0xfff
	v_fma_f32 v6, -v4, v5, 1.0
	s_delay_alu instid0(VALU_DEP_1) | instskip(NEXT) | instid1(VALU_DEP_1)
	v_fmac_f32_e32 v5, v6, v5
	v_mul_f32_e32 v6, v7, v5
	s_delay_alu instid0(VALU_DEP_1) | instskip(NEXT) | instid1(VALU_DEP_1)
	v_fma_f32 v8, -v4, v6, v7
	v_fmac_f32_e32 v6, v8, v5
	s_delay_alu instid0(VALU_DEP_1) | instskip(NEXT) | instid1(VALU_DEP_1)
	v_fma_f32 v4, -v4, v6, v7
	v_div_fmas_f32 v4, v4, v5, v6
	s_delay_alu instid0(VALU_DEP_1)
	v_div_fixup_f32 v3, v4, v2, v3
	global_store_b32 v[0:1], v3, off
	v_add_co_u32 v0, vcc_lo, v0, 4
	v_add_co_ci_u32_e32 v1, vcc_lo, 0, v1, vcc_lo
	s_cbranch_scc1 .LBB202_40
.LBB202_41:
	s_nop 0
	s_sendmsg sendmsg(MSG_DEALLOC_VGPRS)
	s_endpgm
	.section	.rodata,"a",@progbits
	.p2align	6, 0x0
	.amdhsa_kernel _ZN4vllm3moe10topkGatingILi4ELi128ELi4ELi16ELi64EifLNS0_11ScoringFuncE1EEEvPKT5_PKbPfiPT4_PiiiibPKf
		.amdhsa_group_segment_fixed_size 0
		.amdhsa_private_segment_fixed_size 0
		.amdhsa_kernarg_size 72
		.amdhsa_user_sgpr_count 15
		.amdhsa_user_sgpr_dispatch_ptr 0
		.amdhsa_user_sgpr_queue_ptr 0
		.amdhsa_user_sgpr_kernarg_segment_ptr 1
		.amdhsa_user_sgpr_dispatch_id 0
		.amdhsa_user_sgpr_private_segment_size 0
		.amdhsa_wavefront_size32 1
		.amdhsa_uses_dynamic_stack 0
		.amdhsa_enable_private_segment 0
		.amdhsa_system_sgpr_workgroup_id_x 1
		.amdhsa_system_sgpr_workgroup_id_y 0
		.amdhsa_system_sgpr_workgroup_id_z 0
		.amdhsa_system_sgpr_workgroup_info 0
		.amdhsa_system_vgpr_workitem_id 1
		.amdhsa_next_free_vgpr 29
		.amdhsa_next_free_sgpr 18
		.amdhsa_reserve_vcc 1
		.amdhsa_float_round_mode_32 0
		.amdhsa_float_round_mode_16_64 0
		.amdhsa_float_denorm_mode_32 3
		.amdhsa_float_denorm_mode_16_64 3
		.amdhsa_dx10_clamp 1
		.amdhsa_ieee_mode 1
		.amdhsa_fp16_overflow 0
		.amdhsa_workgroup_processor_mode 1
		.amdhsa_memory_ordered 1
		.amdhsa_forward_progress 0
		.amdhsa_shared_vgpr_count 0
		.amdhsa_exception_fp_ieee_invalid_op 0
		.amdhsa_exception_fp_denorm_src 0
		.amdhsa_exception_fp_ieee_div_zero 0
		.amdhsa_exception_fp_ieee_overflow 0
		.amdhsa_exception_fp_ieee_underflow 0
		.amdhsa_exception_fp_ieee_inexact 0
		.amdhsa_exception_int_div_zero 0
	.end_amdhsa_kernel
	.section	.text._ZN4vllm3moe10topkGatingILi4ELi128ELi4ELi16ELi64EifLNS0_11ScoringFuncE1EEEvPKT5_PKbPfiPT4_PiiiibPKf,"axG",@progbits,_ZN4vllm3moe10topkGatingILi4ELi128ELi4ELi16ELi64EifLNS0_11ScoringFuncE1EEEvPKT5_PKbPfiPT4_PiiiibPKf,comdat
.Lfunc_end202:
	.size	_ZN4vllm3moe10topkGatingILi4ELi128ELi4ELi16ELi64EifLNS0_11ScoringFuncE1EEEvPKT5_PKbPfiPT4_PiiiibPKf, .Lfunc_end202-_ZN4vllm3moe10topkGatingILi4ELi128ELi4ELi16ELi64EifLNS0_11ScoringFuncE1EEEvPKT5_PKbPfiPT4_PiiiibPKf
                                        ; -- End function
	.section	.AMDGPU.csdata,"",@progbits
; Kernel info:
; codeLenInByte = 2504
; NumSgprs: 20
; NumVgprs: 29
; ScratchSize: 0
; MemoryBound: 0
; FloatMode: 240
; IeeeMode: 1
; LDSByteSize: 0 bytes/workgroup (compile time only)
; SGPRBlocks: 2
; VGPRBlocks: 3
; NumSGPRsForWavesPerEU: 20
; NumVGPRsForWavesPerEU: 29
; Occupancy: 16
; WaveLimiterHint : 0
; COMPUTE_PGM_RSRC2:SCRATCH_EN: 0
; COMPUTE_PGM_RSRC2:USER_SGPR: 15
; COMPUTE_PGM_RSRC2:TRAP_HANDLER: 0
; COMPUTE_PGM_RSRC2:TGID_X_EN: 1
; COMPUTE_PGM_RSRC2:TGID_Y_EN: 0
; COMPUTE_PGM_RSRC2:TGID_Z_EN: 0
; COMPUTE_PGM_RSRC2:TIDIG_COMP_CNT: 1
	.section	.text._ZN4vllm3moe10topkGatingILi4ELi128ELi4ELi16ELi32EifLNS0_11ScoringFuncE1EEEvPKT5_PKbPfiPT4_PiiiibPKf,"axG",@progbits,_ZN4vllm3moe10topkGatingILi4ELi128ELi4ELi16ELi32EifLNS0_11ScoringFuncE1EEEvPKT5_PKbPfiPT4_PiiiibPKf,comdat
	.protected	_ZN4vllm3moe10topkGatingILi4ELi128ELi4ELi16ELi32EifLNS0_11ScoringFuncE1EEEvPKT5_PKbPfiPT4_PiiiibPKf ; -- Begin function _ZN4vllm3moe10topkGatingILi4ELi128ELi4ELi16ELi32EifLNS0_11ScoringFuncE1EEEvPKT5_PKbPfiPT4_PiiiibPKf
	.globl	_ZN4vllm3moe10topkGatingILi4ELi128ELi4ELi16ELi32EifLNS0_11ScoringFuncE1EEEvPKT5_PKbPfiPT4_PiiiibPKf
	.p2align	8
	.type	_ZN4vllm3moe10topkGatingILi4ELi128ELi4ELi16ELi32EifLNS0_11ScoringFuncE1EEEvPKT5_PKbPfiPT4_PiiiibPKf,@function
_ZN4vllm3moe10topkGatingILi4ELi128ELi4ELi16ELi32EifLNS0_11ScoringFuncE1EEEvPKT5_PKbPfiPT4_PiiiibPKf: ; @_ZN4vllm3moe10topkGatingILi4ELi128ELi4ELi16ELi32EifLNS0_11ScoringFuncE1EEEvPKT5_PKbPfiPT4_PiiiibPKf
; %bb.0:
	s_load_b32 s14, s[0:1], 0x18
	v_and_b32_e32 v1, 0x3ff, v0
	v_bfe_u32 v0, v0, 10, 10
	s_lshl_b32 s2, s15, 2
	s_delay_alu instid0(VALU_DEP_2) | instskip(NEXT) | instid1(VALU_DEP_1)
	v_lshrrev_b32_e32 v2, 5, v1
	v_add3_u32 v8, s2, v0, v2
	s_mov_b32 s2, exec_lo
	s_waitcnt lgkmcnt(0)
	s_delay_alu instid0(VALU_DEP_1)
	v_cmpx_gt_i32_e64 s14, v8
	s_cbranch_execz .LBB203_41
; %bb.1:
	s_clause 0x1
	s_load_b128 s[4:7], s[0:1], 0x0
	s_load_b64 s[12:13], s[0:1], 0x10
	s_mov_b32 s8, -1
	s_mov_b32 s15, -1
	s_waitcnt lgkmcnt(0)
	s_cmp_eq_u64 s[6:7], 0
	s_cbranch_scc1 .LBB203_3
; %bb.2:
	v_ashrrev_i32_e32 v0, 31, v8
	v_add_co_u32 v2, vcc_lo, s6, v8
	s_delay_alu instid0(VALU_DEP_2) | instskip(SKIP_3) | instid1(VALU_DEP_1)
	v_add_co_ci_u32_e32 v3, vcc_lo, s7, v0, vcc_lo
	global_load_u8 v0, v[2:3], off
	s_waitcnt vmcnt(0)
	v_and_b32_e32 v0, 1, v0
	v_cmp_eq_u32_e32 vcc_lo, 1, v0
	s_xor_b32 s2, vcc_lo, -1
	s_delay_alu instid0(SALU_CYCLE_1)
	s_or_not1_b32 s15, s2, exec_lo
.LBB203_3:
	v_lshlrev_b32_e32 v2, 7, v8
	v_and_b32_e32 v9, 31, v1
	s_load_b64 s[6:7], s[0:1], 0x40
	s_delay_alu instid0(VALU_DEP_2) | instskip(NEXT) | instid1(VALU_DEP_1)
	v_ashrrev_i32_e32 v3, 31, v2
	v_lshlrev_b64 v[0:1], 2, v[2:3]
	s_delay_alu instid0(VALU_DEP_3) | instskip(NEXT) | instid1(VALU_DEP_2)
	v_lshlrev_b32_e32 v2, 4, v9
	v_add_co_u32 v0, vcc_lo, s4, v0
	s_delay_alu instid0(VALU_DEP_3) | instskip(NEXT) | instid1(VALU_DEP_2)
	v_add_co_ci_u32_e32 v1, vcc_lo, s5, v1, vcc_lo
	v_add_co_u32 v0, vcc_lo, v0, v2
	s_delay_alu instid0(VALU_DEP_2)
	v_add_co_ci_u32_e32 v1, vcc_lo, 0, v1, vcc_lo
	s_waitcnt lgkmcnt(0)
	s_cmp_eq_u64 s[6:7], 0
	global_load_b128 v[0:3], v[0:1], off
	s_waitcnt vmcnt(0)
	v_dual_mul_f32 v3, 0xbfb8aa3b, v3 :: v_dual_mul_f32 v0, 0xbfb8aa3b, v0
	v_mul_f32_e32 v1, 0xbfb8aa3b, v1
	s_delay_alu instid0(VALU_DEP_2) | instskip(NEXT) | instid1(VALU_DEP_2)
	v_exp_f32_e32 v3, v3
	v_exp_f32_e32 v0, v0
	s_delay_alu instid0(VALU_DEP_1) | instskip(NEXT) | instid1(TRANS32_DEP_3)
	v_exp_f32_e32 v1, v1
	v_dual_mul_f32 v2, 0xbfb8aa3b, v2 :: v_dual_add_f32 v3, 1.0, v3
	s_waitcnt_depctr 0xfff
	v_dual_add_f32 v0, 1.0, v0 :: v_dual_add_f32 v1, 1.0, v1
	v_exp_f32_e32 v2, v2
	v_div_scale_f32 v7, null, v3, v3, 1.0
	s_delay_alu instid0(VALU_DEP_2) | instskip(NEXT) | instid1(VALU_DEP_3)
	v_div_scale_f32 v4, null, v0, v0, 1.0
	v_div_scale_f32 v5, null, v1, v1, 1.0
	v_div_scale_f32 v15, vcc_lo, 1.0, v0, 1.0
	s_delay_alu instid0(VALU_DEP_3) | instskip(NEXT) | instid1(VALU_DEP_2)
	v_rcp_f32_e32 v11, v4
	v_rcp_f32_e32 v12, v5
	;; [unrolled: 1-line block ×3, first 2 shown]
	v_div_scale_f32 v16, s2, 1.0, v1, 1.0
	v_div_scale_f32 v21, s4, 1.0, v3, 1.0
	s_delay_alu instid0(TRANS32_DEP_3)
	v_fma_f32 v10, -v4, v11, 1.0
	v_add_f32_e32 v2, 1.0, v2
	s_waitcnt_depctr 0xfff
	v_fma_f32 v18, -v5, v12, 1.0
	v_fma_f32 v20, -v7, v14, 1.0
	v_fmac_f32_e32 v11, v10, v11
	v_div_scale_f32 v6, null, v2, v2, 1.0
	v_div_scale_f32 v17, s3, 1.0, v2, 1.0
	s_delay_alu instid0(VALU_DEP_2) | instskip(SKIP_4) | instid1(VALU_DEP_3)
	v_rcp_f32_e32 v13, v6
	s_waitcnt_depctr 0xfff
	v_fma_f32 v19, -v6, v13, 1.0
	v_fmac_f32_e32 v12, v18, v12
	v_mul_f32_e32 v18, v15, v11
	v_fmac_f32_e32 v13, v19, v13
	s_delay_alu instid0(VALU_DEP_3) | instskip(NEXT) | instid1(VALU_DEP_3)
	v_mul_f32_e32 v19, v16, v12
	v_fma_f32 v10, -v4, v18, v15
	s_delay_alu instid0(VALU_DEP_2) | instskip(NEXT) | instid1(VALU_DEP_2)
	v_fma_f32 v23, -v5, v19, v16
	v_fmac_f32_e32 v18, v10, v11
	v_fmac_f32_e32 v14, v20, v14
	v_mul_f32_e32 v20, v17, v13
	s_delay_alu instid0(VALU_DEP_4) | instskip(NEXT) | instid1(VALU_DEP_4)
	v_dual_fmac_f32 v19, v23, v12 :: v_dual_lshlrev_b32 v10, 2, v9
	v_fma_f32 v4, -v4, v18, v15
	s_delay_alu instid0(VALU_DEP_3) | instskip(NEXT) | instid1(VALU_DEP_3)
	v_fma_f32 v24, -v6, v20, v17
	v_fma_f32 v5, -v5, v19, v16
	s_delay_alu instid0(VALU_DEP_3) | instskip(SKIP_1) | instid1(VALU_DEP_3)
	v_div_fmas_f32 v4, v4, v11, v18
	s_mov_b32 vcc_lo, s2
	v_fmac_f32_e32 v20, v24, v13
	s_delay_alu instid0(VALU_DEP_3) | instskip(NEXT) | instid1(VALU_DEP_3)
	v_div_fmas_f32 v5, v5, v12, v19
	v_div_fixup_f32 v0, v4, v0, 1.0
	s_mov_b32 vcc_lo, s3
	s_delay_alu instid0(VALU_DEP_3) | instskip(NEXT) | instid1(VALU_DEP_3)
	v_fma_f32 v6, -v6, v20, v17
	v_div_fixup_f32 v1, v5, v1, 1.0
	v_mul_f32_e32 v22, v21, v14
	s_delay_alu instid0(VALU_DEP_3) | instskip(SKIP_1) | instid1(VALU_DEP_2)
	v_div_fmas_f32 v6, v6, v13, v20
	s_mov_b32 vcc_lo, s4
	v_fma_f32 v25, -v7, v22, v21
	s_delay_alu instid0(VALU_DEP_2) | instskip(NEXT) | instid1(VALU_DEP_2)
	v_div_fixup_f32 v2, v6, v2, 1.0
	v_fmac_f32_e32 v22, v25, v14
	s_delay_alu instid0(VALU_DEP_1) | instskip(NEXT) | instid1(VALU_DEP_1)
	v_fma_f32 v7, -v7, v22, v21
	v_div_fmas_f32 v4, v7, v14, v22
	v_cmp_class_f32_e64 vcc_lo, v0, 0x1f8
	s_delay_alu instid0(VALU_DEP_2)
	v_div_fixup_f32 v3, v4, v3, 1.0
	v_cndmask_b32_e32 v0, 0, v0, vcc_lo
	v_cmp_class_f32_e64 vcc_lo, v1, 0x1f8
	v_cndmask_b32_e32 v1, 0, v1, vcc_lo
	v_cmp_class_f32_e64 vcc_lo, v2, 0x1f8
	;; [unrolled: 2-line block ×3, first 2 shown]
	v_cndmask_b32_e32 v3, 0, v3, vcc_lo
	s_cbranch_scc1 .LBB203_35
; %bb.4:
	v_lshlrev_b32_e32 v4, 2, v10
	global_load_b128 v[4:7], v4, s[6:7]
	s_waitcnt vmcnt(0)
	v_dual_add_f32 v5, v5, v1 :: v_dual_add_f32 v4, v4, v0
	v_dual_add_f32 v7, v7, v3 :: v_dual_add_f32 v6, v6, v2
	s_cbranch_execnz .LBB203_6
.LBB203_5:
	v_dual_mov_b32 v7, v3 :: v_dual_mov_b32 v6, v2
	v_dual_mov_b32 v5, v1 :: v_dual_mov_b32 v4, v0
.LBB203_6:
	s_load_b128 s[4:7], s[0:1], 0x30
	v_cmp_eq_u32_e64 s2, 0, v9
	s_waitcnt lgkmcnt(0)
	s_bitcmp1_b32 s7, 0
	s_mov_b32 s7, 0
	s_cselect_b32 vcc_lo, -1, 0
	s_cmp_gt_i32 s4, 0
	s_cselect_b32 s3, -1, 0
	s_cmp_lt_i32 s4, 1
	s_cbranch_scc1 .LBB203_36
; %bb.7:
	v_mbcnt_lo_u32_b32 v12, -1, 0
	s_load_b128 s[8:11], s[0:1], 0x20
	v_mul_lo_u32 v11, v8, s4
	v_mov_b32_e32 v18, v8
	s_delay_alu instid0(VALU_DEP_3)
	v_xor_b32_e32 v13, 16, v12
	v_xor_b32_e32 v14, 8, v12
	;; [unrolled: 1-line block ×5, first 2 shown]
	v_cmp_gt_i32_e64 s0, 32, v13
	s_delay_alu instid0(VALU_DEP_1) | instskip(SKIP_1) | instid1(VALU_DEP_2)
	v_cndmask_b32_e64 v13, v12, v13, s0
	v_cmp_gt_i32_e64 s0, 32, v14
	v_lshlrev_b32_e32 v13, 2, v13
	s_delay_alu instid0(VALU_DEP_2) | instskip(SKIP_1) | instid1(VALU_DEP_2)
	v_cndmask_b32_e64 v14, v12, v14, s0
	v_cmp_gt_i32_e64 s0, 32, v15
	v_lshlrev_b32_e32 v14, 2, v14
	s_delay_alu instid0(VALU_DEP_2) | instskip(SKIP_1) | instid1(VALU_DEP_2)
	;; [unrolled: 4-line block ×3, first 2 shown]
	v_cndmask_b32_e64 v16, v12, v16, s0
	v_cmp_gt_i32_e64 s0, 32, v17
	v_lshlrev_b32_e32 v16, 2, v16
	s_delay_alu instid0(VALU_DEP_2) | instskip(NEXT) | instid1(VALU_DEP_1)
	v_cndmask_b32_e64 v12, v12, v17, s0
	v_dual_mov_b32 v12, 0 :: v_dual_lshlrev_b32 v17, 2, v12
	s_branch .LBB203_10
.LBB203_8:                              ;   in Loop: Header=BB203_10 Depth=1
	s_or_b32 exec_lo, exec_lo, s1
.LBB203_9:                              ;   in Loop: Header=BB203_10 Depth=1
	v_add_nc_u32_e32 v18, s14, v18
	s_cmp_eq_u32 s4, s7
	s_cbranch_scc1 .LBB203_37
.LBB203_10:                             ; =>This Inner Loop Header: Depth=1
	v_cmp_gt_f32_e64 s0, v5, v4
	s_mov_b32 s17, exec_lo
	s_delay_alu instid0(VALU_DEP_1) | instskip(SKIP_2) | instid1(VALU_DEP_3)
	v_cndmask_b32_e64 v20, v4, v5, s0
	v_cndmask_b32_e64 v19, 0, 1, s0
	;; [unrolled: 1-line block ×3, first 2 shown]
	v_cmp_gt_f32_e64 s1, v6, v20
	s_delay_alu instid0(VALU_DEP_1) | instskip(NEXT) | instid1(VALU_DEP_4)
	v_cndmask_b32_e64 v20, v20, v6, s1
	v_cndmask_b32_e64 v19, v19, 2, s1
	s_waitcnt lgkmcnt(0)
	v_cndmask_b32_e64 v22, v21, v2, s1
	s_delay_alu instid0(VALU_DEP_3) | instskip(NEXT) | instid1(VALU_DEP_1)
	v_cmp_gt_f32_e64 s0, v7, v20
	v_cndmask_b32_e64 v19, v19, 3, s0
	v_cndmask_b32_e64 v21, v20, v7, s0
	s_delay_alu instid0(VALU_DEP_4) | instskip(NEXT) | instid1(VALU_DEP_3)
	v_cndmask_b32_e64 v20, v22, v3, s0
	v_or_b32_e32 v19, v10, v19
	ds_bpermute_b32 v22, v13, v21
	ds_bpermute_b32 v24, v13, v20
	ds_bpermute_b32 v23, v13, v19
	s_waitcnt lgkmcnt(0)
	v_cmp_lt_f32_e64 s16, v21, v22
	v_cmpx_nlt_f32_e32 v21, v22
; %bb.11:                               ;   in Loop: Header=BB203_10 Depth=1
	v_cmp_eq_f32_e64 s0, v21, v22
	v_cmp_lt_i32_e64 s1, v23, v19
	s_delay_alu instid0(VALU_DEP_1) | instskip(SKIP_2) | instid1(SALU_CYCLE_1)
	s_and_b32 s0, s0, s1
	s_and_not1_b32 s1, s16, exec_lo
	s_and_b32 s0, s0, exec_lo
	s_or_b32 s16, s1, s0
; %bb.12:                               ;   in Loop: Header=BB203_10 Depth=1
	s_or_b32 exec_lo, exec_lo, s17
	s_and_saveexec_b32 s0, s16
; %bb.13:                               ;   in Loop: Header=BB203_10 Depth=1
	v_dual_mov_b32 v20, v24 :: v_dual_mov_b32 v21, v22
	v_mov_b32_e32 v19, v23
; %bb.14:                               ;   in Loop: Header=BB203_10 Depth=1
	s_or_b32 exec_lo, exec_lo, s0
	ds_bpermute_b32 v22, v14, v21
	ds_bpermute_b32 v24, v14, v20
	;; [unrolled: 1-line block ×3, first 2 shown]
	s_mov_b32 s17, exec_lo
	s_waitcnt lgkmcnt(2)
	v_cmp_lt_f32_e64 s16, v21, v22
	v_cmpx_nlt_f32_e32 v21, v22
	s_cbranch_execz .LBB203_16
; %bb.15:                               ;   in Loop: Header=BB203_10 Depth=1
	v_cmp_eq_f32_e64 s0, v21, v22
	s_waitcnt lgkmcnt(0)
	v_cmp_lt_i32_e64 s1, v23, v19
	s_delay_alu instid0(VALU_DEP_1) | instskip(SKIP_2) | instid1(SALU_CYCLE_1)
	s_and_b32 s0, s0, s1
	s_and_not1_b32 s1, s16, exec_lo
	s_and_b32 s0, s0, exec_lo
	s_or_b32 s16, s1, s0
.LBB203_16:                             ;   in Loop: Header=BB203_10 Depth=1
	s_or_b32 exec_lo, exec_lo, s17
	s_delay_alu instid0(VALU_DEP_2)
	s_and_saveexec_b32 s0, s16
	s_cbranch_execz .LBB203_18
; %bb.17:                               ;   in Loop: Header=BB203_10 Depth=1
	s_waitcnt lgkmcnt(1)
	v_dual_mov_b32 v20, v24 :: v_dual_mov_b32 v21, v22
	s_waitcnt lgkmcnt(0)
	v_mov_b32_e32 v19, v23
.LBB203_18:                             ;   in Loop: Header=BB203_10 Depth=1
	s_or_b32 exec_lo, exec_lo, s0
	ds_bpermute_b32 v22, v15, v21
	s_waitcnt lgkmcnt(2)
	ds_bpermute_b32 v24, v15, v20
	s_waitcnt lgkmcnt(2)
	ds_bpermute_b32 v23, v15, v19
	s_mov_b32 s17, exec_lo
	s_waitcnt lgkmcnt(2)
	v_cmp_lt_f32_e64 s16, v21, v22
	v_cmpx_nlt_f32_e32 v21, v22
	s_cbranch_execz .LBB203_20
; %bb.19:                               ;   in Loop: Header=BB203_10 Depth=1
	v_cmp_eq_f32_e64 s0, v21, v22
	s_waitcnt lgkmcnt(0)
	v_cmp_lt_i32_e64 s1, v23, v19
	s_delay_alu instid0(VALU_DEP_1) | instskip(SKIP_2) | instid1(SALU_CYCLE_1)
	s_and_b32 s0, s0, s1
	s_and_not1_b32 s1, s16, exec_lo
	s_and_b32 s0, s0, exec_lo
	s_or_b32 s16, s1, s0
.LBB203_20:                             ;   in Loop: Header=BB203_10 Depth=1
	s_or_b32 exec_lo, exec_lo, s17
	s_delay_alu instid0(VALU_DEP_2)
	s_and_saveexec_b32 s0, s16
	s_cbranch_execz .LBB203_22
; %bb.21:                               ;   in Loop: Header=BB203_10 Depth=1
	s_waitcnt lgkmcnt(1)
	v_dual_mov_b32 v20, v24 :: v_dual_mov_b32 v21, v22
	s_waitcnt lgkmcnt(0)
	v_mov_b32_e32 v19, v23
.LBB203_22:                             ;   in Loop: Header=BB203_10 Depth=1
	s_or_b32 exec_lo, exec_lo, s0
	ds_bpermute_b32 v22, v16, v21
	s_waitcnt lgkmcnt(2)
	ds_bpermute_b32 v24, v16, v20
	s_waitcnt lgkmcnt(2)
	ds_bpermute_b32 v23, v16, v19
	s_mov_b32 s17, exec_lo
	s_waitcnt lgkmcnt(2)
	v_cmp_lt_f32_e64 s16, v21, v22
	v_cmpx_nlt_f32_e32 v21, v22
	s_cbranch_execz .LBB203_24
; %bb.23:                               ;   in Loop: Header=BB203_10 Depth=1
	v_cmp_eq_f32_e64 s0, v21, v22
	s_waitcnt lgkmcnt(0)
	v_cmp_lt_i32_e64 s1, v23, v19
	s_delay_alu instid0(VALU_DEP_1) | instskip(SKIP_2) | instid1(SALU_CYCLE_1)
	s_and_b32 s0, s0, s1
	s_and_not1_b32 s1, s16, exec_lo
	s_and_b32 s0, s0, exec_lo
	s_or_b32 s16, s1, s0
.LBB203_24:                             ;   in Loop: Header=BB203_10 Depth=1
	s_or_b32 exec_lo, exec_lo, s17
	s_delay_alu instid0(VALU_DEP_2)
	s_and_saveexec_b32 s0, s16
	s_cbranch_execz .LBB203_26
; %bb.25:                               ;   in Loop: Header=BB203_10 Depth=1
	s_waitcnt lgkmcnt(1)
	v_dual_mov_b32 v20, v24 :: v_dual_mov_b32 v21, v22
	s_waitcnt lgkmcnt(0)
	v_mov_b32_e32 v19, v23
.LBB203_26:                             ;   in Loop: Header=BB203_10 Depth=1
	s_or_b32 exec_lo, exec_lo, s0
	s_waitcnt lgkmcnt(1)
	ds_bpermute_b32 v24, v17, v21
	ds_bpermute_b32 v22, v17, v20
	s_waitcnt lgkmcnt(2)
	ds_bpermute_b32 v23, v17, v19
	s_mov_b32 s17, exec_lo
	s_waitcnt lgkmcnt(2)
	v_cmp_lt_f32_e64 s16, v21, v24
	v_cmpx_nlt_f32_e32 v21, v24
	s_cbranch_execnz .LBB203_30
; %bb.27:                               ;   in Loop: Header=BB203_10 Depth=1
	s_or_b32 exec_lo, exec_lo, s17
	s_delay_alu instid0(VALU_DEP_2)
	s_and_saveexec_b32 s0, s16
	s_cbranch_execnz .LBB203_31
.LBB203_28:                             ;   in Loop: Header=BB203_10 Depth=1
	s_or_b32 exec_lo, exec_lo, s0
	s_and_saveexec_b32 s16, s2
	s_cbranch_execnz .LBB203_32
.LBB203_29:                             ;   in Loop: Header=BB203_10 Depth=1
	s_or_b32 exec_lo, exec_lo, s16
	s_add_i32 s7, s7, 1
	s_delay_alu instid0(SALU_CYCLE_1)
	s_cmp_ge_i32 s7, s4
	s_cbranch_scc1 .LBB203_9
	s_branch .LBB203_33
.LBB203_30:                             ;   in Loop: Header=BB203_10 Depth=1
	v_cmp_eq_f32_e64 s0, v21, v24
	s_waitcnt lgkmcnt(0)
	v_cmp_lt_i32_e64 s1, v23, v19
	s_delay_alu instid0(VALU_DEP_1) | instskip(SKIP_2) | instid1(SALU_CYCLE_1)
	s_and_b32 s0, s0, s1
	s_and_not1_b32 s1, s16, exec_lo
	s_and_b32 s0, s0, exec_lo
	s_or_b32 s16, s1, s0
	s_or_b32 exec_lo, exec_lo, s17
	s_and_saveexec_b32 s0, s16
	s_cbranch_execz .LBB203_28
.LBB203_31:                             ;   in Loop: Header=BB203_10 Depth=1
	s_waitcnt lgkmcnt(0)
	v_dual_mov_b32 v19, v23 :: v_dual_mov_b32 v20, v22
	s_or_b32 exec_lo, exec_lo, s0
	s_and_saveexec_b32 s16, s2
	s_cbranch_execz .LBB203_29
.LBB203_32:                             ;   in Loop: Header=BB203_10 Depth=1
	s_delay_alu instid0(VALU_DEP_1)
	v_dual_add_f32 v28, v12, v20 :: v_dual_add_nc_u32 v21, s7, v11
	v_cmp_le_i32_e64 s0, s5, v19
	v_cmp_gt_i32_e64 s1, s6, v19
	s_waitcnt lgkmcnt(0)
	v_subrev_nc_u32_e32 v23, s5, v19
	v_ashrrev_i32_e32 v22, 31, v21
	v_cndmask_b32_e32 v12, v12, v28, vcc_lo
	s_and_b32 s0, s0, s1
	s_delay_alu instid0(SALU_CYCLE_1) | instskip(NEXT) | instid1(VALU_DEP_2)
	s_and_b32 s0, s15, s0
	v_lshlrev_b64 v[21:22], 2, v[21:22]
	v_cndmask_b32_e64 v27, 0x80, v23, s0
	s_delay_alu instid0(VALU_DEP_2) | instskip(NEXT) | instid1(VALU_DEP_1)
	v_add_co_u32 v23, s0, s12, v21
	v_add_co_ci_u32_e64 v24, s0, s13, v22, s0
	v_add_co_u32 v25, s0, s8, v21
	s_delay_alu instid0(VALU_DEP_1) | instskip(SKIP_1) | instid1(VALU_DEP_1)
	v_add_co_ci_u32_e64 v26, s0, s9, v22, s0
	v_add_co_u32 v21, s0, s10, v21
	v_add_co_ci_u32_e64 v22, s0, s11, v22, s0
	global_store_b32 v[23:24], v20, off
	global_store_b32 v[25:26], v27, off
	;; [unrolled: 1-line block ×3, first 2 shown]
	s_or_b32 exec_lo, exec_lo, s16
	s_add_i32 s7, s7, 1
	s_delay_alu instid0(SALU_CYCLE_1)
	s_cmp_ge_i32 s7, s4
	s_cbranch_scc1 .LBB203_9
.LBB203_33:                             ;   in Loop: Header=BB203_10 Depth=1
	v_ashrrev_i32_e32 v20, 31, v19
	s_mov_b32 s1, exec_lo
	s_delay_alu instid0(VALU_DEP_1) | instskip(NEXT) | instid1(VALU_DEP_1)
	v_lshrrev_b32_e32 v21, 30, v20
	v_add_nc_u32_e32 v21, v19, v21
	s_waitcnt lgkmcnt(1)
	s_delay_alu instid0(VALU_DEP_1) | instskip(SKIP_1) | instid1(VALU_DEP_2)
	v_ashrrev_i32_e32 v22, 31, v21
	v_ashrrev_i32_e32 v21, 2, v21
	v_lshrrev_b32_e32 v22, 27, v22
	s_delay_alu instid0(VALU_DEP_1) | instskip(NEXT) | instid1(VALU_DEP_1)
	v_add_nc_u32_e32 v22, v21, v22
	v_and_b32_e32 v22, 0xffffffe0, v22
	s_delay_alu instid0(VALU_DEP_1) | instskip(NEXT) | instid1(VALU_DEP_1)
	v_sub_nc_u32_e32 v22, v21, v22
	v_cmpx_eq_u32_e64 v9, v22
	s_cbranch_execz .LBB203_8
; %bb.34:                               ;   in Loop: Header=BB203_10 Depth=1
	v_lshrrev_b32_e32 v20, 25, v20
	v_lshlrev_b32_e32 v21, 2, v21
	s_delay_alu instid0(VALU_DEP_2) | instskip(NEXT) | instid1(VALU_DEP_2)
	v_add_nc_u32_e32 v20, v19, v20
	v_sub_nc_u32_e32 v19, v19, v21
	s_delay_alu instid0(VALU_DEP_2) | instskip(NEXT) | instid1(VALU_DEP_1)
	v_ashrrev_i32_e32 v20, 7, v20
	v_lshl_add_u32 v19, v20, 2, v19
	s_delay_alu instid0(VALU_DEP_1) | instskip(NEXT) | instid1(VALU_DEP_1)
	v_cmp_ne_u32_e64 s0, 3, v19
	v_cndmask_b32_e64 v7, 0xc61c4000, v7, s0
	v_cmp_ne_u32_e64 s0, 2, v19
	s_delay_alu instid0(VALU_DEP_1) | instskip(SKIP_1) | instid1(VALU_DEP_1)
	v_cndmask_b32_e64 v6, 0xc61c4000, v6, s0
	v_cmp_ne_u32_e64 s0, 1, v19
	v_cndmask_b32_e64 v5, 0xc61c4000, v5, s0
	v_cmp_ne_u32_e64 s0, 0, v19
	s_delay_alu instid0(VALU_DEP_1)
	v_cndmask_b32_e64 v4, 0xc61c4000, v4, s0
	s_branch .LBB203_8
.LBB203_35:
                                        ; implicit-def: $vgpr4_vgpr5_vgpr6_vgpr7
	s_and_not1_b32 vcc_lo, exec_lo, s8
	s_cbranch_vccz .LBB203_5
	s_branch .LBB203_6
.LBB203_36:
	v_mov_b32_e32 v12, 0
.LBB203_37:
	v_cmp_eq_u32_e64 s0, 0, v9
	s_delay_alu instid0(VALU_DEP_1) | instskip(NEXT) | instid1(SALU_CYCLE_1)
	s_and_b32 s0, s0, vcc_lo
	s_and_b32 exec_lo, exec_lo, s0
	s_cbranch_execz .LBB203_41
; %bb.38:
	s_and_not1_b32 vcc_lo, exec_lo, s3
	s_cbranch_vccnz .LBB203_41
; %bb.39:
	v_mul_lo_u32 v0, v8, s4
	v_cmp_lt_f32_e32 vcc_lo, 0, v12
	v_cndmask_b32_e32 v2, 1.0, v12, vcc_lo
	s_delay_alu instid0(VALU_DEP_3) | instskip(NEXT) | instid1(VALU_DEP_1)
	v_ashrrev_i32_e32 v1, 31, v0
	v_lshlrev_b64 v[0:1], 2, v[0:1]
	s_delay_alu instid0(VALU_DEP_1) | instskip(NEXT) | instid1(VALU_DEP_2)
	v_add_co_u32 v0, vcc_lo, s12, v0
	v_add_co_ci_u32_e32 v1, vcc_lo, s13, v1, vcc_lo
	.p2align	6
.LBB203_40:                             ; =>This Inner Loop Header: Depth=1
	global_load_b32 v3, v[0:1], off
	s_add_i32 s4, s4, -1
	s_delay_alu instid0(SALU_CYCLE_1) | instskip(SKIP_3) | instid1(VALU_DEP_2)
	s_cmp_lg_u32 s4, 0
	s_waitcnt vmcnt(0)
	v_div_scale_f32 v4, null, v2, v2, v3
	v_div_scale_f32 v7, vcc_lo, v3, v2, v3
	v_rcp_f32_e32 v5, v4
	s_waitcnt_depctr 0xfff
	v_fma_f32 v6, -v4, v5, 1.0
	s_delay_alu instid0(VALU_DEP_1) | instskip(NEXT) | instid1(VALU_DEP_1)
	v_fmac_f32_e32 v5, v6, v5
	v_mul_f32_e32 v6, v7, v5
	s_delay_alu instid0(VALU_DEP_1) | instskip(NEXT) | instid1(VALU_DEP_1)
	v_fma_f32 v8, -v4, v6, v7
	v_fmac_f32_e32 v6, v8, v5
	s_delay_alu instid0(VALU_DEP_1) | instskip(NEXT) | instid1(VALU_DEP_1)
	v_fma_f32 v4, -v4, v6, v7
	v_div_fmas_f32 v4, v4, v5, v6
	s_delay_alu instid0(VALU_DEP_1)
	v_div_fixup_f32 v3, v4, v2, v3
	global_store_b32 v[0:1], v3, off
	v_add_co_u32 v0, vcc_lo, v0, 4
	v_add_co_ci_u32_e32 v1, vcc_lo, 0, v1, vcc_lo
	s_cbranch_scc1 .LBB203_40
.LBB203_41:
	s_nop 0
	s_sendmsg sendmsg(MSG_DEALLOC_VGPRS)
	s_endpgm
	.section	.rodata,"a",@progbits
	.p2align	6, 0x0
	.amdhsa_kernel _ZN4vllm3moe10topkGatingILi4ELi128ELi4ELi16ELi32EifLNS0_11ScoringFuncE1EEEvPKT5_PKbPfiPT4_PiiiibPKf
		.amdhsa_group_segment_fixed_size 0
		.amdhsa_private_segment_fixed_size 0
		.amdhsa_kernarg_size 72
		.amdhsa_user_sgpr_count 15
		.amdhsa_user_sgpr_dispatch_ptr 0
		.amdhsa_user_sgpr_queue_ptr 0
		.amdhsa_user_sgpr_kernarg_segment_ptr 1
		.amdhsa_user_sgpr_dispatch_id 0
		.amdhsa_user_sgpr_private_segment_size 0
		.amdhsa_wavefront_size32 1
		.amdhsa_uses_dynamic_stack 0
		.amdhsa_enable_private_segment 0
		.amdhsa_system_sgpr_workgroup_id_x 1
		.amdhsa_system_sgpr_workgroup_id_y 0
		.amdhsa_system_sgpr_workgroup_id_z 0
		.amdhsa_system_sgpr_workgroup_info 0
		.amdhsa_system_vgpr_workitem_id 1
		.amdhsa_next_free_vgpr 29
		.amdhsa_next_free_sgpr 18
		.amdhsa_reserve_vcc 1
		.amdhsa_float_round_mode_32 0
		.amdhsa_float_round_mode_16_64 0
		.amdhsa_float_denorm_mode_32 3
		.amdhsa_float_denorm_mode_16_64 3
		.amdhsa_dx10_clamp 1
		.amdhsa_ieee_mode 1
		.amdhsa_fp16_overflow 0
		.amdhsa_workgroup_processor_mode 1
		.amdhsa_memory_ordered 1
		.amdhsa_forward_progress 0
		.amdhsa_shared_vgpr_count 0
		.amdhsa_exception_fp_ieee_invalid_op 0
		.amdhsa_exception_fp_denorm_src 0
		.amdhsa_exception_fp_ieee_div_zero 0
		.amdhsa_exception_fp_ieee_overflow 0
		.amdhsa_exception_fp_ieee_underflow 0
		.amdhsa_exception_fp_ieee_inexact 0
		.amdhsa_exception_int_div_zero 0
	.end_amdhsa_kernel
	.section	.text._ZN4vllm3moe10topkGatingILi4ELi128ELi4ELi16ELi32EifLNS0_11ScoringFuncE1EEEvPKT5_PKbPfiPT4_PiiiibPKf,"axG",@progbits,_ZN4vllm3moe10topkGatingILi4ELi128ELi4ELi16ELi32EifLNS0_11ScoringFuncE1EEEvPKT5_PKbPfiPT4_PiiiibPKf,comdat
.Lfunc_end203:
	.size	_ZN4vllm3moe10topkGatingILi4ELi128ELi4ELi16ELi32EifLNS0_11ScoringFuncE1EEEvPKT5_PKbPfiPT4_PiiiibPKf, .Lfunc_end203-_ZN4vllm3moe10topkGatingILi4ELi128ELi4ELi16ELi32EifLNS0_11ScoringFuncE1EEEvPKT5_PKbPfiPT4_PiiiibPKf
                                        ; -- End function
	.section	.AMDGPU.csdata,"",@progbits
; Kernel info:
; codeLenInByte = 2500
; NumSgprs: 20
; NumVgprs: 29
; ScratchSize: 0
; MemoryBound: 0
; FloatMode: 240
; IeeeMode: 1
; LDSByteSize: 0 bytes/workgroup (compile time only)
; SGPRBlocks: 2
; VGPRBlocks: 3
; NumSGPRsForWavesPerEU: 20
; NumVGPRsForWavesPerEU: 29
; Occupancy: 16
; WaveLimiterHint : 0
; COMPUTE_PGM_RSRC2:SCRATCH_EN: 0
; COMPUTE_PGM_RSRC2:USER_SGPR: 15
; COMPUTE_PGM_RSRC2:TRAP_HANDLER: 0
; COMPUTE_PGM_RSRC2:TGID_X_EN: 1
; COMPUTE_PGM_RSRC2:TGID_Y_EN: 0
; COMPUTE_PGM_RSRC2:TGID_Z_EN: 0
; COMPUTE_PGM_RSRC2:TIDIG_COMP_CNT: 1
	.section	.text._ZN4vllm3moe10topkGatingILi4ELi256ELi4ELi16ELi64EifLNS0_11ScoringFuncE1EEEvPKT5_PKbPfiPT4_PiiiibPKf,"axG",@progbits,_ZN4vllm3moe10topkGatingILi4ELi256ELi4ELi16ELi64EifLNS0_11ScoringFuncE1EEEvPKT5_PKbPfiPT4_PiiiibPKf,comdat
	.protected	_ZN4vllm3moe10topkGatingILi4ELi256ELi4ELi16ELi64EifLNS0_11ScoringFuncE1EEEvPKT5_PKbPfiPT4_PiiiibPKf ; -- Begin function _ZN4vllm3moe10topkGatingILi4ELi256ELi4ELi16ELi64EifLNS0_11ScoringFuncE1EEEvPKT5_PKbPfiPT4_PiiiibPKf
	.globl	_ZN4vllm3moe10topkGatingILi4ELi256ELi4ELi16ELi64EifLNS0_11ScoringFuncE1EEEvPKT5_PKbPfiPT4_PiiiibPKf
	.p2align	8
	.type	_ZN4vllm3moe10topkGatingILi4ELi256ELi4ELi16ELi64EifLNS0_11ScoringFuncE1EEEvPKT5_PKbPfiPT4_PiiiibPKf,@function
_ZN4vllm3moe10topkGatingILi4ELi256ELi4ELi16ELi64EifLNS0_11ScoringFuncE1EEEvPKT5_PKbPfiPT4_PiiiibPKf: ; @_ZN4vllm3moe10topkGatingILi4ELi256ELi4ELi16ELi64EifLNS0_11ScoringFuncE1EEEvPKT5_PKbPfiPT4_PiiiibPKf
; %bb.0:
	s_load_b32 s14, s[0:1], 0x18
	v_and_b32_e32 v1, 0x3ff, v0
	v_bfe_u32 v0, v0, 10, 10
	s_lshl_b32 s2, s15, 2
	s_delay_alu instid0(VALU_DEP_2) | instskip(NEXT) | instid1(VALU_DEP_1)
	v_lshrrev_b32_e32 v2, 6, v1
	v_add3_u32 v8, s2, v0, v2
	s_mov_b32 s2, exec_lo
	s_waitcnt lgkmcnt(0)
	s_delay_alu instid0(VALU_DEP_1)
	v_cmpx_gt_i32_e64 s14, v8
	s_cbranch_execz .LBB204_45
; %bb.1:
	s_clause 0x1
	s_load_b128 s[4:7], s[0:1], 0x0
	s_load_b64 s[12:13], s[0:1], 0x10
	s_mov_b32 s8, -1
	s_mov_b32 s15, -1
	s_waitcnt lgkmcnt(0)
	s_cmp_eq_u64 s[6:7], 0
	s_cbranch_scc1 .LBB204_3
; %bb.2:
	v_ashrrev_i32_e32 v0, 31, v8
	v_add_co_u32 v2, vcc_lo, s6, v8
	s_delay_alu instid0(VALU_DEP_2) | instskip(SKIP_3) | instid1(VALU_DEP_1)
	v_add_co_ci_u32_e32 v3, vcc_lo, s7, v0, vcc_lo
	global_load_u8 v0, v[2:3], off
	s_waitcnt vmcnt(0)
	v_and_b32_e32 v0, 1, v0
	v_cmp_eq_u32_e32 vcc_lo, 1, v0
	s_xor_b32 s2, vcc_lo, -1
	s_delay_alu instid0(SALU_CYCLE_1)
	s_or_not1_b32 s15, s2, exec_lo
.LBB204_3:
	v_lshlrev_b32_e32 v2, 8, v8
	v_and_b32_e32 v9, 63, v1
	s_load_b64 s[6:7], s[0:1], 0x40
	s_delay_alu instid0(VALU_DEP_2) | instskip(NEXT) | instid1(VALU_DEP_1)
	v_ashrrev_i32_e32 v3, 31, v2
	v_lshlrev_b64 v[0:1], 2, v[2:3]
	s_delay_alu instid0(VALU_DEP_3) | instskip(NEXT) | instid1(VALU_DEP_2)
	v_lshlrev_b32_e32 v2, 4, v9
	v_add_co_u32 v0, vcc_lo, s4, v0
	s_delay_alu instid0(VALU_DEP_3) | instskip(NEXT) | instid1(VALU_DEP_2)
	v_add_co_ci_u32_e32 v1, vcc_lo, s5, v1, vcc_lo
	v_add_co_u32 v0, vcc_lo, v0, v2
	s_delay_alu instid0(VALU_DEP_2)
	v_add_co_ci_u32_e32 v1, vcc_lo, 0, v1, vcc_lo
	s_waitcnt lgkmcnt(0)
	s_cmp_eq_u64 s[6:7], 0
	global_load_b128 v[0:3], v[0:1], off
	s_waitcnt vmcnt(0)
	v_dual_mul_f32 v3, 0xbfb8aa3b, v3 :: v_dual_mul_f32 v0, 0xbfb8aa3b, v0
	v_mul_f32_e32 v1, 0xbfb8aa3b, v1
	s_delay_alu instid0(VALU_DEP_2) | instskip(NEXT) | instid1(VALU_DEP_2)
	v_exp_f32_e32 v3, v3
	v_exp_f32_e32 v0, v0
	s_delay_alu instid0(VALU_DEP_1) | instskip(NEXT) | instid1(TRANS32_DEP_3)
	v_exp_f32_e32 v1, v1
	v_dual_mul_f32 v2, 0xbfb8aa3b, v2 :: v_dual_add_f32 v3, 1.0, v3
	s_waitcnt_depctr 0xfff
	v_dual_add_f32 v0, 1.0, v0 :: v_dual_add_f32 v1, 1.0, v1
	v_exp_f32_e32 v2, v2
	v_div_scale_f32 v7, null, v3, v3, 1.0
	s_delay_alu instid0(VALU_DEP_2) | instskip(NEXT) | instid1(VALU_DEP_3)
	v_div_scale_f32 v4, null, v0, v0, 1.0
	v_div_scale_f32 v5, null, v1, v1, 1.0
	v_div_scale_f32 v15, vcc_lo, 1.0, v0, 1.0
	s_delay_alu instid0(VALU_DEP_3) | instskip(NEXT) | instid1(VALU_DEP_2)
	v_rcp_f32_e32 v11, v4
	v_rcp_f32_e32 v12, v5
	;; [unrolled: 1-line block ×3, first 2 shown]
	v_div_scale_f32 v16, s2, 1.0, v1, 1.0
	v_div_scale_f32 v21, s4, 1.0, v3, 1.0
	s_delay_alu instid0(TRANS32_DEP_3)
	v_fma_f32 v10, -v4, v11, 1.0
	v_add_f32_e32 v2, 1.0, v2
	s_waitcnt_depctr 0xfff
	v_fma_f32 v18, -v5, v12, 1.0
	v_fma_f32 v20, -v7, v14, 1.0
	v_fmac_f32_e32 v11, v10, v11
	v_div_scale_f32 v6, null, v2, v2, 1.0
	v_div_scale_f32 v17, s3, 1.0, v2, 1.0
	s_delay_alu instid0(VALU_DEP_2) | instskip(SKIP_4) | instid1(VALU_DEP_3)
	v_rcp_f32_e32 v13, v6
	s_waitcnt_depctr 0xfff
	v_fma_f32 v19, -v6, v13, 1.0
	v_fmac_f32_e32 v12, v18, v12
	v_mul_f32_e32 v18, v15, v11
	v_fmac_f32_e32 v13, v19, v13
	s_delay_alu instid0(VALU_DEP_3) | instskip(NEXT) | instid1(VALU_DEP_3)
	v_mul_f32_e32 v19, v16, v12
	v_fma_f32 v10, -v4, v18, v15
	s_delay_alu instid0(VALU_DEP_2) | instskip(NEXT) | instid1(VALU_DEP_2)
	v_fma_f32 v23, -v5, v19, v16
	v_fmac_f32_e32 v18, v10, v11
	v_fmac_f32_e32 v14, v20, v14
	v_mul_f32_e32 v20, v17, v13
	s_delay_alu instid0(VALU_DEP_4) | instskip(NEXT) | instid1(VALU_DEP_4)
	v_dual_fmac_f32 v19, v23, v12 :: v_dual_lshlrev_b32 v10, 2, v9
	v_fma_f32 v4, -v4, v18, v15
	s_delay_alu instid0(VALU_DEP_3) | instskip(NEXT) | instid1(VALU_DEP_3)
	v_fma_f32 v24, -v6, v20, v17
	v_fma_f32 v5, -v5, v19, v16
	s_delay_alu instid0(VALU_DEP_3) | instskip(SKIP_1) | instid1(VALU_DEP_3)
	v_div_fmas_f32 v4, v4, v11, v18
	s_mov_b32 vcc_lo, s2
	v_fmac_f32_e32 v20, v24, v13
	s_delay_alu instid0(VALU_DEP_3) | instskip(NEXT) | instid1(VALU_DEP_3)
	v_div_fmas_f32 v5, v5, v12, v19
	v_div_fixup_f32 v0, v4, v0, 1.0
	s_mov_b32 vcc_lo, s3
	s_delay_alu instid0(VALU_DEP_3) | instskip(NEXT) | instid1(VALU_DEP_3)
	v_fma_f32 v6, -v6, v20, v17
	v_div_fixup_f32 v1, v5, v1, 1.0
	v_mul_f32_e32 v22, v21, v14
	s_delay_alu instid0(VALU_DEP_3) | instskip(SKIP_1) | instid1(VALU_DEP_2)
	v_div_fmas_f32 v6, v6, v13, v20
	s_mov_b32 vcc_lo, s4
	v_fma_f32 v25, -v7, v22, v21
	s_delay_alu instid0(VALU_DEP_2) | instskip(NEXT) | instid1(VALU_DEP_2)
	v_div_fixup_f32 v2, v6, v2, 1.0
	v_fmac_f32_e32 v22, v25, v14
	s_delay_alu instid0(VALU_DEP_1) | instskip(NEXT) | instid1(VALU_DEP_1)
	v_fma_f32 v7, -v7, v22, v21
	v_div_fmas_f32 v4, v7, v14, v22
	v_cmp_class_f32_e64 vcc_lo, v0, 0x1f8
	s_delay_alu instid0(VALU_DEP_2)
	v_div_fixup_f32 v3, v4, v3, 1.0
	v_cndmask_b32_e32 v0, 0, v0, vcc_lo
	v_cmp_class_f32_e64 vcc_lo, v1, 0x1f8
	v_cndmask_b32_e32 v1, 0, v1, vcc_lo
	v_cmp_class_f32_e64 vcc_lo, v2, 0x1f8
	;; [unrolled: 2-line block ×3, first 2 shown]
	v_cndmask_b32_e32 v3, 0, v3, vcc_lo
	s_cbranch_scc1 .LBB204_39
; %bb.4:
	v_lshlrev_b32_e32 v4, 2, v10
	global_load_b128 v[4:7], v4, s[6:7]
	s_waitcnt vmcnt(0)
	v_dual_add_f32 v5, v5, v1 :: v_dual_add_f32 v4, v4, v0
	v_dual_add_f32 v7, v7, v3 :: v_dual_add_f32 v6, v6, v2
	s_cbranch_execnz .LBB204_6
.LBB204_5:
	v_dual_mov_b32 v7, v3 :: v_dual_mov_b32 v6, v2
	v_dual_mov_b32 v5, v1 :: v_dual_mov_b32 v4, v0
.LBB204_6:
	s_load_b128 s[4:7], s[0:1], 0x30
	v_cmp_eq_u32_e64 s2, 0, v9
	s_waitcnt lgkmcnt(0)
	s_bitcmp1_b32 s7, 0
	s_mov_b32 s7, 0
	s_cselect_b32 vcc_lo, -1, 0
	s_cmp_gt_i32 s4, 0
	s_cselect_b32 s3, -1, 0
	s_cmp_lt_i32 s4, 1
	s_cbranch_scc1 .LBB204_40
; %bb.7:
	v_mbcnt_lo_u32_b32 v12, -1, 0
	s_load_b128 s[8:11], s[0:1], 0x20
	v_mul_lo_u32 v11, v8, s4
	v_mov_b32_e32 v19, v8
	s_delay_alu instid0(VALU_DEP_3)
	v_or_b32_e32 v13, 32, v12
	v_xor_b32_e32 v14, 16, v12
	v_xor_b32_e32 v15, 8, v12
	;; [unrolled: 1-line block ×4, first 2 shown]
	v_cmp_gt_i32_e64 s0, 64, v13
	v_xor_b32_e32 v18, 1, v12
	s_delay_alu instid0(VALU_DEP_2) | instskip(SKIP_1) | instid1(VALU_DEP_2)
	v_cndmask_b32_e64 v13, v12, v13, s0
	v_cmp_gt_i32_e64 s0, 64, v14
	v_lshlrev_b32_e32 v13, 2, v13
	s_delay_alu instid0(VALU_DEP_2) | instskip(SKIP_1) | instid1(VALU_DEP_2)
	v_cndmask_b32_e64 v14, v12, v14, s0
	v_cmp_gt_i32_e64 s0, 64, v15
	v_lshlrev_b32_e32 v14, 2, v14
	;; [unrolled: 4-line block ×5, first 2 shown]
	s_delay_alu instid0(VALU_DEP_2) | instskip(NEXT) | instid1(VALU_DEP_1)
	v_cndmask_b32_e64 v12, v12, v18, s0
	v_lshlrev_b32_e32 v18, 2, v12
	v_mov_b32_e32 v12, 0
	s_branch .LBB204_10
.LBB204_8:                              ;   in Loop: Header=BB204_10 Depth=1
	s_or_b32 exec_lo, exec_lo, s1
.LBB204_9:                              ;   in Loop: Header=BB204_10 Depth=1
	v_add_nc_u32_e32 v19, s14, v19
	s_cmp_eq_u32 s4, s7
	s_cbranch_scc1 .LBB204_41
.LBB204_10:                             ; =>This Inner Loop Header: Depth=1
	v_cmp_gt_f32_e64 s0, v5, v4
	s_mov_b32 s17, exec_lo
	s_delay_alu instid0(VALU_DEP_1) | instskip(SKIP_2) | instid1(VALU_DEP_3)
	v_cndmask_b32_e64 v21, v4, v5, s0
	v_cndmask_b32_e64 v20, 0, 1, s0
	;; [unrolled: 1-line block ×3, first 2 shown]
	v_cmp_gt_f32_e64 s1, v6, v21
	s_delay_alu instid0(VALU_DEP_1) | instskip(NEXT) | instid1(VALU_DEP_4)
	v_cndmask_b32_e64 v21, v21, v6, s1
	v_cndmask_b32_e64 v20, v20, 2, s1
	s_waitcnt lgkmcnt(0)
	v_cndmask_b32_e64 v23, v22, v2, s1
	s_delay_alu instid0(VALU_DEP_3) | instskip(NEXT) | instid1(VALU_DEP_1)
	v_cmp_gt_f32_e64 s0, v7, v21
	v_cndmask_b32_e64 v20, v20, 3, s0
	v_cndmask_b32_e64 v22, v21, v7, s0
	s_delay_alu instid0(VALU_DEP_4) | instskip(NEXT) | instid1(VALU_DEP_3)
	v_cndmask_b32_e64 v21, v23, v3, s0
	v_or_b32_e32 v20, v10, v20
	ds_bpermute_b32 v23, v13, v22
	ds_bpermute_b32 v25, v13, v21
	;; [unrolled: 1-line block ×3, first 2 shown]
	s_waitcnt lgkmcnt(0)
	v_cmp_lt_f32_e64 s16, v22, v23
	v_cmpx_nlt_f32_e32 v22, v23
; %bb.11:                               ;   in Loop: Header=BB204_10 Depth=1
	v_cmp_eq_f32_e64 s0, v22, v23
	v_cmp_lt_i32_e64 s1, v24, v20
	s_delay_alu instid0(VALU_DEP_1) | instskip(SKIP_2) | instid1(SALU_CYCLE_1)
	s_and_b32 s0, s0, s1
	s_and_not1_b32 s1, s16, exec_lo
	s_and_b32 s0, s0, exec_lo
	s_or_b32 s16, s1, s0
; %bb.12:                               ;   in Loop: Header=BB204_10 Depth=1
	s_or_b32 exec_lo, exec_lo, s17
	s_and_saveexec_b32 s0, s16
; %bb.13:                               ;   in Loop: Header=BB204_10 Depth=1
	v_dual_mov_b32 v21, v25 :: v_dual_mov_b32 v22, v23
	v_mov_b32_e32 v20, v24
; %bb.14:                               ;   in Loop: Header=BB204_10 Depth=1
	s_or_b32 exec_lo, exec_lo, s0
	ds_bpermute_b32 v23, v14, v22
	ds_bpermute_b32 v25, v14, v21
	;; [unrolled: 1-line block ×3, first 2 shown]
	s_mov_b32 s17, exec_lo
	s_waitcnt lgkmcnt(2)
	v_cmp_lt_f32_e64 s16, v22, v23
	v_cmpx_nlt_f32_e32 v22, v23
	s_cbranch_execz .LBB204_16
; %bb.15:                               ;   in Loop: Header=BB204_10 Depth=1
	v_cmp_eq_f32_e64 s0, v22, v23
	s_waitcnt lgkmcnt(0)
	v_cmp_lt_i32_e64 s1, v24, v20
	s_delay_alu instid0(VALU_DEP_1) | instskip(SKIP_2) | instid1(SALU_CYCLE_1)
	s_and_b32 s0, s0, s1
	s_and_not1_b32 s1, s16, exec_lo
	s_and_b32 s0, s0, exec_lo
	s_or_b32 s16, s1, s0
.LBB204_16:                             ;   in Loop: Header=BB204_10 Depth=1
	s_or_b32 exec_lo, exec_lo, s17
	s_delay_alu instid0(VALU_DEP_2)
	s_and_saveexec_b32 s0, s16
	s_cbranch_execz .LBB204_18
; %bb.17:                               ;   in Loop: Header=BB204_10 Depth=1
	s_waitcnt lgkmcnt(1)
	v_dual_mov_b32 v21, v25 :: v_dual_mov_b32 v22, v23
	s_waitcnt lgkmcnt(0)
	v_mov_b32_e32 v20, v24
.LBB204_18:                             ;   in Loop: Header=BB204_10 Depth=1
	s_or_b32 exec_lo, exec_lo, s0
	ds_bpermute_b32 v23, v15, v22
	s_waitcnt lgkmcnt(2)
	ds_bpermute_b32 v25, v15, v21
	s_waitcnt lgkmcnt(2)
	ds_bpermute_b32 v24, v15, v20
	s_mov_b32 s17, exec_lo
	s_waitcnt lgkmcnt(2)
	v_cmp_lt_f32_e64 s16, v22, v23
	v_cmpx_nlt_f32_e32 v22, v23
	s_cbranch_execz .LBB204_20
; %bb.19:                               ;   in Loop: Header=BB204_10 Depth=1
	v_cmp_eq_f32_e64 s0, v22, v23
	s_waitcnt lgkmcnt(0)
	v_cmp_lt_i32_e64 s1, v24, v20
	s_delay_alu instid0(VALU_DEP_1) | instskip(SKIP_2) | instid1(SALU_CYCLE_1)
	s_and_b32 s0, s0, s1
	s_and_not1_b32 s1, s16, exec_lo
	s_and_b32 s0, s0, exec_lo
	s_or_b32 s16, s1, s0
.LBB204_20:                             ;   in Loop: Header=BB204_10 Depth=1
	s_or_b32 exec_lo, exec_lo, s17
	s_delay_alu instid0(VALU_DEP_2)
	s_and_saveexec_b32 s0, s16
	s_cbranch_execz .LBB204_22
; %bb.21:                               ;   in Loop: Header=BB204_10 Depth=1
	s_waitcnt lgkmcnt(1)
	v_dual_mov_b32 v21, v25 :: v_dual_mov_b32 v22, v23
	s_waitcnt lgkmcnt(0)
	v_mov_b32_e32 v20, v24
.LBB204_22:                             ;   in Loop: Header=BB204_10 Depth=1
	s_or_b32 exec_lo, exec_lo, s0
	ds_bpermute_b32 v23, v16, v22
	s_waitcnt lgkmcnt(2)
	ds_bpermute_b32 v25, v16, v21
	s_waitcnt lgkmcnt(2)
	ds_bpermute_b32 v24, v16, v20
	;; [unrolled: 31-line block ×3, first 2 shown]
	s_mov_b32 s17, exec_lo
	s_waitcnt lgkmcnt(2)
	v_cmp_lt_f32_e64 s16, v22, v23
	v_cmpx_nlt_f32_e32 v22, v23
	s_cbranch_execz .LBB204_28
; %bb.27:                               ;   in Loop: Header=BB204_10 Depth=1
	v_cmp_eq_f32_e64 s0, v22, v23
	s_waitcnt lgkmcnt(0)
	v_cmp_lt_i32_e64 s1, v24, v20
	s_delay_alu instid0(VALU_DEP_1) | instskip(SKIP_2) | instid1(SALU_CYCLE_1)
	s_and_b32 s0, s0, s1
	s_and_not1_b32 s1, s16, exec_lo
	s_and_b32 s0, s0, exec_lo
	s_or_b32 s16, s1, s0
.LBB204_28:                             ;   in Loop: Header=BB204_10 Depth=1
	s_or_b32 exec_lo, exec_lo, s17
	s_delay_alu instid0(VALU_DEP_2)
	s_and_saveexec_b32 s0, s16
	s_cbranch_execz .LBB204_30
; %bb.29:                               ;   in Loop: Header=BB204_10 Depth=1
	s_waitcnt lgkmcnt(1)
	v_dual_mov_b32 v21, v25 :: v_dual_mov_b32 v22, v23
	s_waitcnt lgkmcnt(0)
	v_mov_b32_e32 v20, v24
.LBB204_30:                             ;   in Loop: Header=BB204_10 Depth=1
	s_or_b32 exec_lo, exec_lo, s0
	s_waitcnt lgkmcnt(1)
	ds_bpermute_b32 v25, v18, v22
	ds_bpermute_b32 v23, v18, v21
	s_waitcnt lgkmcnt(2)
	ds_bpermute_b32 v24, v18, v20
	s_mov_b32 s17, exec_lo
	s_waitcnt lgkmcnt(2)
	v_cmp_lt_f32_e64 s16, v22, v25
	v_cmpx_nlt_f32_e32 v22, v25
	s_cbranch_execnz .LBB204_34
; %bb.31:                               ;   in Loop: Header=BB204_10 Depth=1
	s_or_b32 exec_lo, exec_lo, s17
	s_delay_alu instid0(VALU_DEP_2)
	s_and_saveexec_b32 s0, s16
	s_cbranch_execnz .LBB204_35
.LBB204_32:                             ;   in Loop: Header=BB204_10 Depth=1
	s_or_b32 exec_lo, exec_lo, s0
	s_and_saveexec_b32 s16, s2
	s_cbranch_execnz .LBB204_36
.LBB204_33:                             ;   in Loop: Header=BB204_10 Depth=1
	s_or_b32 exec_lo, exec_lo, s16
	s_add_i32 s7, s7, 1
	s_delay_alu instid0(SALU_CYCLE_1)
	s_cmp_ge_i32 s7, s4
	s_cbranch_scc1 .LBB204_9
	s_branch .LBB204_37
.LBB204_34:                             ;   in Loop: Header=BB204_10 Depth=1
	v_cmp_eq_f32_e64 s0, v22, v25
	s_waitcnt lgkmcnt(0)
	v_cmp_lt_i32_e64 s1, v24, v20
	s_delay_alu instid0(VALU_DEP_1) | instskip(SKIP_2) | instid1(SALU_CYCLE_1)
	s_and_b32 s0, s0, s1
	s_and_not1_b32 s1, s16, exec_lo
	s_and_b32 s0, s0, exec_lo
	s_or_b32 s16, s1, s0
	s_or_b32 exec_lo, exec_lo, s17
	s_and_saveexec_b32 s0, s16
	s_cbranch_execz .LBB204_32
.LBB204_35:                             ;   in Loop: Header=BB204_10 Depth=1
	s_waitcnt lgkmcnt(0)
	v_dual_mov_b32 v20, v24 :: v_dual_mov_b32 v21, v23
	s_or_b32 exec_lo, exec_lo, s0
	s_and_saveexec_b32 s16, s2
	s_cbranch_execz .LBB204_33
.LBB204_36:                             ;   in Loop: Header=BB204_10 Depth=1
	s_delay_alu instid0(VALU_DEP_1)
	v_dual_add_f32 v29, v12, v21 :: v_dual_add_nc_u32 v22, s7, v11
	v_cmp_le_i32_e64 s0, s5, v20
	v_cmp_gt_i32_e64 s1, s6, v20
	s_waitcnt lgkmcnt(0)
	v_subrev_nc_u32_e32 v24, s5, v20
	v_ashrrev_i32_e32 v23, 31, v22
	v_cndmask_b32_e32 v12, v12, v29, vcc_lo
	s_and_b32 s0, s0, s1
	s_delay_alu instid0(SALU_CYCLE_1) | instskip(NEXT) | instid1(VALU_DEP_2)
	s_and_b32 s0, s15, s0
	v_lshlrev_b64 v[22:23], 2, v[22:23]
	v_cndmask_b32_e64 v28, 0x100, v24, s0
	s_delay_alu instid0(VALU_DEP_2) | instskip(NEXT) | instid1(VALU_DEP_1)
	v_add_co_u32 v24, s0, s12, v22
	v_add_co_ci_u32_e64 v25, s0, s13, v23, s0
	v_add_co_u32 v26, s0, s8, v22
	s_delay_alu instid0(VALU_DEP_1) | instskip(SKIP_1) | instid1(VALU_DEP_1)
	v_add_co_ci_u32_e64 v27, s0, s9, v23, s0
	v_add_co_u32 v22, s0, s10, v22
	v_add_co_ci_u32_e64 v23, s0, s11, v23, s0
	global_store_b32 v[24:25], v21, off
	global_store_b32 v[26:27], v28, off
	global_store_b32 v[22:23], v19, off
	s_or_b32 exec_lo, exec_lo, s16
	s_add_i32 s7, s7, 1
	s_delay_alu instid0(SALU_CYCLE_1)
	s_cmp_ge_i32 s7, s4
	s_cbranch_scc1 .LBB204_9
.LBB204_37:                             ;   in Loop: Header=BB204_10 Depth=1
	v_ashrrev_i32_e32 v21, 31, v20
	s_mov_b32 s1, exec_lo
	s_delay_alu instid0(VALU_DEP_1) | instskip(NEXT) | instid1(VALU_DEP_1)
	v_lshrrev_b32_e32 v22, 30, v21
	v_add_nc_u32_e32 v22, v20, v22
	s_waitcnt lgkmcnt(1)
	s_delay_alu instid0(VALU_DEP_1) | instskip(SKIP_1) | instid1(VALU_DEP_2)
	v_ashrrev_i32_e32 v23, 31, v22
	v_ashrrev_i32_e32 v22, 2, v22
	v_lshrrev_b32_e32 v23, 26, v23
	s_delay_alu instid0(VALU_DEP_1) | instskip(NEXT) | instid1(VALU_DEP_1)
	v_add_nc_u32_e32 v23, v22, v23
	v_and_b32_e32 v23, 0xffffffc0, v23
	s_delay_alu instid0(VALU_DEP_1) | instskip(NEXT) | instid1(VALU_DEP_1)
	v_sub_nc_u32_e32 v23, v22, v23
	v_cmpx_eq_u32_e64 v9, v23
	s_cbranch_execz .LBB204_8
; %bb.38:                               ;   in Loop: Header=BB204_10 Depth=1
	v_lshrrev_b32_e32 v21, 24, v21
	v_lshlrev_b32_e32 v22, 2, v22
	s_delay_alu instid0(VALU_DEP_2) | instskip(NEXT) | instid1(VALU_DEP_2)
	v_add_nc_u32_e32 v21, v20, v21
	v_sub_nc_u32_e32 v20, v20, v22
	s_delay_alu instid0(VALU_DEP_2) | instskip(NEXT) | instid1(VALU_DEP_1)
	v_ashrrev_i32_e32 v21, 8, v21
	v_lshl_add_u32 v20, v21, 2, v20
	s_delay_alu instid0(VALU_DEP_1) | instskip(NEXT) | instid1(VALU_DEP_1)
	v_cmp_ne_u32_e64 s0, 3, v20
	v_cndmask_b32_e64 v7, 0xc61c4000, v7, s0
	v_cmp_ne_u32_e64 s0, 2, v20
	s_delay_alu instid0(VALU_DEP_1) | instskip(SKIP_1) | instid1(VALU_DEP_1)
	v_cndmask_b32_e64 v6, 0xc61c4000, v6, s0
	v_cmp_ne_u32_e64 s0, 1, v20
	v_cndmask_b32_e64 v5, 0xc61c4000, v5, s0
	v_cmp_ne_u32_e64 s0, 0, v20
	s_delay_alu instid0(VALU_DEP_1)
	v_cndmask_b32_e64 v4, 0xc61c4000, v4, s0
	s_branch .LBB204_8
.LBB204_39:
                                        ; implicit-def: $vgpr4_vgpr5_vgpr6_vgpr7
	s_and_not1_b32 vcc_lo, exec_lo, s8
	s_cbranch_vccz .LBB204_5
	s_branch .LBB204_6
.LBB204_40:
	v_mov_b32_e32 v12, 0
.LBB204_41:
	v_cmp_eq_u32_e64 s0, 0, v9
	s_delay_alu instid0(VALU_DEP_1) | instskip(NEXT) | instid1(SALU_CYCLE_1)
	s_and_b32 s0, s0, vcc_lo
	s_and_b32 exec_lo, exec_lo, s0
	s_cbranch_execz .LBB204_45
; %bb.42:
	s_and_not1_b32 vcc_lo, exec_lo, s3
	s_cbranch_vccnz .LBB204_45
; %bb.43:
	v_mul_lo_u32 v0, v8, s4
	v_cmp_lt_f32_e32 vcc_lo, 0, v12
	v_cndmask_b32_e32 v2, 1.0, v12, vcc_lo
	s_delay_alu instid0(VALU_DEP_3) | instskip(NEXT) | instid1(VALU_DEP_1)
	v_ashrrev_i32_e32 v1, 31, v0
	v_lshlrev_b64 v[0:1], 2, v[0:1]
	s_delay_alu instid0(VALU_DEP_1) | instskip(NEXT) | instid1(VALU_DEP_2)
	v_add_co_u32 v0, vcc_lo, s12, v0
	v_add_co_ci_u32_e32 v1, vcc_lo, s13, v1, vcc_lo
	.p2align	6
.LBB204_44:                             ; =>This Inner Loop Header: Depth=1
	global_load_b32 v3, v[0:1], off
	s_add_i32 s4, s4, -1
	s_delay_alu instid0(SALU_CYCLE_1) | instskip(SKIP_3) | instid1(VALU_DEP_2)
	s_cmp_lg_u32 s4, 0
	s_waitcnt vmcnt(0)
	v_div_scale_f32 v4, null, v2, v2, v3
	v_div_scale_f32 v7, vcc_lo, v3, v2, v3
	v_rcp_f32_e32 v5, v4
	s_waitcnt_depctr 0xfff
	v_fma_f32 v6, -v4, v5, 1.0
	s_delay_alu instid0(VALU_DEP_1) | instskip(NEXT) | instid1(VALU_DEP_1)
	v_fmac_f32_e32 v5, v6, v5
	v_mul_f32_e32 v6, v7, v5
	s_delay_alu instid0(VALU_DEP_1) | instskip(NEXT) | instid1(VALU_DEP_1)
	v_fma_f32 v8, -v4, v6, v7
	v_fmac_f32_e32 v6, v8, v5
	s_delay_alu instid0(VALU_DEP_1) | instskip(NEXT) | instid1(VALU_DEP_1)
	v_fma_f32 v4, -v4, v6, v7
	v_div_fmas_f32 v4, v4, v5, v6
	s_delay_alu instid0(VALU_DEP_1)
	v_div_fixup_f32 v3, v4, v2, v3
	global_store_b32 v[0:1], v3, off
	v_add_co_u32 v0, vcc_lo, v0, 4
	v_add_co_ci_u32_e32 v1, vcc_lo, 0, v1, vcc_lo
	s_cbranch_scc1 .LBB204_44
.LBB204_45:
	s_nop 0
	s_sendmsg sendmsg(MSG_DEALLOC_VGPRS)
	s_endpgm
	.section	.rodata,"a",@progbits
	.p2align	6, 0x0
	.amdhsa_kernel _ZN4vllm3moe10topkGatingILi4ELi256ELi4ELi16ELi64EifLNS0_11ScoringFuncE1EEEvPKT5_PKbPfiPT4_PiiiibPKf
		.amdhsa_group_segment_fixed_size 0
		.amdhsa_private_segment_fixed_size 0
		.amdhsa_kernarg_size 72
		.amdhsa_user_sgpr_count 15
		.amdhsa_user_sgpr_dispatch_ptr 0
		.amdhsa_user_sgpr_queue_ptr 0
		.amdhsa_user_sgpr_kernarg_segment_ptr 1
		.amdhsa_user_sgpr_dispatch_id 0
		.amdhsa_user_sgpr_private_segment_size 0
		.amdhsa_wavefront_size32 1
		.amdhsa_uses_dynamic_stack 0
		.amdhsa_enable_private_segment 0
		.amdhsa_system_sgpr_workgroup_id_x 1
		.amdhsa_system_sgpr_workgroup_id_y 0
		.amdhsa_system_sgpr_workgroup_id_z 0
		.amdhsa_system_sgpr_workgroup_info 0
		.amdhsa_system_vgpr_workitem_id 1
		.amdhsa_next_free_vgpr 30
		.amdhsa_next_free_sgpr 18
		.amdhsa_reserve_vcc 1
		.amdhsa_float_round_mode_32 0
		.amdhsa_float_round_mode_16_64 0
		.amdhsa_float_denorm_mode_32 3
		.amdhsa_float_denorm_mode_16_64 3
		.amdhsa_dx10_clamp 1
		.amdhsa_ieee_mode 1
		.amdhsa_fp16_overflow 0
		.amdhsa_workgroup_processor_mode 1
		.amdhsa_memory_ordered 1
		.amdhsa_forward_progress 0
		.amdhsa_shared_vgpr_count 0
		.amdhsa_exception_fp_ieee_invalid_op 0
		.amdhsa_exception_fp_denorm_src 0
		.amdhsa_exception_fp_ieee_div_zero 0
		.amdhsa_exception_fp_ieee_overflow 0
		.amdhsa_exception_fp_ieee_underflow 0
		.amdhsa_exception_fp_ieee_inexact 0
		.amdhsa_exception_int_div_zero 0
	.end_amdhsa_kernel
	.section	.text._ZN4vllm3moe10topkGatingILi4ELi256ELi4ELi16ELi64EifLNS0_11ScoringFuncE1EEEvPKT5_PKbPfiPT4_PiiiibPKf,"axG",@progbits,_ZN4vllm3moe10topkGatingILi4ELi256ELi4ELi16ELi64EifLNS0_11ScoringFuncE1EEEvPKT5_PKbPfiPT4_PiiiibPKf,comdat
.Lfunc_end204:
	.size	_ZN4vllm3moe10topkGatingILi4ELi256ELi4ELi16ELi64EifLNS0_11ScoringFuncE1EEEvPKT5_PKbPfiPT4_PiiiibPKf, .Lfunc_end204-_ZN4vllm3moe10topkGatingILi4ELi256ELi4ELi16ELi64EifLNS0_11ScoringFuncE1EEEvPKT5_PKbPfiPT4_PiiiibPKf
                                        ; -- End function
	.section	.AMDGPU.csdata,"",@progbits
; Kernel info:
; codeLenInByte = 2664
; NumSgprs: 20
; NumVgprs: 30
; ScratchSize: 0
; MemoryBound: 0
; FloatMode: 240
; IeeeMode: 1
; LDSByteSize: 0 bytes/workgroup (compile time only)
; SGPRBlocks: 2
; VGPRBlocks: 3
; NumSGPRsForWavesPerEU: 20
; NumVGPRsForWavesPerEU: 30
; Occupancy: 16
; WaveLimiterHint : 0
; COMPUTE_PGM_RSRC2:SCRATCH_EN: 0
; COMPUTE_PGM_RSRC2:USER_SGPR: 15
; COMPUTE_PGM_RSRC2:TRAP_HANDLER: 0
; COMPUTE_PGM_RSRC2:TGID_X_EN: 1
; COMPUTE_PGM_RSRC2:TGID_Y_EN: 0
; COMPUTE_PGM_RSRC2:TGID_Z_EN: 0
; COMPUTE_PGM_RSRC2:TIDIG_COMP_CNT: 1
	.section	.text._ZN4vllm3moe10topkGatingILi8ELi256ELi4ELi16ELi32EifLNS0_11ScoringFuncE1EEEvPKT5_PKbPfiPT4_PiiiibPKf,"axG",@progbits,_ZN4vllm3moe10topkGatingILi8ELi256ELi4ELi16ELi32EifLNS0_11ScoringFuncE1EEEvPKT5_PKbPfiPT4_PiiiibPKf,comdat
	.protected	_ZN4vllm3moe10topkGatingILi8ELi256ELi4ELi16ELi32EifLNS0_11ScoringFuncE1EEEvPKT5_PKbPfiPT4_PiiiibPKf ; -- Begin function _ZN4vllm3moe10topkGatingILi8ELi256ELi4ELi16ELi32EifLNS0_11ScoringFuncE1EEEvPKT5_PKbPfiPT4_PiiiibPKf
	.globl	_ZN4vllm3moe10topkGatingILi8ELi256ELi4ELi16ELi32EifLNS0_11ScoringFuncE1EEEvPKT5_PKbPfiPT4_PiiiibPKf
	.p2align	8
	.type	_ZN4vllm3moe10topkGatingILi8ELi256ELi4ELi16ELi32EifLNS0_11ScoringFuncE1EEEvPKT5_PKbPfiPT4_PiiiibPKf,@function
_ZN4vllm3moe10topkGatingILi8ELi256ELi4ELi16ELi32EifLNS0_11ScoringFuncE1EEEvPKT5_PKbPfiPT4_PiiiibPKf: ; @_ZN4vllm3moe10topkGatingILi8ELi256ELi4ELi16ELi32EifLNS0_11ScoringFuncE1EEEvPKT5_PKbPfiPT4_PiiiibPKf
; %bb.0:
	s_load_b32 s18, s[0:1], 0x18
	v_and_b32_e32 v1, 0x3ff, v0
	v_bfe_u32 v0, v0, 10, 10
	s_lshl_b32 s2, s15, 2
	s_delay_alu instid0(VALU_DEP_2) | instskip(NEXT) | instid1(VALU_DEP_1)
	v_lshrrev_b32_e32 v2, 5, v1
	v_add3_u32 v16, s2, v0, v2
	s_mov_b32 s2, exec_lo
	s_waitcnt lgkmcnt(0)
	s_delay_alu instid0(VALU_DEP_1)
	v_cmpx_gt_i32_e64 s18, v16
	s_cbranch_execz .LBB205_41
; %bb.1:
	s_clause 0x1
	s_load_b128 s[4:7], s[0:1], 0x0
	s_load_b64 s[16:17], s[0:1], 0x10
	s_mov_b32 s9, -1
	s_mov_b32 s19, -1
	s_waitcnt lgkmcnt(0)
	s_cmp_eq_u64 s[6:7], 0
	s_cbranch_scc1 .LBB205_3
; %bb.2:
	v_ashrrev_i32_e32 v0, 31, v16
	v_add_co_u32 v2, vcc_lo, s6, v16
	s_delay_alu instid0(VALU_DEP_2) | instskip(SKIP_3) | instid1(VALU_DEP_1)
	v_add_co_ci_u32_e32 v3, vcc_lo, s7, v0, vcc_lo
	global_load_u8 v0, v[2:3], off
	s_waitcnt vmcnt(0)
	v_and_b32_e32 v0, 1, v0
	v_cmp_eq_u32_e32 vcc_lo, 1, v0
	s_xor_b32 s2, vcc_lo, -1
	s_delay_alu instid0(SALU_CYCLE_1)
	s_or_not1_b32 s19, s2, exec_lo
.LBB205_3:
	v_lshlrev_b32_e32 v2, 8, v16
	v_and_b32_e32 v17, 31, v1
	s_load_b64 s[10:11], s[0:1], 0x40
	s_delay_alu instid0(VALU_DEP_2) | instskip(NEXT) | instid1(VALU_DEP_1)
	v_ashrrev_i32_e32 v3, 31, v2
	v_lshlrev_b64 v[0:1], 2, v[2:3]
	s_delay_alu instid0(VALU_DEP_3) | instskip(NEXT) | instid1(VALU_DEP_2)
	v_lshlrev_b32_e32 v2, 4, v17
	v_add_co_u32 v0, vcc_lo, s4, v0
	s_delay_alu instid0(VALU_DEP_3) | instskip(NEXT) | instid1(VALU_DEP_2)
	v_add_co_ci_u32_e32 v1, vcc_lo, s5, v1, vcc_lo
	v_add_co_u32 v4, vcc_lo, v0, v2
	s_delay_alu instid0(VALU_DEP_2)
	v_add_co_ci_u32_e32 v5, vcc_lo, 0, v1, vcc_lo
	s_waitcnt lgkmcnt(0)
	s_cmp_eq_u64 s[10:11], 0
	s_clause 0x1
	global_load_b128 v[0:3], v[4:5], off
	global_load_b128 v[4:7], v[4:5], off offset:512
	s_waitcnt vmcnt(1)
	v_mul_f32_e32 v3, 0xbfb8aa3b, v3
	v_dual_mul_f32 v1, 0xbfb8aa3b, v1 :: v_dual_mul_f32 v0, 0xbfb8aa3b, v0
	s_waitcnt vmcnt(0)
	v_dual_mul_f32 v2, 0xbfb8aa3b, v2 :: v_dual_mul_f32 v5, 0xbfb8aa3b, v5
	s_delay_alu instid0(VALU_DEP_3) | instskip(NEXT) | instid1(VALU_DEP_2)
	v_exp_f32_e32 v3, v3
	v_exp_f32_e32 v1, v1
	v_mul_f32_e32 v6, 0xbfb8aa3b, v6
	v_exp_f32_e32 v0, v0
	v_dual_mul_f32 v4, 0xbfb8aa3b, v4 :: v_dual_mul_f32 v7, 0xbfb8aa3b, v7
	v_lshlrev_b32_e32 v18, 2, v17
	v_exp_f32_e32 v5, v5
	v_exp_f32_e32 v2, v2
	s_delay_alu instid0(VALU_DEP_2)
	v_exp_f32_e32 v4, v4
	v_add_f32_e32 v3, 1.0, v3
	v_add_f32_e32 v1, 1.0, v1
	v_exp_f32_e32 v7, v7
	v_add_f32_e32 v0, 1.0, v0
	v_exp_f32_e32 v6, v6
	v_div_scale_f32 v14, null, v3, v3, 1.0
	v_add_f32_e32 v5, 1.0, v5
	v_div_scale_f32 v10, null, v1, v1, 1.0
	s_delay_alu instid0(VALU_DEP_3) | instskip(SKIP_1) | instid1(VALU_DEP_2)
	v_rcp_f32_e32 v29, v14
	v_div_scale_f32 v8, null, v0, v0, 1.0
	v_rcp_f32_e32 v27, v10
	v_dual_add_f32 v2, 1.0, v2 :: v_dual_add_f32 v7, 1.0, v7
	v_div_scale_f32 v21, null, v5, v5, 1.0
	s_delay_alu instid0(VALU_DEP_3) | instskip(NEXT) | instid1(VALU_DEP_2)
	v_rcp_f32_e32 v26, v8
	v_div_scale_f32 v12, null, v2, v2, 1.0
	s_delay_alu instid0(VALU_DEP_3)
	v_div_scale_f32 v25, null, v7, v7, 1.0
	s_waitcnt_depctr 0xfff
	v_fma_f32 v36, -v10, v27, 1.0
	v_add_f32_e32 v4, 1.0, v4
	v_fma_f32 v38, -v14, v29, 1.0
	v_add_f32_e32 v6, 1.0, v6
	v_rcp_f32_e32 v31, v21
	v_fmac_f32_e32 v27, v36, v27
	v_div_scale_f32 v19, null, v4, v4, 1.0
	v_fmac_f32_e32 v29, v38, v29
	v_div_scale_f32 v23, null, v6, v6, 1.0
	v_rcp_f32_e32 v28, v12
	s_delay_alu instid0(VALU_DEP_3)
	v_rcp_f32_e32 v30, v19
	v_rcp_f32_e32 v33, v25
	v_fma_f32 v35, -v8, v26, 1.0
	v_rcp_f32_e32 v32, v23
	v_div_scale_f32 v9, vcc_lo, 1.0, v0, 1.0
	v_fma_f32 v40, -v21, v31, 1.0
	s_delay_alu instid0(VALU_DEP_3) | instskip(SKIP_2) | instid1(VALU_DEP_4)
	v_fmac_f32_e32 v26, v35, v26
	v_div_scale_f32 v11, s2, 1.0, v1, 1.0
	v_fma_f32 v37, -v12, v28, 1.0
	v_fmac_f32_e32 v31, v40, v31
	v_fma_f32 v39, -v19, v30, 1.0
	v_fma_f32 v42, -v25, v33, 1.0
	v_dual_mul_f32 v35, v9, v26 :: v_dual_mul_f32 v36, v11, v27
	v_div_scale_f32 v13, s3, 1.0, v2, 1.0
	v_div_scale_f32 v20, s5, 1.0, v4, 1.0
	v_fma_f32 v41, -v23, v32, 1.0
	v_dual_fmac_f32 v28, v37, v28 :: v_dual_fmac_f32 v33, v42, v33
	v_fmac_f32_e32 v30, v39, v30
	v_div_scale_f32 v22, s6, 1.0, v5, 1.0
	s_delay_alu instid0(VALU_DEP_3) | instskip(SKIP_1) | instid1(VALU_DEP_4)
	v_mul_f32_e32 v37, v13, v28
	v_fma_f32 v43, -v8, v35, v9
	v_dual_fmac_f32 v32, v41, v32 :: v_dual_mul_f32 v39, v20, v30
	v_fma_f32 v44, -v10, v36, v11
	v_div_scale_f32 v15, s4, 1.0, v3, 1.0
	s_delay_alu instid0(VALU_DEP_4) | instskip(NEXT) | instid1(VALU_DEP_4)
	v_dual_mul_f32 v40, v22, v31 :: v_dual_fmac_f32 v35, v43, v26
	v_fma_f32 v47, -v19, v39, v20
	s_delay_alu instid0(VALU_DEP_4) | instskip(SKIP_4) | instid1(VALU_DEP_4)
	v_fmac_f32_e32 v36, v44, v27
	v_div_scale_f32 v24, s7, 1.0, v6, 1.0
	v_mul_f32_e32 v38, v15, v29
	v_fma_f32 v8, -v8, v35, v9
	v_div_scale_f32 v34, s8, 1.0, v7, 1.0
	v_mul_f32_e32 v41, v24, v32
	v_fma_f32 v45, -v12, v37, v13
	v_fmac_f32_e32 v39, v47, v30
	v_fma_f32 v9, -v10, v36, v11
	v_fma_f32 v46, -v14, v38, v15
	v_div_fmas_f32 v8, v8, v26, v35
	s_mov_b32 vcc_lo, s2
	v_dual_mul_f32 v42, v34, v33 :: v_dual_fmac_f32 v37, v45, v28
	v_fma_f32 v48, -v21, v40, v22
	v_div_fmas_f32 v9, v9, v27, v36
	v_fma_f32 v49, -v23, v41, v24
	v_fmac_f32_e32 v38, v46, v29
	v_fma_f32 v10, -v12, v37, v13
	s_mov_b32 vcc_lo, s3
	v_div_fixup_f32 v1, v9, v1, 1.0
	v_dual_fmac_f32 v41, v49, v32 :: v_dual_fmac_f32 v40, v48, v31
	v_fma_f32 v11, -v14, v38, v15
	v_fma_f32 v12, -v19, v39, v20
	v_div_fmas_f32 v10, v10, v28, v37
	s_mov_b32 vcc_lo, s4
	v_fma_f32 v13, -v21, v40, v22
	v_div_fixup_f32 v0, v8, v0, 1.0
	v_div_fmas_f32 v8, v11, v29, v38
	s_mov_b32 vcc_lo, s5
	v_fma_f32 v50, -v25, v42, v34
	v_div_fmas_f32 v9, v12, v30, v39
	s_mov_b32 vcc_lo, s6
	v_div_fixup_f32 v2, v10, v2, 1.0
	v_div_fmas_f32 v10, v13, v31, v40
	v_cmp_class_f32_e64 vcc_lo, v0, 0x1f8
	v_fma_f32 v14, -v23, v41, v24
	v_div_fixup_f32 v3, v8, v3, 1.0
	v_fmac_f32_e32 v42, v50, v33
	v_div_fixup_f32 v5, v10, v5, 1.0
	v_cndmask_b32_e32 v0, 0, v0, vcc_lo
	s_mov_b32 vcc_lo, s7
	v_div_fixup_f32 v4, v9, v4, 1.0
	v_div_fmas_f32 v8, v14, v32, v41
	v_cmp_class_f32_e64 vcc_lo, v1, 0x1f8
	v_fma_f32 v15, -v25, v42, v34
	s_delay_alu instid0(VALU_DEP_3) | instskip(SKIP_2) | instid1(VALU_DEP_3)
	v_div_fixup_f32 v6, v8, v6, 1.0
	v_cndmask_b32_e32 v1, 0, v1, vcc_lo
	s_mov_b32 vcc_lo, s8
	v_div_fmas_f32 v9, v15, v33, v42
	v_cmp_class_f32_e64 vcc_lo, v2, 0x1f8
	s_delay_alu instid0(VALU_DEP_2)
	v_div_fixup_f32 v7, v9, v7, 1.0
	v_cndmask_b32_e32 v2, 0, v2, vcc_lo
	v_cmp_class_f32_e64 vcc_lo, v3, 0x1f8
	v_cndmask_b32_e32 v3, 0, v3, vcc_lo
	v_cmp_class_f32_e64 vcc_lo, v4, 0x1f8
	;; [unrolled: 2-line block ×5, first 2 shown]
	v_cndmask_b32_e32 v7, 0, v7, vcc_lo
	s_cbranch_scc1 .LBB205_35
; %bb.4:
	v_lshlrev_b32_e32 v12, 2, v18
	s_clause 0x1
	global_load_b128 v[8:11], v12, s[10:11]
	global_load_b128 v[12:15], v12, s[10:11] offset:512
	s_waitcnt vmcnt(1)
	v_dual_add_f32 v9, v9, v1 :: v_dual_add_f32 v8, v8, v0
	v_dual_add_f32 v11, v11, v3 :: v_dual_add_f32 v10, v10, v2
	s_waitcnt vmcnt(0)
	v_dual_add_f32 v13, v13, v5 :: v_dual_add_f32 v12, v12, v4
	v_dual_add_f32 v15, v15, v7 :: v_dual_add_f32 v14, v14, v6
	s_cbranch_execnz .LBB205_6
.LBB205_5:
	v_dual_mov_b32 v15, v7 :: v_dual_mov_b32 v14, v6
	v_dual_mov_b32 v13, v5 :: v_dual_mov_b32 v12, v4
	;; [unrolled: 1-line block ×4, first 2 shown]
.LBB205_6:
	s_load_b128 s[8:11], s[0:1], 0x30
	v_cmp_eq_u32_e64 s2, 0, v17
	s_mov_b32 s6, 0
	s_waitcnt lgkmcnt(0)
	s_bitcmp1_b32 s11, 0
	s_cselect_b32 vcc_lo, -1, 0
	s_cmp_gt_i32 s8, 0
	s_cselect_b32 s5, -1, 0
	s_cmp_lt_i32 s8, 1
	s_cbranch_scc1 .LBB205_36
; %bb.7:
	v_mbcnt_lo_u32_b32 v20, -1, 0
	s_load_b128 s[12:15], s[0:1], 0x20
	v_mul_lo_u32 v19, v16, s8
	v_mov_b32_e32 v26, v16
	s_delay_alu instid0(VALU_DEP_3)
	v_xor_b32_e32 v21, 16, v20
	v_xor_b32_e32 v22, 8, v20
	;; [unrolled: 1-line block ×5, first 2 shown]
	v_cmp_gt_i32_e64 s0, 32, v21
	s_delay_alu instid0(VALU_DEP_1) | instskip(SKIP_1) | instid1(VALU_DEP_2)
	v_cndmask_b32_e64 v21, v20, v21, s0
	v_cmp_gt_i32_e64 s0, 32, v22
	v_lshlrev_b32_e32 v21, 2, v21
	s_delay_alu instid0(VALU_DEP_2) | instskip(SKIP_1) | instid1(VALU_DEP_2)
	v_cndmask_b32_e64 v22, v20, v22, s0
	v_cmp_gt_i32_e64 s0, 32, v23
	v_lshlrev_b32_e32 v22, 2, v22
	s_delay_alu instid0(VALU_DEP_2) | instskip(SKIP_1) | instid1(VALU_DEP_2)
	;; [unrolled: 4-line block ×3, first 2 shown]
	v_cndmask_b32_e64 v24, v20, v24, s0
	v_cmp_gt_i32_e64 s0, 32, v25
	v_lshlrev_b32_e32 v24, 2, v24
	s_delay_alu instid0(VALU_DEP_2) | instskip(NEXT) | instid1(VALU_DEP_1)
	v_cndmask_b32_e64 v20, v20, v25, s0
	v_dual_mov_b32 v20, 0 :: v_dual_lshlrev_b32 v25, 2, v20
	s_branch .LBB205_10
.LBB205_8:                              ;   in Loop: Header=BB205_10 Depth=1
	s_or_b32 exec_lo, exec_lo, s1
.LBB205_9:                              ;   in Loop: Header=BB205_10 Depth=1
	v_add_nc_u32_e32 v26, s18, v26
	s_cmp_eq_u32 s8, s6
	s_cbranch_scc1 .LBB205_37
.LBB205_10:                             ; =>This Inner Loop Header: Depth=1
	v_cmp_gt_f32_e64 s0, v9, v8
	s_delay_alu instid0(VALU_DEP_1) | instskip(SKIP_2) | instid1(VALU_DEP_3)
	v_cndmask_b32_e64 v28, v8, v9, s0
	v_cndmask_b32_e64 v27, 0, 1, s0
	;; [unrolled: 1-line block ×3, first 2 shown]
	v_cmp_gt_f32_e64 s1, v10, v28
	s_delay_alu instid0(VALU_DEP_1) | instskip(NEXT) | instid1(VALU_DEP_4)
	v_cndmask_b32_e64 v28, v28, v10, s1
	v_cndmask_b32_e64 v27, v27, 2, s1
	s_delay_alu instid0(VALU_DEP_4) | instskip(NEXT) | instid1(VALU_DEP_3)
	v_cndmask_b32_e64 v29, v29, v2, s1
	v_cmp_gt_f32_e64 s3, v11, v28
	s_delay_alu instid0(VALU_DEP_1) | instskip(NEXT) | instid1(VALU_DEP_4)
	v_cndmask_b32_e64 v28, v28, v11, s3
	v_cndmask_b32_e64 v27, v27, 3, s3
	s_delay_alu instid0(VALU_DEP_4) | instskip(NEXT) | instid1(VALU_DEP_3)
	v_cndmask_b32_e64 v29, v29, v3, s3
	v_cmp_gt_f32_e64 s4, v12, v28
	s_delay_alu instid0(VALU_DEP_1) | instskip(NEXT) | instid1(VALU_DEP_4)
	v_cndmask_b32_e64 v28, v28, v12, s4
	v_cndmask_b32_e64 v27, v27, 0x80, s4
	s_delay_alu instid0(VALU_DEP_4) | instskip(SKIP_1) | instid1(VALU_DEP_3)
	v_cndmask_b32_e64 v29, v29, v4, s4
	s_mov_b32 s4, exec_lo
	v_cmp_gt_f32_e64 s0, v13, v28
	s_delay_alu instid0(VALU_DEP_1) | instskip(SKIP_2) | instid1(VALU_DEP_3)
	v_cndmask_b32_e64 v28, v28, v13, s0
	v_cndmask_b32_e64 v27, v27, 0x81, s0
	;; [unrolled: 1-line block ×3, first 2 shown]
	v_cmp_gt_f32_e64 s1, v14, v28
	s_delay_alu instid0(VALU_DEP_1) | instskip(NEXT) | instid1(VALU_DEP_4)
	v_cndmask_b32_e64 v28, v28, v14, s1
	v_cndmask_b32_e64 v27, v27, 0x82, s1
	s_waitcnt lgkmcnt(0)
	v_cndmask_b32_e64 v30, v29, v6, s1
	s_delay_alu instid0(VALU_DEP_3) | instskip(NEXT) | instid1(VALU_DEP_1)
	v_cmp_gt_f32_e64 s0, v15, v28
	v_cndmask_b32_e64 v27, v27, 0x83, s0
	v_cndmask_b32_e64 v29, v28, v15, s0
	s_delay_alu instid0(VALU_DEP_4) | instskip(NEXT) | instid1(VALU_DEP_3)
	v_cndmask_b32_e64 v28, v30, v7, s0
	v_or_b32_e32 v27, v18, v27
	ds_bpermute_b32 v30, v21, v29
	ds_bpermute_b32 v32, v21, v28
	;; [unrolled: 1-line block ×3, first 2 shown]
	s_waitcnt lgkmcnt(0)
	v_cmp_lt_f32_e64 s3, v29, v30
	v_cmpx_nlt_f32_e32 v29, v30
; %bb.11:                               ;   in Loop: Header=BB205_10 Depth=1
	v_cmp_eq_f32_e64 s0, v29, v30
	v_cmp_lt_i32_e64 s1, v31, v27
	s_delay_alu instid0(VALU_DEP_1) | instskip(SKIP_2) | instid1(SALU_CYCLE_1)
	s_and_b32 s0, s0, s1
	s_and_not1_b32 s1, s3, exec_lo
	s_and_b32 s0, s0, exec_lo
	s_or_b32 s3, s1, s0
; %bb.12:                               ;   in Loop: Header=BB205_10 Depth=1
	s_or_b32 exec_lo, exec_lo, s4
	s_and_saveexec_b32 s0, s3
; %bb.13:                               ;   in Loop: Header=BB205_10 Depth=1
	v_dual_mov_b32 v28, v32 :: v_dual_mov_b32 v29, v30
	v_mov_b32_e32 v27, v31
; %bb.14:                               ;   in Loop: Header=BB205_10 Depth=1
	s_or_b32 exec_lo, exec_lo, s0
	ds_bpermute_b32 v30, v22, v29
	ds_bpermute_b32 v32, v22, v28
	;; [unrolled: 1-line block ×3, first 2 shown]
	s_mov_b32 s4, exec_lo
	s_waitcnt lgkmcnt(2)
	v_cmp_lt_f32_e64 s3, v29, v30
	v_cmpx_nlt_f32_e32 v29, v30
	s_cbranch_execz .LBB205_16
; %bb.15:                               ;   in Loop: Header=BB205_10 Depth=1
	v_cmp_eq_f32_e64 s0, v29, v30
	s_waitcnt lgkmcnt(0)
	v_cmp_lt_i32_e64 s1, v31, v27
	s_delay_alu instid0(VALU_DEP_1) | instskip(SKIP_2) | instid1(SALU_CYCLE_1)
	s_and_b32 s0, s0, s1
	s_and_not1_b32 s1, s3, exec_lo
	s_and_b32 s0, s0, exec_lo
	s_or_b32 s3, s1, s0
.LBB205_16:                             ;   in Loop: Header=BB205_10 Depth=1
	s_or_b32 exec_lo, exec_lo, s4
	s_delay_alu instid0(VALU_DEP_2)
	s_and_saveexec_b32 s0, s3
	s_cbranch_execz .LBB205_18
; %bb.17:                               ;   in Loop: Header=BB205_10 Depth=1
	s_waitcnt lgkmcnt(1)
	v_dual_mov_b32 v28, v32 :: v_dual_mov_b32 v29, v30
	s_waitcnt lgkmcnt(0)
	v_mov_b32_e32 v27, v31
.LBB205_18:                             ;   in Loop: Header=BB205_10 Depth=1
	s_or_b32 exec_lo, exec_lo, s0
	ds_bpermute_b32 v30, v23, v29
	s_waitcnt lgkmcnt(2)
	ds_bpermute_b32 v32, v23, v28
	s_waitcnt lgkmcnt(2)
	ds_bpermute_b32 v31, v23, v27
	s_mov_b32 s4, exec_lo
	s_waitcnt lgkmcnt(2)
	v_cmp_lt_f32_e64 s3, v29, v30
	v_cmpx_nlt_f32_e32 v29, v30
	s_cbranch_execz .LBB205_20
; %bb.19:                               ;   in Loop: Header=BB205_10 Depth=1
	v_cmp_eq_f32_e64 s0, v29, v30
	s_waitcnt lgkmcnt(0)
	v_cmp_lt_i32_e64 s1, v31, v27
	s_delay_alu instid0(VALU_DEP_1) | instskip(SKIP_2) | instid1(SALU_CYCLE_1)
	s_and_b32 s0, s0, s1
	s_and_not1_b32 s1, s3, exec_lo
	s_and_b32 s0, s0, exec_lo
	s_or_b32 s3, s1, s0
.LBB205_20:                             ;   in Loop: Header=BB205_10 Depth=1
	s_or_b32 exec_lo, exec_lo, s4
	s_delay_alu instid0(VALU_DEP_2)
	s_and_saveexec_b32 s0, s3
	s_cbranch_execz .LBB205_22
; %bb.21:                               ;   in Loop: Header=BB205_10 Depth=1
	s_waitcnt lgkmcnt(1)
	v_dual_mov_b32 v28, v32 :: v_dual_mov_b32 v29, v30
	s_waitcnt lgkmcnt(0)
	v_mov_b32_e32 v27, v31
.LBB205_22:                             ;   in Loop: Header=BB205_10 Depth=1
	s_or_b32 exec_lo, exec_lo, s0
	ds_bpermute_b32 v30, v24, v29
	s_waitcnt lgkmcnt(2)
	ds_bpermute_b32 v32, v24, v28
	s_waitcnt lgkmcnt(2)
	ds_bpermute_b32 v31, v24, v27
	s_mov_b32 s4, exec_lo
	s_waitcnt lgkmcnt(2)
	v_cmp_lt_f32_e64 s3, v29, v30
	v_cmpx_nlt_f32_e32 v29, v30
	s_cbranch_execz .LBB205_24
; %bb.23:                               ;   in Loop: Header=BB205_10 Depth=1
	v_cmp_eq_f32_e64 s0, v29, v30
	s_waitcnt lgkmcnt(0)
	v_cmp_lt_i32_e64 s1, v31, v27
	s_delay_alu instid0(VALU_DEP_1) | instskip(SKIP_2) | instid1(SALU_CYCLE_1)
	s_and_b32 s0, s0, s1
	s_and_not1_b32 s1, s3, exec_lo
	s_and_b32 s0, s0, exec_lo
	s_or_b32 s3, s1, s0
.LBB205_24:                             ;   in Loop: Header=BB205_10 Depth=1
	s_or_b32 exec_lo, exec_lo, s4
	s_delay_alu instid0(VALU_DEP_2)
	s_and_saveexec_b32 s0, s3
	s_cbranch_execz .LBB205_26
; %bb.25:                               ;   in Loop: Header=BB205_10 Depth=1
	s_waitcnt lgkmcnt(1)
	v_dual_mov_b32 v28, v32 :: v_dual_mov_b32 v29, v30
	s_waitcnt lgkmcnt(0)
	v_mov_b32_e32 v27, v31
.LBB205_26:                             ;   in Loop: Header=BB205_10 Depth=1
	s_or_b32 exec_lo, exec_lo, s0
	s_waitcnt lgkmcnt(1)
	ds_bpermute_b32 v32, v25, v29
	ds_bpermute_b32 v30, v25, v28
	s_waitcnt lgkmcnt(2)
	ds_bpermute_b32 v31, v25, v27
	s_mov_b32 s4, exec_lo
	s_waitcnt lgkmcnt(2)
	v_cmp_lt_f32_e64 s3, v29, v32
	v_cmpx_nlt_f32_e32 v29, v32
	s_cbranch_execnz .LBB205_30
; %bb.27:                               ;   in Loop: Header=BB205_10 Depth=1
	s_or_b32 exec_lo, exec_lo, s4
	s_delay_alu instid0(VALU_DEP_2)
	s_and_saveexec_b32 s0, s3
	s_cbranch_execnz .LBB205_31
.LBB205_28:                             ;   in Loop: Header=BB205_10 Depth=1
	s_or_b32 exec_lo, exec_lo, s0
	s_and_saveexec_b32 s3, s2
	s_cbranch_execnz .LBB205_32
.LBB205_29:                             ;   in Loop: Header=BB205_10 Depth=1
	s_or_b32 exec_lo, exec_lo, s3
	s_add_i32 s6, s6, 1
	s_delay_alu instid0(SALU_CYCLE_1)
	s_cmp_ge_i32 s6, s8
	s_cbranch_scc1 .LBB205_9
	s_branch .LBB205_33
.LBB205_30:                             ;   in Loop: Header=BB205_10 Depth=1
	v_cmp_eq_f32_e64 s0, v29, v32
	s_waitcnt lgkmcnt(0)
	v_cmp_lt_i32_e64 s1, v31, v27
	s_delay_alu instid0(VALU_DEP_1) | instskip(SKIP_2) | instid1(SALU_CYCLE_1)
	s_and_b32 s0, s0, s1
	s_and_not1_b32 s1, s3, exec_lo
	s_and_b32 s0, s0, exec_lo
	s_or_b32 s3, s1, s0
	s_or_b32 exec_lo, exec_lo, s4
	s_and_saveexec_b32 s0, s3
	s_cbranch_execz .LBB205_28
.LBB205_31:                             ;   in Loop: Header=BB205_10 Depth=1
	s_waitcnt lgkmcnt(0)
	v_dual_mov_b32 v27, v31 :: v_dual_mov_b32 v28, v30
	s_or_b32 exec_lo, exec_lo, s0
	s_and_saveexec_b32 s3, s2
	s_cbranch_execz .LBB205_29
.LBB205_32:                             ;   in Loop: Header=BB205_10 Depth=1
	s_delay_alu instid0(VALU_DEP_1)
	v_dual_add_f32 v36, v20, v28 :: v_dual_add_nc_u32 v29, s6, v19
	v_cmp_le_i32_e64 s0, s9, v27
	v_cmp_gt_i32_e64 s1, s10, v27
	s_waitcnt lgkmcnt(0)
	v_subrev_nc_u32_e32 v31, s9, v27
	v_ashrrev_i32_e32 v30, 31, v29
	v_cndmask_b32_e32 v20, v20, v36, vcc_lo
	s_and_b32 s0, s0, s1
	s_delay_alu instid0(SALU_CYCLE_1) | instskip(NEXT) | instid1(VALU_DEP_2)
	s_and_b32 s0, s19, s0
	v_lshlrev_b64 v[29:30], 2, v[29:30]
	v_cndmask_b32_e64 v35, 0x100, v31, s0
	s_delay_alu instid0(VALU_DEP_2) | instskip(NEXT) | instid1(VALU_DEP_1)
	v_add_co_u32 v31, s0, s16, v29
	v_add_co_ci_u32_e64 v32, s0, s17, v30, s0
	v_add_co_u32 v33, s0, s12, v29
	s_delay_alu instid0(VALU_DEP_1) | instskip(SKIP_1) | instid1(VALU_DEP_1)
	v_add_co_ci_u32_e64 v34, s0, s13, v30, s0
	v_add_co_u32 v29, s0, s14, v29
	v_add_co_ci_u32_e64 v30, s0, s15, v30, s0
	global_store_b32 v[31:32], v28, off
	global_store_b32 v[33:34], v35, off
	;; [unrolled: 1-line block ×3, first 2 shown]
	s_or_b32 exec_lo, exec_lo, s3
	s_add_i32 s6, s6, 1
	s_delay_alu instid0(SALU_CYCLE_1)
	s_cmp_ge_i32 s6, s8
	s_cbranch_scc1 .LBB205_9
.LBB205_33:                             ;   in Loop: Header=BB205_10 Depth=1
	v_ashrrev_i32_e32 v28, 31, v27
	s_mov_b32 s1, exec_lo
	s_delay_alu instid0(VALU_DEP_1) | instskip(NEXT) | instid1(VALU_DEP_1)
	v_lshrrev_b32_e32 v29, 30, v28
	v_add_nc_u32_e32 v29, v27, v29
	s_waitcnt lgkmcnt(1)
	s_delay_alu instid0(VALU_DEP_1) | instskip(SKIP_1) | instid1(VALU_DEP_2)
	v_ashrrev_i32_e32 v30, 31, v29
	v_ashrrev_i32_e32 v29, 2, v29
	v_lshrrev_b32_e32 v30, 27, v30
	s_delay_alu instid0(VALU_DEP_1) | instskip(NEXT) | instid1(VALU_DEP_1)
	v_add_nc_u32_e32 v30, v29, v30
	v_and_b32_e32 v30, 0xffffffe0, v30
	s_delay_alu instid0(VALU_DEP_1) | instskip(NEXT) | instid1(VALU_DEP_1)
	v_sub_nc_u32_e32 v30, v29, v30
	v_cmpx_eq_u32_e64 v17, v30
	s_cbranch_execz .LBB205_8
; %bb.34:                               ;   in Loop: Header=BB205_10 Depth=1
	v_lshrrev_b32_e32 v28, 25, v28
	v_lshlrev_b32_e32 v29, 2, v29
	s_delay_alu instid0(VALU_DEP_2) | instskip(NEXT) | instid1(VALU_DEP_2)
	v_add_nc_u32_e32 v28, v27, v28
	v_sub_nc_u32_e32 v27, v27, v29
	s_delay_alu instid0(VALU_DEP_2) | instskip(NEXT) | instid1(VALU_DEP_1)
	v_ashrrev_i32_e32 v28, 7, v28
	v_lshl_add_u32 v27, v28, 2, v27
	s_delay_alu instid0(VALU_DEP_1) | instskip(NEXT) | instid1(VALU_DEP_1)
	v_cmp_ne_u32_e64 s0, 7, v27
	v_cndmask_b32_e64 v15, 0xc61c4000, v15, s0
	v_cmp_ne_u32_e64 s0, 6, v27
	s_delay_alu instid0(VALU_DEP_1) | instskip(SKIP_1) | instid1(VALU_DEP_1)
	v_cndmask_b32_e64 v14, 0xc61c4000, v14, s0
	v_cmp_ne_u32_e64 s0, 5, v27
	v_cndmask_b32_e64 v13, 0xc61c4000, v13, s0
	v_cmp_ne_u32_e64 s0, 4, v27
	s_delay_alu instid0(VALU_DEP_1) | instskip(SKIP_1) | instid1(VALU_DEP_1)
	v_cndmask_b32_e64 v12, 0xc61c4000, v12, s0
	;; [unrolled: 5-line block ×3, first 2 shown]
	v_cmp_ne_u32_e64 s0, 1, v27
	v_cndmask_b32_e64 v9, 0xc61c4000, v9, s0
	v_cmp_ne_u32_e64 s0, 0, v27
	s_delay_alu instid0(VALU_DEP_1)
	v_cndmask_b32_e64 v8, 0xc61c4000, v8, s0
	s_branch .LBB205_8
.LBB205_35:
                                        ; implicit-def: $vgpr8_vgpr9_vgpr10_vgpr11_vgpr12_vgpr13_vgpr14_vgpr15
	s_and_not1_b32 vcc_lo, exec_lo, s9
	s_cbranch_vccz .LBB205_5
	s_branch .LBB205_6
.LBB205_36:
	v_mov_b32_e32 v20, 0
.LBB205_37:
	v_cmp_eq_u32_e64 s0, 0, v17
	s_delay_alu instid0(VALU_DEP_1) | instskip(NEXT) | instid1(SALU_CYCLE_1)
	s_and_b32 s0, s0, vcc_lo
	s_and_b32 exec_lo, exec_lo, s0
	s_cbranch_execz .LBB205_41
; %bb.38:
	s_and_not1_b32 vcc_lo, exec_lo, s5
	s_cbranch_vccnz .LBB205_41
; %bb.39:
	v_mul_lo_u32 v0, v16, s8
	v_cmp_lt_f32_e32 vcc_lo, 0, v20
	v_cndmask_b32_e32 v2, 1.0, v20, vcc_lo
	s_delay_alu instid0(VALU_DEP_3) | instskip(NEXT) | instid1(VALU_DEP_1)
	v_ashrrev_i32_e32 v1, 31, v0
	v_lshlrev_b64 v[0:1], 2, v[0:1]
	s_delay_alu instid0(VALU_DEP_1) | instskip(NEXT) | instid1(VALU_DEP_2)
	v_add_co_u32 v0, vcc_lo, s16, v0
	v_add_co_ci_u32_e32 v1, vcc_lo, s17, v1, vcc_lo
	.p2align	6
.LBB205_40:                             ; =>This Inner Loop Header: Depth=1
	global_load_b32 v3, v[0:1], off
	s_add_i32 s8, s8, -1
	s_delay_alu instid0(SALU_CYCLE_1) | instskip(SKIP_3) | instid1(VALU_DEP_2)
	s_cmp_lg_u32 s8, 0
	s_waitcnt vmcnt(0)
	v_div_scale_f32 v4, null, v2, v2, v3
	v_div_scale_f32 v7, vcc_lo, v3, v2, v3
	v_rcp_f32_e32 v5, v4
	s_waitcnt_depctr 0xfff
	v_fma_f32 v6, -v4, v5, 1.0
	s_delay_alu instid0(VALU_DEP_1) | instskip(NEXT) | instid1(VALU_DEP_1)
	v_fmac_f32_e32 v5, v6, v5
	v_mul_f32_e32 v6, v7, v5
	s_delay_alu instid0(VALU_DEP_1) | instskip(NEXT) | instid1(VALU_DEP_1)
	v_fma_f32 v8, -v4, v6, v7
	v_fmac_f32_e32 v6, v8, v5
	s_delay_alu instid0(VALU_DEP_1) | instskip(NEXT) | instid1(VALU_DEP_1)
	v_fma_f32 v4, -v4, v6, v7
	v_div_fmas_f32 v4, v4, v5, v6
	s_delay_alu instid0(VALU_DEP_1)
	v_div_fixup_f32 v3, v4, v2, v3
	global_store_b32 v[0:1], v3, off
	v_add_co_u32 v0, vcc_lo, v0, 4
	v_add_co_ci_u32_e32 v1, vcc_lo, 0, v1, vcc_lo
	s_cbranch_scc1 .LBB205_40
.LBB205_41:
	s_nop 0
	s_sendmsg sendmsg(MSG_DEALLOC_VGPRS)
	s_endpgm
	.section	.rodata,"a",@progbits
	.p2align	6, 0x0
	.amdhsa_kernel _ZN4vllm3moe10topkGatingILi8ELi256ELi4ELi16ELi32EifLNS0_11ScoringFuncE1EEEvPKT5_PKbPfiPT4_PiiiibPKf
		.amdhsa_group_segment_fixed_size 0
		.amdhsa_private_segment_fixed_size 0
		.amdhsa_kernarg_size 72
		.amdhsa_user_sgpr_count 15
		.amdhsa_user_sgpr_dispatch_ptr 0
		.amdhsa_user_sgpr_queue_ptr 0
		.amdhsa_user_sgpr_kernarg_segment_ptr 1
		.amdhsa_user_sgpr_dispatch_id 0
		.amdhsa_user_sgpr_private_segment_size 0
		.amdhsa_wavefront_size32 1
		.amdhsa_uses_dynamic_stack 0
		.amdhsa_enable_private_segment 0
		.amdhsa_system_sgpr_workgroup_id_x 1
		.amdhsa_system_sgpr_workgroup_id_y 0
		.amdhsa_system_sgpr_workgroup_id_z 0
		.amdhsa_system_sgpr_workgroup_info 0
		.amdhsa_system_vgpr_workitem_id 1
		.amdhsa_next_free_vgpr 51
		.amdhsa_next_free_sgpr 20
		.amdhsa_reserve_vcc 1
		.amdhsa_float_round_mode_32 0
		.amdhsa_float_round_mode_16_64 0
		.amdhsa_float_denorm_mode_32 3
		.amdhsa_float_denorm_mode_16_64 3
		.amdhsa_dx10_clamp 1
		.amdhsa_ieee_mode 1
		.amdhsa_fp16_overflow 0
		.amdhsa_workgroup_processor_mode 1
		.amdhsa_memory_ordered 1
		.amdhsa_forward_progress 0
		.amdhsa_shared_vgpr_count 0
		.amdhsa_exception_fp_ieee_invalid_op 0
		.amdhsa_exception_fp_denorm_src 0
		.amdhsa_exception_fp_ieee_div_zero 0
		.amdhsa_exception_fp_ieee_overflow 0
		.amdhsa_exception_fp_ieee_underflow 0
		.amdhsa_exception_fp_ieee_inexact 0
		.amdhsa_exception_int_div_zero 0
	.end_amdhsa_kernel
	.section	.text._ZN4vllm3moe10topkGatingILi8ELi256ELi4ELi16ELi32EifLNS0_11ScoringFuncE1EEEvPKT5_PKbPfiPT4_PiiiibPKf,"axG",@progbits,_ZN4vllm3moe10topkGatingILi8ELi256ELi4ELi16ELi32EifLNS0_11ScoringFuncE1EEEvPKT5_PKbPfiPT4_PiiiibPKf,comdat
.Lfunc_end205:
	.size	_ZN4vllm3moe10topkGatingILi8ELi256ELi4ELi16ELi32EifLNS0_11ScoringFuncE1EEEvPKT5_PKbPfiPT4_PiiiibPKf, .Lfunc_end205-_ZN4vllm3moe10topkGatingILi8ELi256ELi4ELi16ELi32EifLNS0_11ScoringFuncE1EEEvPKT5_PKbPfiPT4_PiiiibPKf
                                        ; -- End function
	.section	.AMDGPU.csdata,"",@progbits
; Kernel info:
; codeLenInByte = 3220
; NumSgprs: 22
; NumVgprs: 51
; ScratchSize: 0
; MemoryBound: 0
; FloatMode: 240
; IeeeMode: 1
; LDSByteSize: 0 bytes/workgroup (compile time only)
; SGPRBlocks: 2
; VGPRBlocks: 6
; NumSGPRsForWavesPerEU: 22
; NumVGPRsForWavesPerEU: 51
; Occupancy: 16
; WaveLimiterHint : 1
; COMPUTE_PGM_RSRC2:SCRATCH_EN: 0
; COMPUTE_PGM_RSRC2:USER_SGPR: 15
; COMPUTE_PGM_RSRC2:TRAP_HANDLER: 0
; COMPUTE_PGM_RSRC2:TGID_X_EN: 1
; COMPUTE_PGM_RSRC2:TGID_Y_EN: 0
; COMPUTE_PGM_RSRC2:TGID_Z_EN: 0
; COMPUTE_PGM_RSRC2:TIDIG_COMP_CNT: 1
	.section	.text._ZN4vllm3moe10topkGatingILi8ELi512ELi4ELi16ELi64EifLNS0_11ScoringFuncE1EEEvPKT5_PKbPfiPT4_PiiiibPKf,"axG",@progbits,_ZN4vllm3moe10topkGatingILi8ELi512ELi4ELi16ELi64EifLNS0_11ScoringFuncE1EEEvPKT5_PKbPfiPT4_PiiiibPKf,comdat
	.protected	_ZN4vllm3moe10topkGatingILi8ELi512ELi4ELi16ELi64EifLNS0_11ScoringFuncE1EEEvPKT5_PKbPfiPT4_PiiiibPKf ; -- Begin function _ZN4vllm3moe10topkGatingILi8ELi512ELi4ELi16ELi64EifLNS0_11ScoringFuncE1EEEvPKT5_PKbPfiPT4_PiiiibPKf
	.globl	_ZN4vllm3moe10topkGatingILi8ELi512ELi4ELi16ELi64EifLNS0_11ScoringFuncE1EEEvPKT5_PKbPfiPT4_PiiiibPKf
	.p2align	8
	.type	_ZN4vllm3moe10topkGatingILi8ELi512ELi4ELi16ELi64EifLNS0_11ScoringFuncE1EEEvPKT5_PKbPfiPT4_PiiiibPKf,@function
_ZN4vllm3moe10topkGatingILi8ELi512ELi4ELi16ELi64EifLNS0_11ScoringFuncE1EEEvPKT5_PKbPfiPT4_PiiiibPKf: ; @_ZN4vllm3moe10topkGatingILi8ELi512ELi4ELi16ELi64EifLNS0_11ScoringFuncE1EEEvPKT5_PKbPfiPT4_PiiiibPKf
; %bb.0:
	s_load_b32 s18, s[0:1], 0x18
	v_and_b32_e32 v1, 0x3ff, v0
	v_bfe_u32 v0, v0, 10, 10
	s_lshl_b32 s2, s15, 2
	s_delay_alu instid0(VALU_DEP_2) | instskip(NEXT) | instid1(VALU_DEP_1)
	v_lshrrev_b32_e32 v2, 6, v1
	v_add3_u32 v16, s2, v0, v2
	s_mov_b32 s2, exec_lo
	s_waitcnt lgkmcnt(0)
	s_delay_alu instid0(VALU_DEP_1)
	v_cmpx_gt_i32_e64 s18, v16
	s_cbranch_execz .LBB206_45
; %bb.1:
	s_clause 0x1
	s_load_b128 s[4:7], s[0:1], 0x0
	s_load_b64 s[16:17], s[0:1], 0x10
	s_mov_b32 s9, -1
	s_mov_b32 s19, -1
	s_waitcnt lgkmcnt(0)
	s_cmp_eq_u64 s[6:7], 0
	s_cbranch_scc1 .LBB206_3
; %bb.2:
	v_ashrrev_i32_e32 v0, 31, v16
	v_add_co_u32 v2, vcc_lo, s6, v16
	s_delay_alu instid0(VALU_DEP_2) | instskip(SKIP_3) | instid1(VALU_DEP_1)
	v_add_co_ci_u32_e32 v3, vcc_lo, s7, v0, vcc_lo
	global_load_u8 v0, v[2:3], off
	s_waitcnt vmcnt(0)
	v_and_b32_e32 v0, 1, v0
	v_cmp_eq_u32_e32 vcc_lo, 1, v0
	s_xor_b32 s2, vcc_lo, -1
	s_delay_alu instid0(SALU_CYCLE_1)
	s_or_not1_b32 s19, s2, exec_lo
.LBB206_3:
	v_lshlrev_b32_e32 v2, 9, v16
	v_and_b32_e32 v17, 63, v1
	s_load_b64 s[10:11], s[0:1], 0x40
	s_delay_alu instid0(VALU_DEP_2) | instskip(NEXT) | instid1(VALU_DEP_1)
	v_ashrrev_i32_e32 v3, 31, v2
	v_lshlrev_b64 v[0:1], 2, v[2:3]
	s_delay_alu instid0(VALU_DEP_3) | instskip(NEXT) | instid1(VALU_DEP_2)
	v_lshlrev_b32_e32 v2, 4, v17
	v_add_co_u32 v0, vcc_lo, s4, v0
	s_delay_alu instid0(VALU_DEP_3) | instskip(NEXT) | instid1(VALU_DEP_2)
	v_add_co_ci_u32_e32 v1, vcc_lo, s5, v1, vcc_lo
	v_add_co_u32 v4, vcc_lo, v0, v2
	s_delay_alu instid0(VALU_DEP_2)
	v_add_co_ci_u32_e32 v5, vcc_lo, 0, v1, vcc_lo
	s_waitcnt lgkmcnt(0)
	s_cmp_eq_u64 s[10:11], 0
	s_clause 0x1
	global_load_b128 v[0:3], v[4:5], off
	global_load_b128 v[4:7], v[4:5], off offset:1024
	s_waitcnt vmcnt(1)
	v_mul_f32_e32 v3, 0xbfb8aa3b, v3
	v_dual_mul_f32 v1, 0xbfb8aa3b, v1 :: v_dual_mul_f32 v0, 0xbfb8aa3b, v0
	s_waitcnt vmcnt(0)
	v_dual_mul_f32 v2, 0xbfb8aa3b, v2 :: v_dual_mul_f32 v5, 0xbfb8aa3b, v5
	s_delay_alu instid0(VALU_DEP_3) | instskip(NEXT) | instid1(VALU_DEP_2)
	v_exp_f32_e32 v3, v3
	v_exp_f32_e32 v1, v1
	v_mul_f32_e32 v6, 0xbfb8aa3b, v6
	v_exp_f32_e32 v0, v0
	v_dual_mul_f32 v4, 0xbfb8aa3b, v4 :: v_dual_mul_f32 v7, 0xbfb8aa3b, v7
	v_lshlrev_b32_e32 v18, 2, v17
	v_exp_f32_e32 v5, v5
	v_exp_f32_e32 v2, v2
	s_delay_alu instid0(VALU_DEP_2)
	v_exp_f32_e32 v4, v4
	v_add_f32_e32 v3, 1.0, v3
	v_add_f32_e32 v1, 1.0, v1
	v_exp_f32_e32 v7, v7
	v_add_f32_e32 v0, 1.0, v0
	v_exp_f32_e32 v6, v6
	v_div_scale_f32 v14, null, v3, v3, 1.0
	v_add_f32_e32 v5, 1.0, v5
	v_div_scale_f32 v10, null, v1, v1, 1.0
	s_delay_alu instid0(VALU_DEP_3) | instskip(SKIP_1) | instid1(VALU_DEP_2)
	v_rcp_f32_e32 v29, v14
	v_div_scale_f32 v8, null, v0, v0, 1.0
	v_rcp_f32_e32 v27, v10
	v_dual_add_f32 v2, 1.0, v2 :: v_dual_add_f32 v7, 1.0, v7
	v_div_scale_f32 v21, null, v5, v5, 1.0
	s_delay_alu instid0(VALU_DEP_3) | instskip(NEXT) | instid1(VALU_DEP_2)
	v_rcp_f32_e32 v26, v8
	v_div_scale_f32 v12, null, v2, v2, 1.0
	s_delay_alu instid0(VALU_DEP_3)
	v_div_scale_f32 v25, null, v7, v7, 1.0
	s_waitcnt_depctr 0xfff
	v_fma_f32 v36, -v10, v27, 1.0
	v_add_f32_e32 v4, 1.0, v4
	v_fma_f32 v38, -v14, v29, 1.0
	v_add_f32_e32 v6, 1.0, v6
	v_rcp_f32_e32 v31, v21
	v_fmac_f32_e32 v27, v36, v27
	v_div_scale_f32 v19, null, v4, v4, 1.0
	v_fmac_f32_e32 v29, v38, v29
	v_div_scale_f32 v23, null, v6, v6, 1.0
	v_rcp_f32_e32 v28, v12
	s_delay_alu instid0(VALU_DEP_3)
	v_rcp_f32_e32 v30, v19
	v_rcp_f32_e32 v33, v25
	v_fma_f32 v35, -v8, v26, 1.0
	v_rcp_f32_e32 v32, v23
	v_div_scale_f32 v9, vcc_lo, 1.0, v0, 1.0
	v_fma_f32 v40, -v21, v31, 1.0
	s_delay_alu instid0(VALU_DEP_3) | instskip(SKIP_2) | instid1(VALU_DEP_4)
	v_fmac_f32_e32 v26, v35, v26
	v_div_scale_f32 v11, s2, 1.0, v1, 1.0
	v_fma_f32 v37, -v12, v28, 1.0
	v_fmac_f32_e32 v31, v40, v31
	v_fma_f32 v39, -v19, v30, 1.0
	v_fma_f32 v42, -v25, v33, 1.0
	v_dual_mul_f32 v35, v9, v26 :: v_dual_mul_f32 v36, v11, v27
	v_div_scale_f32 v13, s3, 1.0, v2, 1.0
	v_div_scale_f32 v20, s5, 1.0, v4, 1.0
	v_fma_f32 v41, -v23, v32, 1.0
	v_dual_fmac_f32 v28, v37, v28 :: v_dual_fmac_f32 v33, v42, v33
	v_fmac_f32_e32 v30, v39, v30
	v_div_scale_f32 v22, s6, 1.0, v5, 1.0
	s_delay_alu instid0(VALU_DEP_3) | instskip(SKIP_1) | instid1(VALU_DEP_4)
	v_mul_f32_e32 v37, v13, v28
	v_fma_f32 v43, -v8, v35, v9
	v_dual_fmac_f32 v32, v41, v32 :: v_dual_mul_f32 v39, v20, v30
	v_fma_f32 v44, -v10, v36, v11
	v_div_scale_f32 v15, s4, 1.0, v3, 1.0
	s_delay_alu instid0(VALU_DEP_4) | instskip(NEXT) | instid1(VALU_DEP_4)
	v_dual_mul_f32 v40, v22, v31 :: v_dual_fmac_f32 v35, v43, v26
	v_fma_f32 v47, -v19, v39, v20
	s_delay_alu instid0(VALU_DEP_4) | instskip(SKIP_4) | instid1(VALU_DEP_4)
	v_fmac_f32_e32 v36, v44, v27
	v_div_scale_f32 v24, s7, 1.0, v6, 1.0
	v_mul_f32_e32 v38, v15, v29
	v_fma_f32 v8, -v8, v35, v9
	v_div_scale_f32 v34, s8, 1.0, v7, 1.0
	v_mul_f32_e32 v41, v24, v32
	v_fma_f32 v45, -v12, v37, v13
	v_fmac_f32_e32 v39, v47, v30
	v_fma_f32 v9, -v10, v36, v11
	v_fma_f32 v46, -v14, v38, v15
	v_div_fmas_f32 v8, v8, v26, v35
	s_mov_b32 vcc_lo, s2
	v_dual_mul_f32 v42, v34, v33 :: v_dual_fmac_f32 v37, v45, v28
	v_fma_f32 v48, -v21, v40, v22
	v_div_fmas_f32 v9, v9, v27, v36
	v_fma_f32 v49, -v23, v41, v24
	v_fmac_f32_e32 v38, v46, v29
	v_fma_f32 v10, -v12, v37, v13
	s_mov_b32 vcc_lo, s3
	v_div_fixup_f32 v1, v9, v1, 1.0
	v_dual_fmac_f32 v41, v49, v32 :: v_dual_fmac_f32 v40, v48, v31
	v_fma_f32 v11, -v14, v38, v15
	v_fma_f32 v12, -v19, v39, v20
	v_div_fmas_f32 v10, v10, v28, v37
	s_mov_b32 vcc_lo, s4
	v_fma_f32 v13, -v21, v40, v22
	v_div_fixup_f32 v0, v8, v0, 1.0
	v_div_fmas_f32 v8, v11, v29, v38
	s_mov_b32 vcc_lo, s5
	v_fma_f32 v50, -v25, v42, v34
	v_div_fmas_f32 v9, v12, v30, v39
	s_mov_b32 vcc_lo, s6
	v_div_fixup_f32 v2, v10, v2, 1.0
	v_div_fmas_f32 v10, v13, v31, v40
	v_cmp_class_f32_e64 vcc_lo, v0, 0x1f8
	v_fma_f32 v14, -v23, v41, v24
	v_div_fixup_f32 v3, v8, v3, 1.0
	v_fmac_f32_e32 v42, v50, v33
	v_div_fixup_f32 v5, v10, v5, 1.0
	v_cndmask_b32_e32 v0, 0, v0, vcc_lo
	s_mov_b32 vcc_lo, s7
	v_div_fixup_f32 v4, v9, v4, 1.0
	v_div_fmas_f32 v8, v14, v32, v41
	v_cmp_class_f32_e64 vcc_lo, v1, 0x1f8
	v_fma_f32 v15, -v25, v42, v34
	s_delay_alu instid0(VALU_DEP_3) | instskip(SKIP_2) | instid1(VALU_DEP_3)
	v_div_fixup_f32 v6, v8, v6, 1.0
	v_cndmask_b32_e32 v1, 0, v1, vcc_lo
	s_mov_b32 vcc_lo, s8
	v_div_fmas_f32 v9, v15, v33, v42
	v_cmp_class_f32_e64 vcc_lo, v2, 0x1f8
	s_delay_alu instid0(VALU_DEP_2)
	v_div_fixup_f32 v7, v9, v7, 1.0
	v_cndmask_b32_e32 v2, 0, v2, vcc_lo
	v_cmp_class_f32_e64 vcc_lo, v3, 0x1f8
	v_cndmask_b32_e32 v3, 0, v3, vcc_lo
	v_cmp_class_f32_e64 vcc_lo, v4, 0x1f8
	;; [unrolled: 2-line block ×5, first 2 shown]
	v_cndmask_b32_e32 v7, 0, v7, vcc_lo
	s_cbranch_scc1 .LBB206_39
; %bb.4:
	v_lshlrev_b32_e32 v12, 2, v18
	s_clause 0x1
	global_load_b128 v[8:11], v12, s[10:11]
	global_load_b128 v[12:15], v12, s[10:11] offset:1024
	s_waitcnt vmcnt(1)
	v_dual_add_f32 v9, v9, v1 :: v_dual_add_f32 v8, v8, v0
	v_dual_add_f32 v11, v11, v3 :: v_dual_add_f32 v10, v10, v2
	s_waitcnt vmcnt(0)
	v_dual_add_f32 v13, v13, v5 :: v_dual_add_f32 v12, v12, v4
	v_dual_add_f32 v15, v15, v7 :: v_dual_add_f32 v14, v14, v6
	s_cbranch_execnz .LBB206_6
.LBB206_5:
	v_dual_mov_b32 v15, v7 :: v_dual_mov_b32 v14, v6
	v_dual_mov_b32 v13, v5 :: v_dual_mov_b32 v12, v4
	;; [unrolled: 1-line block ×4, first 2 shown]
.LBB206_6:
	s_load_b128 s[8:11], s[0:1], 0x30
	v_cmp_eq_u32_e64 s2, 0, v17
	s_mov_b32 s6, 0
	s_waitcnt lgkmcnt(0)
	s_bitcmp1_b32 s11, 0
	s_cselect_b32 vcc_lo, -1, 0
	s_cmp_gt_i32 s8, 0
	s_cselect_b32 s5, -1, 0
	s_cmp_lt_i32 s8, 1
	s_cbranch_scc1 .LBB206_40
; %bb.7:
	v_mbcnt_lo_u32_b32 v20, -1, 0
	s_load_b128 s[12:15], s[0:1], 0x20
	v_mul_lo_u32 v19, v16, s8
	v_mov_b32_e32 v27, v16
	s_delay_alu instid0(VALU_DEP_3)
	v_or_b32_e32 v21, 32, v20
	v_xor_b32_e32 v22, 16, v20
	v_xor_b32_e32 v23, 8, v20
	;; [unrolled: 1-line block ×4, first 2 shown]
	v_cmp_gt_i32_e64 s0, 64, v21
	v_xor_b32_e32 v26, 1, v20
	s_delay_alu instid0(VALU_DEP_2) | instskip(SKIP_1) | instid1(VALU_DEP_2)
	v_cndmask_b32_e64 v21, v20, v21, s0
	v_cmp_gt_i32_e64 s0, 64, v22
	v_lshlrev_b32_e32 v21, 2, v21
	s_delay_alu instid0(VALU_DEP_2) | instskip(SKIP_1) | instid1(VALU_DEP_2)
	v_cndmask_b32_e64 v22, v20, v22, s0
	v_cmp_gt_i32_e64 s0, 64, v23
	v_lshlrev_b32_e32 v22, 2, v22
	;; [unrolled: 4-line block ×5, first 2 shown]
	s_delay_alu instid0(VALU_DEP_2) | instskip(NEXT) | instid1(VALU_DEP_1)
	v_cndmask_b32_e64 v20, v20, v26, s0
	v_lshlrev_b32_e32 v26, 2, v20
	v_mov_b32_e32 v20, 0
	s_branch .LBB206_10
.LBB206_8:                              ;   in Loop: Header=BB206_10 Depth=1
	s_or_b32 exec_lo, exec_lo, s1
.LBB206_9:                              ;   in Loop: Header=BB206_10 Depth=1
	v_add_nc_u32_e32 v27, s18, v27
	s_cmp_eq_u32 s8, s6
	s_cbranch_scc1 .LBB206_41
.LBB206_10:                             ; =>This Inner Loop Header: Depth=1
	v_cmp_gt_f32_e64 s0, v9, v8
	s_delay_alu instid0(VALU_DEP_1) | instskip(SKIP_2) | instid1(VALU_DEP_3)
	v_cndmask_b32_e64 v29, v8, v9, s0
	v_cndmask_b32_e64 v28, 0, 1, s0
	v_cndmask_b32_e64 v30, v0, v1, s0
	v_cmp_gt_f32_e64 s1, v10, v29
	s_delay_alu instid0(VALU_DEP_1) | instskip(NEXT) | instid1(VALU_DEP_4)
	v_cndmask_b32_e64 v29, v29, v10, s1
	v_cndmask_b32_e64 v28, v28, 2, s1
	s_delay_alu instid0(VALU_DEP_4) | instskip(NEXT) | instid1(VALU_DEP_3)
	v_cndmask_b32_e64 v30, v30, v2, s1
	v_cmp_gt_f32_e64 s3, v11, v29
	s_delay_alu instid0(VALU_DEP_1) | instskip(NEXT) | instid1(VALU_DEP_4)
	v_cndmask_b32_e64 v29, v29, v11, s3
	v_cndmask_b32_e64 v28, v28, 3, s3
	s_delay_alu instid0(VALU_DEP_4) | instskip(NEXT) | instid1(VALU_DEP_3)
	v_cndmask_b32_e64 v30, v30, v3, s3
	v_cmp_gt_f32_e64 s4, v12, v29
	s_delay_alu instid0(VALU_DEP_1) | instskip(NEXT) | instid1(VALU_DEP_4)
	v_cndmask_b32_e64 v29, v29, v12, s4
	v_cndmask_b32_e64 v28, v28, 0x100, s4
	s_delay_alu instid0(VALU_DEP_4) | instskip(SKIP_1) | instid1(VALU_DEP_3)
	v_cndmask_b32_e64 v30, v30, v4, s4
	s_mov_b32 s4, exec_lo
	v_cmp_gt_f32_e64 s0, v13, v29
	s_delay_alu instid0(VALU_DEP_1) | instskip(SKIP_2) | instid1(VALU_DEP_3)
	v_cndmask_b32_e64 v29, v29, v13, s0
	v_cndmask_b32_e64 v28, v28, 0x101, s0
	;; [unrolled: 1-line block ×3, first 2 shown]
	v_cmp_gt_f32_e64 s1, v14, v29
	s_delay_alu instid0(VALU_DEP_1) | instskip(NEXT) | instid1(VALU_DEP_4)
	v_cndmask_b32_e64 v29, v29, v14, s1
	v_cndmask_b32_e64 v28, v28, 0x102, s1
	s_waitcnt lgkmcnt(0)
	v_cndmask_b32_e64 v31, v30, v6, s1
	s_delay_alu instid0(VALU_DEP_3) | instskip(NEXT) | instid1(VALU_DEP_1)
	v_cmp_gt_f32_e64 s0, v15, v29
	v_cndmask_b32_e64 v28, v28, 0x103, s0
	v_cndmask_b32_e64 v30, v29, v15, s0
	s_delay_alu instid0(VALU_DEP_4) | instskip(NEXT) | instid1(VALU_DEP_3)
	v_cndmask_b32_e64 v29, v31, v7, s0
	v_or_b32_e32 v28, v18, v28
	ds_bpermute_b32 v31, v21, v30
	ds_bpermute_b32 v33, v21, v29
	;; [unrolled: 1-line block ×3, first 2 shown]
	s_waitcnt lgkmcnt(0)
	v_cmp_lt_f32_e64 s3, v30, v31
	v_cmpx_nlt_f32_e32 v30, v31
; %bb.11:                               ;   in Loop: Header=BB206_10 Depth=1
	v_cmp_eq_f32_e64 s0, v30, v31
	v_cmp_lt_i32_e64 s1, v32, v28
	s_delay_alu instid0(VALU_DEP_1) | instskip(SKIP_2) | instid1(SALU_CYCLE_1)
	s_and_b32 s0, s0, s1
	s_and_not1_b32 s1, s3, exec_lo
	s_and_b32 s0, s0, exec_lo
	s_or_b32 s3, s1, s0
; %bb.12:                               ;   in Loop: Header=BB206_10 Depth=1
	s_or_b32 exec_lo, exec_lo, s4
	s_and_saveexec_b32 s0, s3
; %bb.13:                               ;   in Loop: Header=BB206_10 Depth=1
	v_dual_mov_b32 v29, v33 :: v_dual_mov_b32 v30, v31
	v_mov_b32_e32 v28, v32
; %bb.14:                               ;   in Loop: Header=BB206_10 Depth=1
	s_or_b32 exec_lo, exec_lo, s0
	ds_bpermute_b32 v31, v22, v30
	ds_bpermute_b32 v33, v22, v29
	;; [unrolled: 1-line block ×3, first 2 shown]
	s_mov_b32 s4, exec_lo
	s_waitcnt lgkmcnt(2)
	v_cmp_lt_f32_e64 s3, v30, v31
	v_cmpx_nlt_f32_e32 v30, v31
	s_cbranch_execz .LBB206_16
; %bb.15:                               ;   in Loop: Header=BB206_10 Depth=1
	v_cmp_eq_f32_e64 s0, v30, v31
	s_waitcnt lgkmcnt(0)
	v_cmp_lt_i32_e64 s1, v32, v28
	s_delay_alu instid0(VALU_DEP_1) | instskip(SKIP_2) | instid1(SALU_CYCLE_1)
	s_and_b32 s0, s0, s1
	s_and_not1_b32 s1, s3, exec_lo
	s_and_b32 s0, s0, exec_lo
	s_or_b32 s3, s1, s0
.LBB206_16:                             ;   in Loop: Header=BB206_10 Depth=1
	s_or_b32 exec_lo, exec_lo, s4
	s_delay_alu instid0(VALU_DEP_2)
	s_and_saveexec_b32 s0, s3
	s_cbranch_execz .LBB206_18
; %bb.17:                               ;   in Loop: Header=BB206_10 Depth=1
	s_waitcnt lgkmcnt(1)
	v_dual_mov_b32 v29, v33 :: v_dual_mov_b32 v30, v31
	s_waitcnt lgkmcnt(0)
	v_mov_b32_e32 v28, v32
.LBB206_18:                             ;   in Loop: Header=BB206_10 Depth=1
	s_or_b32 exec_lo, exec_lo, s0
	ds_bpermute_b32 v31, v23, v30
	s_waitcnt lgkmcnt(2)
	ds_bpermute_b32 v33, v23, v29
	s_waitcnt lgkmcnt(2)
	ds_bpermute_b32 v32, v23, v28
	s_mov_b32 s4, exec_lo
	s_waitcnt lgkmcnt(2)
	v_cmp_lt_f32_e64 s3, v30, v31
	v_cmpx_nlt_f32_e32 v30, v31
	s_cbranch_execz .LBB206_20
; %bb.19:                               ;   in Loop: Header=BB206_10 Depth=1
	v_cmp_eq_f32_e64 s0, v30, v31
	s_waitcnt lgkmcnt(0)
	v_cmp_lt_i32_e64 s1, v32, v28
	s_delay_alu instid0(VALU_DEP_1) | instskip(SKIP_2) | instid1(SALU_CYCLE_1)
	s_and_b32 s0, s0, s1
	s_and_not1_b32 s1, s3, exec_lo
	s_and_b32 s0, s0, exec_lo
	s_or_b32 s3, s1, s0
.LBB206_20:                             ;   in Loop: Header=BB206_10 Depth=1
	s_or_b32 exec_lo, exec_lo, s4
	s_delay_alu instid0(VALU_DEP_2)
	s_and_saveexec_b32 s0, s3
	s_cbranch_execz .LBB206_22
; %bb.21:                               ;   in Loop: Header=BB206_10 Depth=1
	s_waitcnt lgkmcnt(1)
	v_dual_mov_b32 v29, v33 :: v_dual_mov_b32 v30, v31
	s_waitcnt lgkmcnt(0)
	v_mov_b32_e32 v28, v32
.LBB206_22:                             ;   in Loop: Header=BB206_10 Depth=1
	s_or_b32 exec_lo, exec_lo, s0
	ds_bpermute_b32 v31, v24, v30
	s_waitcnt lgkmcnt(2)
	ds_bpermute_b32 v33, v24, v29
	s_waitcnt lgkmcnt(2)
	ds_bpermute_b32 v32, v24, v28
	s_mov_b32 s4, exec_lo
	s_waitcnt lgkmcnt(2)
	v_cmp_lt_f32_e64 s3, v30, v31
	v_cmpx_nlt_f32_e32 v30, v31
	s_cbranch_execz .LBB206_24
; %bb.23:                               ;   in Loop: Header=BB206_10 Depth=1
	v_cmp_eq_f32_e64 s0, v30, v31
	s_waitcnt lgkmcnt(0)
	v_cmp_lt_i32_e64 s1, v32, v28
	s_delay_alu instid0(VALU_DEP_1) | instskip(SKIP_2) | instid1(SALU_CYCLE_1)
	s_and_b32 s0, s0, s1
	s_and_not1_b32 s1, s3, exec_lo
	s_and_b32 s0, s0, exec_lo
	s_or_b32 s3, s1, s0
.LBB206_24:                             ;   in Loop: Header=BB206_10 Depth=1
	s_or_b32 exec_lo, exec_lo, s4
	s_delay_alu instid0(VALU_DEP_2)
	s_and_saveexec_b32 s0, s3
	s_cbranch_execz .LBB206_26
; %bb.25:                               ;   in Loop: Header=BB206_10 Depth=1
	s_waitcnt lgkmcnt(1)
	v_dual_mov_b32 v29, v33 :: v_dual_mov_b32 v30, v31
	s_waitcnt lgkmcnt(0)
	v_mov_b32_e32 v28, v32
.LBB206_26:                             ;   in Loop: Header=BB206_10 Depth=1
	s_or_b32 exec_lo, exec_lo, s0
	ds_bpermute_b32 v31, v25, v30
	s_waitcnt lgkmcnt(2)
	ds_bpermute_b32 v33, v25, v29
	s_waitcnt lgkmcnt(2)
	ds_bpermute_b32 v32, v25, v28
	s_mov_b32 s4, exec_lo
	s_waitcnt lgkmcnt(2)
	v_cmp_lt_f32_e64 s3, v30, v31
	v_cmpx_nlt_f32_e32 v30, v31
	s_cbranch_execz .LBB206_28
; %bb.27:                               ;   in Loop: Header=BB206_10 Depth=1
	v_cmp_eq_f32_e64 s0, v30, v31
	s_waitcnt lgkmcnt(0)
	v_cmp_lt_i32_e64 s1, v32, v28
	s_delay_alu instid0(VALU_DEP_1) | instskip(SKIP_2) | instid1(SALU_CYCLE_1)
	s_and_b32 s0, s0, s1
	s_and_not1_b32 s1, s3, exec_lo
	s_and_b32 s0, s0, exec_lo
	s_or_b32 s3, s1, s0
.LBB206_28:                             ;   in Loop: Header=BB206_10 Depth=1
	s_or_b32 exec_lo, exec_lo, s4
	s_delay_alu instid0(VALU_DEP_2)
	s_and_saveexec_b32 s0, s3
	s_cbranch_execz .LBB206_30
; %bb.29:                               ;   in Loop: Header=BB206_10 Depth=1
	s_waitcnt lgkmcnt(1)
	v_dual_mov_b32 v29, v33 :: v_dual_mov_b32 v30, v31
	s_waitcnt lgkmcnt(0)
	v_mov_b32_e32 v28, v32
.LBB206_30:                             ;   in Loop: Header=BB206_10 Depth=1
	s_or_b32 exec_lo, exec_lo, s0
	s_waitcnt lgkmcnt(1)
	ds_bpermute_b32 v33, v26, v30
	ds_bpermute_b32 v31, v26, v29
	s_waitcnt lgkmcnt(2)
	ds_bpermute_b32 v32, v26, v28
	s_mov_b32 s4, exec_lo
	s_waitcnt lgkmcnt(2)
	v_cmp_lt_f32_e64 s3, v30, v33
	v_cmpx_nlt_f32_e32 v30, v33
	s_cbranch_execnz .LBB206_34
; %bb.31:                               ;   in Loop: Header=BB206_10 Depth=1
	s_or_b32 exec_lo, exec_lo, s4
	s_delay_alu instid0(VALU_DEP_2)
	s_and_saveexec_b32 s0, s3
	s_cbranch_execnz .LBB206_35
.LBB206_32:                             ;   in Loop: Header=BB206_10 Depth=1
	s_or_b32 exec_lo, exec_lo, s0
	s_and_saveexec_b32 s3, s2
	s_cbranch_execnz .LBB206_36
.LBB206_33:                             ;   in Loop: Header=BB206_10 Depth=1
	s_or_b32 exec_lo, exec_lo, s3
	s_add_i32 s6, s6, 1
	s_delay_alu instid0(SALU_CYCLE_1)
	s_cmp_ge_i32 s6, s8
	s_cbranch_scc1 .LBB206_9
	s_branch .LBB206_37
.LBB206_34:                             ;   in Loop: Header=BB206_10 Depth=1
	v_cmp_eq_f32_e64 s0, v30, v33
	s_waitcnt lgkmcnt(0)
	v_cmp_lt_i32_e64 s1, v32, v28
	s_delay_alu instid0(VALU_DEP_1) | instskip(SKIP_2) | instid1(SALU_CYCLE_1)
	s_and_b32 s0, s0, s1
	s_and_not1_b32 s1, s3, exec_lo
	s_and_b32 s0, s0, exec_lo
	s_or_b32 s3, s1, s0
	s_or_b32 exec_lo, exec_lo, s4
	s_and_saveexec_b32 s0, s3
	s_cbranch_execz .LBB206_32
.LBB206_35:                             ;   in Loop: Header=BB206_10 Depth=1
	s_waitcnt lgkmcnt(0)
	v_dual_mov_b32 v28, v32 :: v_dual_mov_b32 v29, v31
	s_or_b32 exec_lo, exec_lo, s0
	s_and_saveexec_b32 s3, s2
	s_cbranch_execz .LBB206_33
.LBB206_36:                             ;   in Loop: Header=BB206_10 Depth=1
	s_delay_alu instid0(VALU_DEP_1)
	v_dual_add_f32 v37, v20, v29 :: v_dual_add_nc_u32 v30, s6, v19
	v_cmp_le_i32_e64 s0, s9, v28
	v_cmp_gt_i32_e64 s1, s10, v28
	s_waitcnt lgkmcnt(0)
	v_subrev_nc_u32_e32 v32, s9, v28
	v_ashrrev_i32_e32 v31, 31, v30
	v_cndmask_b32_e32 v20, v20, v37, vcc_lo
	s_and_b32 s0, s0, s1
	s_delay_alu instid0(SALU_CYCLE_1) | instskip(NEXT) | instid1(VALU_DEP_2)
	s_and_b32 s0, s19, s0
	v_lshlrev_b64 v[30:31], 2, v[30:31]
	v_cndmask_b32_e64 v36, 0x200, v32, s0
	s_delay_alu instid0(VALU_DEP_2) | instskip(NEXT) | instid1(VALU_DEP_1)
	v_add_co_u32 v32, s0, s16, v30
	v_add_co_ci_u32_e64 v33, s0, s17, v31, s0
	v_add_co_u32 v34, s0, s12, v30
	s_delay_alu instid0(VALU_DEP_1) | instskip(SKIP_1) | instid1(VALU_DEP_1)
	v_add_co_ci_u32_e64 v35, s0, s13, v31, s0
	v_add_co_u32 v30, s0, s14, v30
	v_add_co_ci_u32_e64 v31, s0, s15, v31, s0
	global_store_b32 v[32:33], v29, off
	global_store_b32 v[34:35], v36, off
	;; [unrolled: 1-line block ×3, first 2 shown]
	s_or_b32 exec_lo, exec_lo, s3
	s_add_i32 s6, s6, 1
	s_delay_alu instid0(SALU_CYCLE_1)
	s_cmp_ge_i32 s6, s8
	s_cbranch_scc1 .LBB206_9
.LBB206_37:                             ;   in Loop: Header=BB206_10 Depth=1
	v_ashrrev_i32_e32 v29, 31, v28
	s_mov_b32 s1, exec_lo
	s_delay_alu instid0(VALU_DEP_1) | instskip(NEXT) | instid1(VALU_DEP_1)
	v_lshrrev_b32_e32 v30, 30, v29
	v_add_nc_u32_e32 v30, v28, v30
	s_waitcnt lgkmcnt(1)
	s_delay_alu instid0(VALU_DEP_1) | instskip(SKIP_1) | instid1(VALU_DEP_2)
	v_ashrrev_i32_e32 v31, 31, v30
	v_ashrrev_i32_e32 v30, 2, v30
	v_lshrrev_b32_e32 v31, 26, v31
	s_delay_alu instid0(VALU_DEP_1) | instskip(NEXT) | instid1(VALU_DEP_1)
	v_add_nc_u32_e32 v31, v30, v31
	v_and_b32_e32 v31, 0xffffffc0, v31
	s_delay_alu instid0(VALU_DEP_1) | instskip(NEXT) | instid1(VALU_DEP_1)
	v_sub_nc_u32_e32 v31, v30, v31
	v_cmpx_eq_u32_e64 v17, v31
	s_cbranch_execz .LBB206_8
; %bb.38:                               ;   in Loop: Header=BB206_10 Depth=1
	v_lshrrev_b32_e32 v29, 24, v29
	v_lshlrev_b32_e32 v30, 2, v30
	s_delay_alu instid0(VALU_DEP_2) | instskip(NEXT) | instid1(VALU_DEP_2)
	v_add_nc_u32_e32 v29, v28, v29
	v_sub_nc_u32_e32 v28, v28, v30
	s_delay_alu instid0(VALU_DEP_2) | instskip(NEXT) | instid1(VALU_DEP_1)
	v_ashrrev_i32_e32 v29, 8, v29
	v_lshl_add_u32 v28, v29, 2, v28
	s_delay_alu instid0(VALU_DEP_1) | instskip(NEXT) | instid1(VALU_DEP_1)
	v_cmp_ne_u32_e64 s0, 7, v28
	v_cndmask_b32_e64 v15, 0xc61c4000, v15, s0
	v_cmp_ne_u32_e64 s0, 6, v28
	s_delay_alu instid0(VALU_DEP_1) | instskip(SKIP_1) | instid1(VALU_DEP_1)
	v_cndmask_b32_e64 v14, 0xc61c4000, v14, s0
	v_cmp_ne_u32_e64 s0, 5, v28
	v_cndmask_b32_e64 v13, 0xc61c4000, v13, s0
	v_cmp_ne_u32_e64 s0, 4, v28
	s_delay_alu instid0(VALU_DEP_1) | instskip(SKIP_1) | instid1(VALU_DEP_1)
	v_cndmask_b32_e64 v12, 0xc61c4000, v12, s0
	;; [unrolled: 5-line block ×3, first 2 shown]
	v_cmp_ne_u32_e64 s0, 1, v28
	v_cndmask_b32_e64 v9, 0xc61c4000, v9, s0
	v_cmp_ne_u32_e64 s0, 0, v28
	s_delay_alu instid0(VALU_DEP_1)
	v_cndmask_b32_e64 v8, 0xc61c4000, v8, s0
	s_branch .LBB206_8
.LBB206_39:
                                        ; implicit-def: $vgpr8_vgpr9_vgpr10_vgpr11_vgpr12_vgpr13_vgpr14_vgpr15
	s_and_not1_b32 vcc_lo, exec_lo, s9
	s_cbranch_vccz .LBB206_5
	s_branch .LBB206_6
.LBB206_40:
	v_mov_b32_e32 v20, 0
.LBB206_41:
	v_cmp_eq_u32_e64 s0, 0, v17
	s_delay_alu instid0(VALU_DEP_1) | instskip(NEXT) | instid1(SALU_CYCLE_1)
	s_and_b32 s0, s0, vcc_lo
	s_and_b32 exec_lo, exec_lo, s0
	s_cbranch_execz .LBB206_45
; %bb.42:
	s_and_not1_b32 vcc_lo, exec_lo, s5
	s_cbranch_vccnz .LBB206_45
; %bb.43:
	v_mul_lo_u32 v0, v16, s8
	v_cmp_lt_f32_e32 vcc_lo, 0, v20
	v_cndmask_b32_e32 v2, 1.0, v20, vcc_lo
	s_delay_alu instid0(VALU_DEP_3) | instskip(NEXT) | instid1(VALU_DEP_1)
	v_ashrrev_i32_e32 v1, 31, v0
	v_lshlrev_b64 v[0:1], 2, v[0:1]
	s_delay_alu instid0(VALU_DEP_1) | instskip(NEXT) | instid1(VALU_DEP_2)
	v_add_co_u32 v0, vcc_lo, s16, v0
	v_add_co_ci_u32_e32 v1, vcc_lo, s17, v1, vcc_lo
	.p2align	6
.LBB206_44:                             ; =>This Inner Loop Header: Depth=1
	global_load_b32 v3, v[0:1], off
	s_add_i32 s8, s8, -1
	s_delay_alu instid0(SALU_CYCLE_1) | instskip(SKIP_3) | instid1(VALU_DEP_2)
	s_cmp_lg_u32 s8, 0
	s_waitcnt vmcnt(0)
	v_div_scale_f32 v4, null, v2, v2, v3
	v_div_scale_f32 v7, vcc_lo, v3, v2, v3
	v_rcp_f32_e32 v5, v4
	s_waitcnt_depctr 0xfff
	v_fma_f32 v6, -v4, v5, 1.0
	s_delay_alu instid0(VALU_DEP_1) | instskip(NEXT) | instid1(VALU_DEP_1)
	v_fmac_f32_e32 v5, v6, v5
	v_mul_f32_e32 v6, v7, v5
	s_delay_alu instid0(VALU_DEP_1) | instskip(NEXT) | instid1(VALU_DEP_1)
	v_fma_f32 v8, -v4, v6, v7
	v_fmac_f32_e32 v6, v8, v5
	s_delay_alu instid0(VALU_DEP_1) | instskip(NEXT) | instid1(VALU_DEP_1)
	v_fma_f32 v4, -v4, v6, v7
	v_div_fmas_f32 v4, v4, v5, v6
	s_delay_alu instid0(VALU_DEP_1)
	v_div_fixup_f32 v3, v4, v2, v3
	global_store_b32 v[0:1], v3, off
	v_add_co_u32 v0, vcc_lo, v0, 4
	v_add_co_ci_u32_e32 v1, vcc_lo, 0, v1, vcc_lo
	s_cbranch_scc1 .LBB206_44
.LBB206_45:
	s_nop 0
	s_sendmsg sendmsg(MSG_DEALLOC_VGPRS)
	s_endpgm
	.section	.rodata,"a",@progbits
	.p2align	6, 0x0
	.amdhsa_kernel _ZN4vllm3moe10topkGatingILi8ELi512ELi4ELi16ELi64EifLNS0_11ScoringFuncE1EEEvPKT5_PKbPfiPT4_PiiiibPKf
		.amdhsa_group_segment_fixed_size 0
		.amdhsa_private_segment_fixed_size 0
		.amdhsa_kernarg_size 72
		.amdhsa_user_sgpr_count 15
		.amdhsa_user_sgpr_dispatch_ptr 0
		.amdhsa_user_sgpr_queue_ptr 0
		.amdhsa_user_sgpr_kernarg_segment_ptr 1
		.amdhsa_user_sgpr_dispatch_id 0
		.amdhsa_user_sgpr_private_segment_size 0
		.amdhsa_wavefront_size32 1
		.amdhsa_uses_dynamic_stack 0
		.amdhsa_enable_private_segment 0
		.amdhsa_system_sgpr_workgroup_id_x 1
		.amdhsa_system_sgpr_workgroup_id_y 0
		.amdhsa_system_sgpr_workgroup_id_z 0
		.amdhsa_system_sgpr_workgroup_info 0
		.amdhsa_system_vgpr_workitem_id 1
		.amdhsa_next_free_vgpr 51
		.amdhsa_next_free_sgpr 20
		.amdhsa_reserve_vcc 1
		.amdhsa_float_round_mode_32 0
		.amdhsa_float_round_mode_16_64 0
		.amdhsa_float_denorm_mode_32 3
		.amdhsa_float_denorm_mode_16_64 3
		.amdhsa_dx10_clamp 1
		.amdhsa_ieee_mode 1
		.amdhsa_fp16_overflow 0
		.amdhsa_workgroup_processor_mode 1
		.amdhsa_memory_ordered 1
		.amdhsa_forward_progress 0
		.amdhsa_shared_vgpr_count 0
		.amdhsa_exception_fp_ieee_invalid_op 0
		.amdhsa_exception_fp_denorm_src 0
		.amdhsa_exception_fp_ieee_div_zero 0
		.amdhsa_exception_fp_ieee_overflow 0
		.amdhsa_exception_fp_ieee_underflow 0
		.amdhsa_exception_fp_ieee_inexact 0
		.amdhsa_exception_int_div_zero 0
	.end_amdhsa_kernel
	.section	.text._ZN4vllm3moe10topkGatingILi8ELi512ELi4ELi16ELi64EifLNS0_11ScoringFuncE1EEEvPKT5_PKbPfiPT4_PiiiibPKf,"axG",@progbits,_ZN4vllm3moe10topkGatingILi8ELi512ELi4ELi16ELi64EifLNS0_11ScoringFuncE1EEEvPKT5_PKbPfiPT4_PiiiibPKf,comdat
.Lfunc_end206:
	.size	_ZN4vllm3moe10topkGatingILi8ELi512ELi4ELi16ELi64EifLNS0_11ScoringFuncE1EEEvPKT5_PKbPfiPT4_PiiiibPKf, .Lfunc_end206-_ZN4vllm3moe10topkGatingILi8ELi512ELi4ELi16ELi64EifLNS0_11ScoringFuncE1EEEvPKT5_PKbPfiPT4_PiiiibPKf
                                        ; -- End function
	.section	.AMDGPU.csdata,"",@progbits
; Kernel info:
; codeLenInByte = 3384
; NumSgprs: 22
; NumVgprs: 51
; ScratchSize: 0
; MemoryBound: 0
; FloatMode: 240
; IeeeMode: 1
; LDSByteSize: 0 bytes/workgroup (compile time only)
; SGPRBlocks: 2
; VGPRBlocks: 6
; NumSGPRsForWavesPerEU: 22
; NumVGPRsForWavesPerEU: 51
; Occupancy: 16
; WaveLimiterHint : 1
; COMPUTE_PGM_RSRC2:SCRATCH_EN: 0
; COMPUTE_PGM_RSRC2:USER_SGPR: 15
; COMPUTE_PGM_RSRC2:TRAP_HANDLER: 0
; COMPUTE_PGM_RSRC2:TGID_X_EN: 1
; COMPUTE_PGM_RSRC2:TGID_Y_EN: 0
; COMPUTE_PGM_RSRC2:TGID_Z_EN: 0
; COMPUTE_PGM_RSRC2:TIDIG_COMP_CNT: 1
	.section	.text._ZN4vllm3moe10topkGatingILi16ELi512ELi4ELi16ELi32EifLNS0_11ScoringFuncE1EEEvPKT5_PKbPfiPT4_PiiiibPKf,"axG",@progbits,_ZN4vllm3moe10topkGatingILi16ELi512ELi4ELi16ELi32EifLNS0_11ScoringFuncE1EEEvPKT5_PKbPfiPT4_PiiiibPKf,comdat
	.protected	_ZN4vllm3moe10topkGatingILi16ELi512ELi4ELi16ELi32EifLNS0_11ScoringFuncE1EEEvPKT5_PKbPfiPT4_PiiiibPKf ; -- Begin function _ZN4vllm3moe10topkGatingILi16ELi512ELi4ELi16ELi32EifLNS0_11ScoringFuncE1EEEvPKT5_PKbPfiPT4_PiiiibPKf
	.globl	_ZN4vllm3moe10topkGatingILi16ELi512ELi4ELi16ELi32EifLNS0_11ScoringFuncE1EEEvPKT5_PKbPfiPT4_PiiiibPKf
	.p2align	8
	.type	_ZN4vllm3moe10topkGatingILi16ELi512ELi4ELi16ELi32EifLNS0_11ScoringFuncE1EEEvPKT5_PKbPfiPT4_PiiiibPKf,@function
_ZN4vllm3moe10topkGatingILi16ELi512ELi4ELi16ELi32EifLNS0_11ScoringFuncE1EEEvPKT5_PKbPfiPT4_PiiiibPKf: ; @_ZN4vllm3moe10topkGatingILi16ELi512ELi4ELi16ELi32EifLNS0_11ScoringFuncE1EEEvPKT5_PKbPfiPT4_PiiiibPKf
; %bb.0:
	s_load_b32 s22, s[0:1], 0x18
	v_and_b32_e32 v1, 0x3ff, v0
	v_bfe_u32 v0, v0, 10, 10
	s_lshl_b32 s2, s15, 2
	s_delay_alu instid0(VALU_DEP_2) | instskip(NEXT) | instid1(VALU_DEP_1)
	v_lshrrev_b32_e32 v2, 5, v1
	v_add3_u32 v32, s2, v0, v2
	s_mov_b32 s2, exec_lo
	s_waitcnt lgkmcnt(0)
	s_delay_alu instid0(VALU_DEP_1)
	v_cmpx_gt_i32_e64 s22, v32
	s_cbranch_execz .LBB207_41
; %bb.1:
	s_clause 0x1
	s_load_b128 s[4:7], s[0:1], 0x0
	s_load_b64 s[20:21], s[0:1], 0x10
	s_mov_b32 s17, -1
	s_mov_b32 s23, -1
	s_waitcnt lgkmcnt(0)
	s_cmp_eq_u64 s[6:7], 0
	s_cbranch_scc1 .LBB207_3
; %bb.2:
	v_ashrrev_i32_e32 v0, 31, v32
	v_add_co_u32 v2, vcc_lo, s6, v32
	s_delay_alu instid0(VALU_DEP_2) | instskip(SKIP_3) | instid1(VALU_DEP_1)
	v_add_co_ci_u32_e32 v3, vcc_lo, s7, v0, vcc_lo
	global_load_u8 v0, v[2:3], off
	s_waitcnt vmcnt(0)
	v_and_b32_e32 v0, 1, v0
	v_cmp_eq_u32_e32 vcc_lo, 1, v0
	s_xor_b32 s2, vcc_lo, -1
	s_delay_alu instid0(SALU_CYCLE_1)
	s_or_not1_b32 s23, s2, exec_lo
.LBB207_3:
	v_lshlrev_b32_e32 v2, 9, v32
	v_and_b32_e32 v33, 31, v1
	s_load_b64 s[18:19], s[0:1], 0x40
	s_delay_alu instid0(VALU_DEP_2) | instskip(NEXT) | instid1(VALU_DEP_1)
	v_ashrrev_i32_e32 v3, 31, v2
	v_lshlrev_b64 v[0:1], 2, v[2:3]
	s_delay_alu instid0(VALU_DEP_3) | instskip(NEXT) | instid1(VALU_DEP_2)
	v_lshlrev_b32_e32 v2, 4, v33
	v_add_co_u32 v0, vcc_lo, s4, v0
	s_delay_alu instid0(VALU_DEP_3) | instskip(NEXT) | instid1(VALU_DEP_2)
	v_add_co_ci_u32_e32 v1, vcc_lo, s5, v1, vcc_lo
	v_add_co_u32 v12, vcc_lo, v0, v2
	s_delay_alu instid0(VALU_DEP_2)
	v_add_co_ci_u32_e32 v13, vcc_lo, 0, v1, vcc_lo
	s_waitcnt lgkmcnt(0)
	s_cmp_eq_u64 s[18:19], 0
	s_clause 0x3
	global_load_b128 v[0:3], v[12:13], off
	global_load_b128 v[4:7], v[12:13], off offset:512
	global_load_b128 v[8:11], v[12:13], off offset:1024
	;; [unrolled: 1-line block ×3, first 2 shown]
	s_waitcnt vmcnt(3)
	v_dual_mul_f32 v3, 0xbfb8aa3b, v3 :: v_dual_mul_f32 v0, 0xbfb8aa3b, v0
	v_dual_mul_f32 v1, 0xbfb8aa3b, v1 :: v_dual_mul_f32 v2, 0xbfb8aa3b, v2
	s_waitcnt vmcnt(1)
	v_dual_mul_f32 v5, 0xbfb8aa3b, v5 :: v_dual_mul_f32 v8, 0xbfb8aa3b, v8
	s_waitcnt vmcnt(0)
	v_mul_f32_e32 v13, 0xbfb8aa3b, v13
	v_exp_f32_e32 v0, v0
	v_dual_mul_f32 v4, 0xbfb8aa3b, v4 :: v_dual_mul_f32 v9, 0xbfb8aa3b, v9
	v_exp_f32_e32 v1, v1
	v_dual_mul_f32 v7, 0xbfb8aa3b, v7 :: v_dual_lshlrev_b32 v34, 2, v33
	v_dual_mul_f32 v10, 0xbfb8aa3b, v10 :: v_dual_mul_f32 v15, 0xbfb8aa3b, v15
	v_exp_f32_e32 v2, v2
	v_exp_f32_e32 v5, v5
	;; [unrolled: 1-line block ×4, first 2 shown]
	v_dual_mul_f32 v6, 0xbfb8aa3b, v6 :: v_dual_mul_f32 v11, 0xbfb8aa3b, v11
	v_exp_f32_e32 v3, v3
	v_exp_f32_e32 v4, v4
	;; [unrolled: 1-line block ×5, first 2 shown]
	v_dual_add_f32 v0, 1.0, v0 :: v_dual_add_f32 v5, 1.0, v5
	v_exp_f32_e32 v6, v6
	v_dual_mul_f32 v12, 0xbfb8aa3b, v12 :: v_dual_add_f32 v1, 1.0, v1
	v_exp_f32_e32 v9, v9
	v_dual_add_f32 v2, 1.0, v2 :: v_dual_add_f32 v7, 1.0, v7
	v_dual_add_f32 v8, 1.0, v8 :: v_dual_add_f32 v13, 1.0, v13
	v_div_scale_f32 v16, null, v0, v0, 1.0
	v_dual_mul_f32 v14, 0xbfb8aa3b, v14 :: v_dual_add_f32 v3, 1.0, v3
	v_exp_f32_e32 v11, v11
	s_waitcnt_depctr 0xfff
	v_dual_add_f32 v4, 1.0, v4 :: v_dual_add_f32 v9, 1.0, v9
	v_div_scale_f32 v18, null, v1, v1, 1.0
	v_dual_add_f32 v10, 1.0, v10 :: v_dual_add_f32 v15, 1.0, v15
	v_div_scale_f32 v20, null, v2, v2, 1.0
	v_div_scale_f32 v45, null, v13, v13, 1.0
	v_rcp_f32_e32 v51, v16
	v_dual_add_f32 v6, 1.0, v6 :: v_dual_add_f32 v11, 1.0, v11
	v_div_scale_f32 v22, null, v3, v3, 1.0
	v_div_scale_f32 v24, null, v4, v4, 1.0
	v_rcp_f32_e32 v52, v18
	v_div_scale_f32 v49, null, v15, v15, 1.0
	v_rcp_f32_e32 v53, v20
	v_exp_f32_e32 v12, v12
	v_div_scale_f32 v26, null, v5, v5, 1.0
	v_rcp_f32_e32 v64, v45
	v_div_scale_f32 v28, null, v6, v6, 1.0
	v_rcp_f32_e32 v54, v22
	v_rcp_f32_e32 v55, v24
	v_exp_f32_e32 v14, v14
	v_rcp_f32_e32 v66, v49
	v_div_scale_f32 v35, null, v8, v8, 1.0
	v_rcp_f32_e32 v56, v26
	v_fma_f32 v67, -v16, v51, 1.0
	v_rcp_f32_e32 v57, v28
	v_fma_f32 v68, -v18, v52, 1.0
	v_fma_f32 v69, -v20, v53, 1.0
	s_delay_alu instid0(VALU_DEP_3)
	v_dual_add_f32 v12, 1.0, v12 :: v_dual_fmac_f32 v51, v67, v51
	v_div_scale_f32 v17, vcc_lo, 1.0, v0, 1.0
	v_rcp_f32_e32 v59, v35
	v_fma_f32 v80, -v45, v64, 1.0
	v_fma_f32 v70, -v22, v54, 1.0
	v_div_scale_f32 v19, s2, 1.0, v1, 1.0
	v_fma_f32 v71, -v24, v55, 1.0
	v_fmac_f32_e32 v52, v68, v52
	v_dual_add_f32 v14, 1.0, v14 :: v_dual_fmac_f32 v53, v69, v53
	v_div_scale_f32 v21, s3, 1.0, v2, 1.0
	v_div_scale_f32 v30, null, v7, v7, 1.0
	v_fma_f32 v82, -v49, v66, 1.0
	v_fma_f32 v72, -v26, v56, 1.0
	v_dual_fmac_f32 v64, v80, v64 :: v_dual_mul_f32 v67, v17, v51
	v_div_scale_f32 v23, s4, 1.0, v3, 1.0
	v_fma_f32 v73, -v28, v57, 1.0
	v_fmac_f32_e32 v54, v70, v54
	v_div_scale_f32 v25, s5, 1.0, v4, 1.0
	v_fmac_f32_e32 v55, v71, v55
	s_delay_alu instid0(VALU_DEP_4) | instskip(SKIP_1) | instid1(VALU_DEP_3)
	v_dual_fmac_f32 v57, v73, v57 :: v_dual_mul_f32 v68, v19, v52
	v_div_scale_f32 v39, null, v10, v10, 1.0
	v_mul_f32_e32 v71, v25, v55
	v_rcp_f32_e32 v58, v30
	v_dual_fmac_f32 v66, v82, v66 :: v_dual_mul_f32 v69, v21, v53
	v_div_scale_f32 v27, s6, 1.0, v5, 1.0
	v_div_scale_f32 v46, s14, 1.0, v13, 1.0
	v_fma_f32 v75, -v35, v59, 1.0
	v_fmac_f32_e32 v56, v72, v56
	v_fma_f32 v83, -v16, v67, v17
	v_div_scale_f32 v29, s7, 1.0, v6, 1.0
	s_delay_alu instid0(VALU_DEP_4) | instskip(SKIP_2) | instid1(VALU_DEP_4)
	v_fmac_f32_e32 v59, v75, v59
	v_mul_f32_e32 v70, v23, v54
	v_fma_f32 v84, -v18, v68, v19
	v_mul_f32_e32 v73, v29, v57
	v_div_scale_f32 v50, s16, 1.0, v15, 1.0
	v_rcp_f32_e32 v61, v39
	v_fma_f32 v85, -v20, v69, v21
	v_div_scale_f32 v36, s9, 1.0, v8, 1.0
	v_mul_f32_e32 v72, v27, v56
	v_dual_mul_f32 v80, v46, v64 :: v_dual_fmac_f32 v67, v83, v51
	v_fma_f32 v86, -v22, v70, v23
	v_fma_f32 v87, -v24, v71, v25
	v_fmac_f32_e32 v68, v84, v52
	v_div_scale_f32 v37, null, v9, v9, 1.0
	v_fma_f32 v74, -v30, v58, 1.0
	s_delay_alu instid0(VALU_DEP_4)
	v_dual_fmac_f32 v71, v87, v55 :: v_dual_mul_f32 v82, v50, v66
	v_fmac_f32_e32 v69, v85, v53
	v_mul_f32_e32 v75, v36, v59
	v_fma_f32 v88, -v26, v72, v27
	v_fma_f32 v16, -v16, v67, v17
	;; [unrolled: 1-line block ×3, first 2 shown]
	v_fmac_f32_e32 v70, v86, v54
	v_fma_f32 v17, -v18, v68, v19
	v_div_scale_f32 v43, null, v12, v12, 1.0
	s_delay_alu instid0(VALU_DEP_4)
	v_fmac_f32_e32 v73, v89, v57
	v_rcp_f32_e32 v60, v37
	v_div_scale_f32 v31, s8, 1.0, v7, 1.0
	v_fma_f32 v77, -v39, v61, 1.0
	v_fmac_f32_e32 v58, v74, v58
	v_fma_f32 v18, -v20, v69, v21
	v_fma_f32 v91, -v35, v75, v36
	v_fmac_f32_e32 v72, v88, v56
	v_div_fmas_f32 v16, v16, v51, v67
	s_mov_b32 vcc_lo, s2
	v_fma_f32 v19, -v22, v70, v23
	v_fmac_f32_e32 v75, v91, v59
	v_div_fmas_f32 v17, v17, v52, v68
	s_mov_b32 vcc_lo, s3
	v_rcp_f32_e32 v63, v43
	v_fma_f32 v20, -v24, v71, v25
	v_div_scale_f32 v40, s11, 1.0, v10, 1.0
	v_dual_fmac_f32 v61, v77, v61 :: v_dual_mul_f32 v74, v31, v58
	v_div_fmas_f32 v18, v18, v53, v69
	s_mov_b32 vcc_lo, s4
	v_fma_f32 v21, -v26, v72, v27
	s_delay_alu instid0(VALU_DEP_3)
	v_mul_f32_e32 v77, v40, v61
	v_div_fixup_f32 v0, v16, v0, 1.0
	v_div_fmas_f32 v16, v19, v54, v70
	s_mov_b32 vcc_lo, s5
	v_div_scale_f32 v41, null, v11, v11, 1.0
	v_fma_f32 v76, -v37, v60, 1.0
	v_div_fixup_f32 v1, v17, v1, 1.0
	v_div_fmas_f32 v17, v20, v55, v71
	s_mov_b32 vcc_lo, s6
	v_fma_f32 v90, -v30, v74, v31
	v_div_fixup_f32 v2, v18, v2, 1.0
	v_div_fmas_f32 v18, v21, v56, v72
	v_cmp_class_f32_e64 vcc_lo, v0, 0x1f8
	v_div_scale_f32 v47, null, v14, v14, 1.0
	v_rcp_f32_e32 v62, v41
	v_fma_f32 v22, -v28, v73, v29
	v_div_scale_f32 v38, s10, 1.0, v9, 1.0
	v_fma_f32 v79, -v43, v63, 1.0
	v_fmac_f32_e32 v60, v76, v60
	v_fma_f32 v84, -v39, v77, v40
	v_fmac_f32_e32 v74, v90, v58
	v_div_fixup_f32 v5, v18, v5, 1.0
	v_cndmask_b32_e32 v0, 0, v0, vcc_lo
	s_mov_b32 vcc_lo, s7
	v_rcp_f32_e32 v65, v47
	v_fma_f32 v87, -v45, v80, v46
	v_div_fixup_f32 v3, v16, v3, 1.0
	v_div_fmas_f32 v16, v22, v57, v73
	v_cmp_class_f32_e64 vcc_lo, v1, 0x1f8
	v_div_scale_f32 v44, s13, 1.0, v12, 1.0
	v_dual_fmac_f32 v63, v79, v63 :: v_dual_mul_f32 v76, v38, v60
	v_fmac_f32_e32 v77, v84, v61
	v_fma_f32 v23, -v30, v74, v31
	v_fma_f32 v78, -v41, v62, 1.0
	s_delay_alu instid0(VALU_DEP_4)
	v_dual_mul_f32 v79, v44, v63 :: v_dual_fmac_f32 v80, v87, v64
	v_cndmask_b32_e32 v1, 0, v1, vcc_lo
	s_mov_b32 vcc_lo, s8
	v_fma_f32 v83, -v37, v76, v38
	v_div_fixup_f32 v4, v17, v4, 1.0
	v_div_fmas_f32 v17, v23, v58, v74
	v_cmp_class_f32_e64 vcc_lo, v2, 0x1f8
	v_fma_f32 v24, -v35, v75, v36
	v_div_scale_f32 v42, s12, 1.0, v11, 1.0
	v_fma_f32 v81, -v47, v65, 1.0
	v_fmac_f32_e32 v62, v78, v62
	v_fma_f32 v86, -v43, v79, v44
	v_fmac_f32_e32 v76, v83, v60
	v_div_fixup_f32 v7, v17, v7, 1.0
	v_cndmask_b32_e32 v2, 0, v2, vcc_lo
	s_mov_b32 vcc_lo, s9
	v_fma_f32 v89, -v49, v82, v50
	v_div_fmas_f32 v18, v24, v59, v75
	v_cmp_class_f32_e64 vcc_lo, v3, 0x1f8
	v_div_scale_f32 v48, s15, 1.0, v14, 1.0
	v_dual_fmac_f32 v65, v81, v65 :: v_dual_mul_f32 v78, v42, v62
	v_fmac_f32_e32 v79, v86, v63
	v_fma_f32 v25, -v37, v76, v38
	v_dual_fmac_f32 v82, v89, v66 :: v_dual_cndmask_b32 v3, 0, v3
	s_mov_b32 vcc_lo, s10
	v_mul_f32_e32 v81, v48, v65
	v_fma_f32 v85, -v41, v78, v42
	v_div_fixup_f32 v6, v16, v6, 1.0
	v_div_fmas_f32 v16, v25, v60, v76
	v_cmp_class_f32_e64 vcc_lo, v4, 0x1f8
	v_fma_f32 v26, -v39, v77, v40
	v_fma_f32 v88, -v47, v81, v48
	v_fmac_f32_e32 v78, v85, v62
	v_div_fixup_f32 v9, v16, v9, 1.0
	v_cndmask_b32_e32 v4, 0, v4, vcc_lo
	s_mov_b32 vcc_lo, s11
	v_fmac_f32_e32 v81, v88, v65
	v_div_fmas_f32 v17, v26, v61, v77
	v_cmp_class_f32_e64 vcc_lo, v5, 0x1f8
	v_fma_f32 v27, -v41, v78, v42
	v_div_fixup_f32 v8, v18, v8, 1.0
	v_fma_f32 v28, -v43, v79, v44
	v_fma_f32 v29, -v45, v80, v46
	v_cndmask_b32_e32 v5, 0, v5, vcc_lo
	s_mov_b32 vcc_lo, s12
	v_div_fixup_f32 v10, v17, v10, 1.0
	v_div_fmas_f32 v18, v27, v62, v78
	v_cmp_class_f32_e64 vcc_lo, v6, 0x1f8
	v_fma_f32 v30, -v47, v81, v48
	v_fma_f32 v31, -v49, v82, v50
	s_delay_alu instid0(VALU_DEP_4) | instskip(SKIP_4) | instid1(VALU_DEP_2)
	v_div_fixup_f32 v11, v18, v11, 1.0
	v_cndmask_b32_e32 v6, 0, v6, vcc_lo
	s_mov_b32 vcc_lo, s13
	v_div_fmas_f32 v16, v28, v63, v79
	v_cmp_class_f32_e64 vcc_lo, v7, 0x1f8
	v_div_fixup_f32 v12, v16, v12, 1.0
	v_cndmask_b32_e32 v7, 0, v7, vcc_lo
	s_mov_b32 vcc_lo, s14
	v_div_fmas_f32 v17, v29, v64, v80
	v_cmp_class_f32_e64 vcc_lo, v8, 0x1f8
	s_delay_alu instid0(VALU_DEP_2) | instskip(SKIP_4) | instid1(VALU_DEP_2)
	v_div_fixup_f32 v13, v17, v13, 1.0
	v_cndmask_b32_e32 v8, 0, v8, vcc_lo
	s_mov_b32 vcc_lo, s15
	v_div_fmas_f32 v18, v30, v65, v81
	v_cmp_class_f32_e64 vcc_lo, v9, 0x1f8
	v_div_fixup_f32 v14, v18, v14, 1.0
	v_cndmask_b32_e32 v9, 0, v9, vcc_lo
	s_mov_b32 vcc_lo, s16
	v_div_fmas_f32 v16, v31, v66, v82
	v_cmp_class_f32_e64 vcc_lo, v10, 0x1f8
	s_delay_alu instid0(VALU_DEP_2)
	v_div_fixup_f32 v15, v16, v15, 1.0
	v_cndmask_b32_e32 v10, 0, v10, vcc_lo
	v_cmp_class_f32_e64 vcc_lo, v11, 0x1f8
	v_cndmask_b32_e32 v11, 0, v11, vcc_lo
	v_cmp_class_f32_e64 vcc_lo, v12, 0x1f8
	;; [unrolled: 2-line block ×5, first 2 shown]
	v_cndmask_b32_e32 v15, 0, v15, vcc_lo
	s_cbranch_scc1 .LBB207_35
; %bb.4:
	v_lshlrev_b32_e32 v28, 2, v34
	s_clause 0x3
	global_load_b128 v[16:19], v28, s[18:19]
	global_load_b128 v[20:23], v28, s[18:19] offset:512
	global_load_b128 v[24:27], v28, s[18:19] offset:1024
	;; [unrolled: 1-line block ×3, first 2 shown]
	s_waitcnt vmcnt(3)
	v_dual_add_f32 v17, v17, v1 :: v_dual_add_f32 v16, v16, v0
	v_dual_add_f32 v19, v19, v3 :: v_dual_add_f32 v18, v18, v2
	s_waitcnt vmcnt(2)
	v_dual_add_f32 v21, v21, v5 :: v_dual_add_f32 v20, v20, v4
	v_dual_add_f32 v23, v23, v7 :: v_dual_add_f32 v22, v22, v6
	;; [unrolled: 3-line block ×4, first 2 shown]
	s_cbranch_execnz .LBB207_6
.LBB207_5:
	v_dual_mov_b32 v31, v15 :: v_dual_mov_b32 v30, v14
	v_dual_mov_b32 v29, v13 :: v_dual_mov_b32 v28, v12
	;; [unrolled: 1-line block ×8, first 2 shown]
.LBB207_6:
	s_load_b128 s[12:15], s[0:1], 0x30
	v_cmp_eq_u32_e64 s2, 0, v33
	s_mov_b32 s10, 0
	s_waitcnt lgkmcnt(0)
	s_bitcmp1_b32 s15, 0
	s_cselect_b32 vcc_lo, -1, 0
	s_cmp_gt_i32 s12, 0
	s_cselect_b32 s9, -1, 0
	s_cmp_lt_i32 s12, 1
	s_cbranch_scc1 .LBB207_36
; %bb.7:
	v_mbcnt_lo_u32_b32 v36, -1, 0
	s_load_b128 s[16:19], s[0:1], 0x20
	v_mul_lo_u32 v35, v32, s12
	v_mov_b32_e32 v42, v32
	s_delay_alu instid0(VALU_DEP_3)
	v_xor_b32_e32 v37, 16, v36
	v_xor_b32_e32 v38, 8, v36
	;; [unrolled: 1-line block ×5, first 2 shown]
	v_cmp_gt_i32_e64 s0, 32, v37
	s_delay_alu instid0(VALU_DEP_1) | instskip(SKIP_1) | instid1(VALU_DEP_2)
	v_cndmask_b32_e64 v37, v36, v37, s0
	v_cmp_gt_i32_e64 s0, 32, v38
	v_lshlrev_b32_e32 v37, 2, v37
	s_delay_alu instid0(VALU_DEP_2) | instskip(SKIP_1) | instid1(VALU_DEP_2)
	v_cndmask_b32_e64 v38, v36, v38, s0
	v_cmp_gt_i32_e64 s0, 32, v39
	v_lshlrev_b32_e32 v38, 2, v38
	s_delay_alu instid0(VALU_DEP_2) | instskip(SKIP_1) | instid1(VALU_DEP_2)
	v_cndmask_b32_e64 v39, v36, v39, s0
	v_cmp_gt_i32_e64 s0, 32, v40
	v_lshlrev_b32_e32 v39, 2, v39
	s_delay_alu instid0(VALU_DEP_2) | instskip(SKIP_1) | instid1(VALU_DEP_2)
	v_cndmask_b32_e64 v40, v36, v40, s0
	v_cmp_gt_i32_e64 s0, 32, v41
	v_lshlrev_b32_e32 v40, 2, v40
	s_delay_alu instid0(VALU_DEP_2) | instskip(NEXT) | instid1(VALU_DEP_1)
	v_cndmask_b32_e64 v36, v36, v41, s0
	v_dual_mov_b32 v36, 0 :: v_dual_lshlrev_b32 v41, 2, v36
	s_branch .LBB207_10
.LBB207_8:                              ;   in Loop: Header=BB207_10 Depth=1
	s_or_b32 exec_lo, exec_lo, s1
.LBB207_9:                              ;   in Loop: Header=BB207_10 Depth=1
	v_add_nc_u32_e32 v42, s22, v42
	s_cmp_eq_u32 s12, s10
	s_cbranch_scc1 .LBB207_37
.LBB207_10:                             ; =>This Inner Loop Header: Depth=1
	v_cmp_gt_f32_e64 s0, v17, v16
	s_delay_alu instid0(VALU_DEP_1) | instskip(SKIP_2) | instid1(VALU_DEP_3)
	v_cndmask_b32_e64 v44, v16, v17, s0
	v_cndmask_b32_e64 v43, 0, 1, s0
	v_cndmask_b32_e64 v45, v0, v1, s0
	v_cmp_gt_f32_e64 s1, v18, v44
	s_delay_alu instid0(VALU_DEP_1) | instskip(NEXT) | instid1(VALU_DEP_4)
	v_cndmask_b32_e64 v44, v44, v18, s1
	v_cndmask_b32_e64 v43, v43, 2, s1
	s_delay_alu instid0(VALU_DEP_4) | instskip(NEXT) | instid1(VALU_DEP_3)
	v_cndmask_b32_e64 v45, v45, v2, s1
	v_cmp_gt_f32_e64 s3, v19, v44
	s_delay_alu instid0(VALU_DEP_1) | instskip(NEXT) | instid1(VALU_DEP_4)
	v_cndmask_b32_e64 v44, v44, v19, s3
	v_cndmask_b32_e64 v43, v43, 3, s3
	s_delay_alu instid0(VALU_DEP_4) | instskip(NEXT) | instid1(VALU_DEP_3)
	v_cndmask_b32_e64 v45, v45, v3, s3
	;; [unrolled: 6-line block ×10, first 2 shown]
	v_cmp_gt_f32_e64 s4, v28, v44
	s_delay_alu instid0(VALU_DEP_1) | instskip(NEXT) | instid1(VALU_DEP_4)
	v_cndmask_b32_e64 v44, v44, v28, s4
	v_cndmask_b32_e64 v43, v43, 0x180, s4
	s_delay_alu instid0(VALU_DEP_4) | instskip(SKIP_1) | instid1(VALU_DEP_3)
	v_cndmask_b32_e64 v45, v45, v12, s4
	s_mov_b32 s4, exec_lo
	v_cmp_gt_f32_e64 s0, v29, v44
	s_delay_alu instid0(VALU_DEP_1) | instskip(SKIP_2) | instid1(VALU_DEP_3)
	v_cndmask_b32_e64 v44, v44, v29, s0
	v_cndmask_b32_e64 v43, v43, 0x181, s0
	;; [unrolled: 1-line block ×3, first 2 shown]
	v_cmp_gt_f32_e64 s1, v30, v44
	s_delay_alu instid0(VALU_DEP_1) | instskip(NEXT) | instid1(VALU_DEP_4)
	v_cndmask_b32_e64 v44, v44, v30, s1
	v_cndmask_b32_e64 v43, v43, 0x182, s1
	s_waitcnt lgkmcnt(0)
	v_cndmask_b32_e64 v46, v45, v14, s1
	s_delay_alu instid0(VALU_DEP_3) | instskip(NEXT) | instid1(VALU_DEP_1)
	v_cmp_gt_f32_e64 s0, v31, v44
	v_cndmask_b32_e64 v43, v43, 0x183, s0
	v_cndmask_b32_e64 v45, v44, v31, s0
	s_delay_alu instid0(VALU_DEP_4) | instskip(NEXT) | instid1(VALU_DEP_3)
	v_cndmask_b32_e64 v44, v46, v15, s0
	v_or_b32_e32 v43, v34, v43
	ds_bpermute_b32 v46, v37, v45
	ds_bpermute_b32 v48, v37, v44
	ds_bpermute_b32 v47, v37, v43
	s_waitcnt lgkmcnt(0)
	v_cmp_lt_f32_e64 s3, v45, v46
	v_cmpx_nlt_f32_e32 v45, v46
; %bb.11:                               ;   in Loop: Header=BB207_10 Depth=1
	v_cmp_eq_f32_e64 s0, v45, v46
	v_cmp_lt_i32_e64 s1, v47, v43
	s_delay_alu instid0(VALU_DEP_1) | instskip(SKIP_2) | instid1(SALU_CYCLE_1)
	s_and_b32 s0, s0, s1
	s_and_not1_b32 s1, s3, exec_lo
	s_and_b32 s0, s0, exec_lo
	s_or_b32 s3, s1, s0
; %bb.12:                               ;   in Loop: Header=BB207_10 Depth=1
	s_or_b32 exec_lo, exec_lo, s4
	s_and_saveexec_b32 s0, s3
; %bb.13:                               ;   in Loop: Header=BB207_10 Depth=1
	v_dual_mov_b32 v44, v48 :: v_dual_mov_b32 v45, v46
	v_mov_b32_e32 v43, v47
; %bb.14:                               ;   in Loop: Header=BB207_10 Depth=1
	s_or_b32 exec_lo, exec_lo, s0
	ds_bpermute_b32 v46, v38, v45
	ds_bpermute_b32 v48, v38, v44
	;; [unrolled: 1-line block ×3, first 2 shown]
	s_mov_b32 s4, exec_lo
	s_waitcnt lgkmcnt(2)
	v_cmp_lt_f32_e64 s3, v45, v46
	v_cmpx_nlt_f32_e32 v45, v46
	s_cbranch_execz .LBB207_16
; %bb.15:                               ;   in Loop: Header=BB207_10 Depth=1
	v_cmp_eq_f32_e64 s0, v45, v46
	s_waitcnt lgkmcnt(0)
	v_cmp_lt_i32_e64 s1, v47, v43
	s_delay_alu instid0(VALU_DEP_1) | instskip(SKIP_2) | instid1(SALU_CYCLE_1)
	s_and_b32 s0, s0, s1
	s_and_not1_b32 s1, s3, exec_lo
	s_and_b32 s0, s0, exec_lo
	s_or_b32 s3, s1, s0
.LBB207_16:                             ;   in Loop: Header=BB207_10 Depth=1
	s_or_b32 exec_lo, exec_lo, s4
	s_delay_alu instid0(VALU_DEP_2)
	s_and_saveexec_b32 s0, s3
	s_cbranch_execz .LBB207_18
; %bb.17:                               ;   in Loop: Header=BB207_10 Depth=1
	s_waitcnt lgkmcnt(1)
	v_dual_mov_b32 v44, v48 :: v_dual_mov_b32 v45, v46
	s_waitcnt lgkmcnt(0)
	v_mov_b32_e32 v43, v47
.LBB207_18:                             ;   in Loop: Header=BB207_10 Depth=1
	s_or_b32 exec_lo, exec_lo, s0
	ds_bpermute_b32 v46, v39, v45
	s_waitcnt lgkmcnt(2)
	ds_bpermute_b32 v48, v39, v44
	s_waitcnt lgkmcnt(2)
	ds_bpermute_b32 v47, v39, v43
	s_mov_b32 s4, exec_lo
	s_waitcnt lgkmcnt(2)
	v_cmp_lt_f32_e64 s3, v45, v46
	v_cmpx_nlt_f32_e32 v45, v46
	s_cbranch_execz .LBB207_20
; %bb.19:                               ;   in Loop: Header=BB207_10 Depth=1
	v_cmp_eq_f32_e64 s0, v45, v46
	s_waitcnt lgkmcnt(0)
	v_cmp_lt_i32_e64 s1, v47, v43
	s_delay_alu instid0(VALU_DEP_1) | instskip(SKIP_2) | instid1(SALU_CYCLE_1)
	s_and_b32 s0, s0, s1
	s_and_not1_b32 s1, s3, exec_lo
	s_and_b32 s0, s0, exec_lo
	s_or_b32 s3, s1, s0
.LBB207_20:                             ;   in Loop: Header=BB207_10 Depth=1
	s_or_b32 exec_lo, exec_lo, s4
	s_delay_alu instid0(VALU_DEP_2)
	s_and_saveexec_b32 s0, s3
	s_cbranch_execz .LBB207_22
; %bb.21:                               ;   in Loop: Header=BB207_10 Depth=1
	s_waitcnt lgkmcnt(1)
	v_dual_mov_b32 v44, v48 :: v_dual_mov_b32 v45, v46
	s_waitcnt lgkmcnt(0)
	v_mov_b32_e32 v43, v47
.LBB207_22:                             ;   in Loop: Header=BB207_10 Depth=1
	s_or_b32 exec_lo, exec_lo, s0
	ds_bpermute_b32 v46, v40, v45
	s_waitcnt lgkmcnt(2)
	ds_bpermute_b32 v48, v40, v44
	s_waitcnt lgkmcnt(2)
	ds_bpermute_b32 v47, v40, v43
	s_mov_b32 s4, exec_lo
	s_waitcnt lgkmcnt(2)
	v_cmp_lt_f32_e64 s3, v45, v46
	v_cmpx_nlt_f32_e32 v45, v46
	s_cbranch_execz .LBB207_24
; %bb.23:                               ;   in Loop: Header=BB207_10 Depth=1
	v_cmp_eq_f32_e64 s0, v45, v46
	s_waitcnt lgkmcnt(0)
	v_cmp_lt_i32_e64 s1, v47, v43
	s_delay_alu instid0(VALU_DEP_1) | instskip(SKIP_2) | instid1(SALU_CYCLE_1)
	s_and_b32 s0, s0, s1
	s_and_not1_b32 s1, s3, exec_lo
	s_and_b32 s0, s0, exec_lo
	s_or_b32 s3, s1, s0
.LBB207_24:                             ;   in Loop: Header=BB207_10 Depth=1
	s_or_b32 exec_lo, exec_lo, s4
	s_delay_alu instid0(VALU_DEP_2)
	s_and_saveexec_b32 s0, s3
	s_cbranch_execz .LBB207_26
; %bb.25:                               ;   in Loop: Header=BB207_10 Depth=1
	s_waitcnt lgkmcnt(1)
	v_dual_mov_b32 v44, v48 :: v_dual_mov_b32 v45, v46
	s_waitcnt lgkmcnt(0)
	v_mov_b32_e32 v43, v47
.LBB207_26:                             ;   in Loop: Header=BB207_10 Depth=1
	s_or_b32 exec_lo, exec_lo, s0
	s_waitcnt lgkmcnt(1)
	ds_bpermute_b32 v48, v41, v45
	ds_bpermute_b32 v46, v41, v44
	s_waitcnt lgkmcnt(2)
	ds_bpermute_b32 v47, v41, v43
	s_mov_b32 s4, exec_lo
	s_waitcnt lgkmcnt(2)
	v_cmp_lt_f32_e64 s3, v45, v48
	v_cmpx_nlt_f32_e32 v45, v48
	s_cbranch_execnz .LBB207_30
; %bb.27:                               ;   in Loop: Header=BB207_10 Depth=1
	s_or_b32 exec_lo, exec_lo, s4
	s_delay_alu instid0(VALU_DEP_2)
	s_and_saveexec_b32 s0, s3
	s_cbranch_execnz .LBB207_31
.LBB207_28:                             ;   in Loop: Header=BB207_10 Depth=1
	s_or_b32 exec_lo, exec_lo, s0
	s_and_saveexec_b32 s3, s2
	s_cbranch_execnz .LBB207_32
.LBB207_29:                             ;   in Loop: Header=BB207_10 Depth=1
	s_or_b32 exec_lo, exec_lo, s3
	s_add_i32 s10, s10, 1
	s_delay_alu instid0(SALU_CYCLE_1)
	s_cmp_ge_i32 s10, s12
	s_cbranch_scc1 .LBB207_9
	s_branch .LBB207_33
.LBB207_30:                             ;   in Loop: Header=BB207_10 Depth=1
	v_cmp_eq_f32_e64 s0, v45, v48
	s_waitcnt lgkmcnt(0)
	v_cmp_lt_i32_e64 s1, v47, v43
	s_delay_alu instid0(VALU_DEP_1) | instskip(SKIP_2) | instid1(SALU_CYCLE_1)
	s_and_b32 s0, s0, s1
	s_and_not1_b32 s1, s3, exec_lo
	s_and_b32 s0, s0, exec_lo
	s_or_b32 s3, s1, s0
	s_or_b32 exec_lo, exec_lo, s4
	s_and_saveexec_b32 s0, s3
	s_cbranch_execz .LBB207_28
.LBB207_31:                             ;   in Loop: Header=BB207_10 Depth=1
	s_waitcnt lgkmcnt(0)
	v_dual_mov_b32 v43, v47 :: v_dual_mov_b32 v44, v46
	s_or_b32 exec_lo, exec_lo, s0
	s_and_saveexec_b32 s3, s2
	s_cbranch_execz .LBB207_29
.LBB207_32:                             ;   in Loop: Header=BB207_10 Depth=1
	s_delay_alu instid0(VALU_DEP_1)
	v_dual_add_f32 v52, v36, v44 :: v_dual_add_nc_u32 v45, s10, v35
	v_cmp_le_i32_e64 s0, s13, v43
	v_cmp_gt_i32_e64 s1, s14, v43
	s_waitcnt lgkmcnt(0)
	v_subrev_nc_u32_e32 v47, s13, v43
	v_ashrrev_i32_e32 v46, 31, v45
	v_cndmask_b32_e32 v36, v36, v52, vcc_lo
	s_and_b32 s0, s0, s1
	s_delay_alu instid0(SALU_CYCLE_1) | instskip(NEXT) | instid1(VALU_DEP_2)
	s_and_b32 s0, s23, s0
	v_lshlrev_b64 v[45:46], 2, v[45:46]
	v_cndmask_b32_e64 v51, 0x200, v47, s0
	s_delay_alu instid0(VALU_DEP_2) | instskip(NEXT) | instid1(VALU_DEP_1)
	v_add_co_u32 v47, s0, s20, v45
	v_add_co_ci_u32_e64 v48, s0, s21, v46, s0
	v_add_co_u32 v49, s0, s16, v45
	s_delay_alu instid0(VALU_DEP_1) | instskip(SKIP_1) | instid1(VALU_DEP_1)
	v_add_co_ci_u32_e64 v50, s0, s17, v46, s0
	v_add_co_u32 v45, s0, s18, v45
	v_add_co_ci_u32_e64 v46, s0, s19, v46, s0
	global_store_b32 v[47:48], v44, off
	global_store_b32 v[49:50], v51, off
	global_store_b32 v[45:46], v42, off
	s_or_b32 exec_lo, exec_lo, s3
	s_add_i32 s10, s10, 1
	s_delay_alu instid0(SALU_CYCLE_1)
	s_cmp_ge_i32 s10, s12
	s_cbranch_scc1 .LBB207_9
.LBB207_33:                             ;   in Loop: Header=BB207_10 Depth=1
	v_ashrrev_i32_e32 v44, 31, v43
	s_mov_b32 s1, exec_lo
	s_delay_alu instid0(VALU_DEP_1) | instskip(NEXT) | instid1(VALU_DEP_1)
	v_lshrrev_b32_e32 v45, 30, v44
	v_add_nc_u32_e32 v45, v43, v45
	s_waitcnt lgkmcnt(1)
	s_delay_alu instid0(VALU_DEP_1) | instskip(SKIP_1) | instid1(VALU_DEP_2)
	v_ashrrev_i32_e32 v46, 31, v45
	v_ashrrev_i32_e32 v45, 2, v45
	v_lshrrev_b32_e32 v46, 27, v46
	s_delay_alu instid0(VALU_DEP_1) | instskip(NEXT) | instid1(VALU_DEP_1)
	v_add_nc_u32_e32 v46, v45, v46
	v_and_b32_e32 v46, 0xffffffe0, v46
	s_delay_alu instid0(VALU_DEP_1) | instskip(NEXT) | instid1(VALU_DEP_1)
	v_sub_nc_u32_e32 v46, v45, v46
	v_cmpx_eq_u32_e64 v33, v46
	s_cbranch_execz .LBB207_8
; %bb.34:                               ;   in Loop: Header=BB207_10 Depth=1
	v_lshrrev_b32_e32 v44, 25, v44
	v_lshlrev_b32_e32 v45, 2, v45
	s_delay_alu instid0(VALU_DEP_2) | instskip(NEXT) | instid1(VALU_DEP_2)
	v_add_nc_u32_e32 v44, v43, v44
	v_sub_nc_u32_e32 v43, v43, v45
	s_delay_alu instid0(VALU_DEP_2) | instskip(NEXT) | instid1(VALU_DEP_1)
	v_ashrrev_i32_e32 v44, 7, v44
	v_lshl_add_u32 v43, v44, 2, v43
	s_delay_alu instid0(VALU_DEP_1) | instskip(NEXT) | instid1(VALU_DEP_1)
	v_cmp_ne_u32_e64 s0, 15, v43
	v_cndmask_b32_e64 v31, 0xc61c4000, v31, s0
	v_cmp_ne_u32_e64 s0, 14, v43
	s_delay_alu instid0(VALU_DEP_1) | instskip(SKIP_1) | instid1(VALU_DEP_1)
	v_cndmask_b32_e64 v30, 0xc61c4000, v30, s0
	v_cmp_ne_u32_e64 s0, 13, v43
	v_cndmask_b32_e64 v29, 0xc61c4000, v29, s0
	v_cmp_ne_u32_e64 s0, 12, v43
	s_delay_alu instid0(VALU_DEP_1) | instskip(SKIP_1) | instid1(VALU_DEP_1)
	v_cndmask_b32_e64 v28, 0xc61c4000, v28, s0
	;; [unrolled: 5-line block ×7, first 2 shown]
	v_cmp_ne_u32_e64 s0, 1, v43
	v_cndmask_b32_e64 v17, 0xc61c4000, v17, s0
	v_cmp_ne_u32_e64 s0, 0, v43
	s_delay_alu instid0(VALU_DEP_1)
	v_cndmask_b32_e64 v16, 0xc61c4000, v16, s0
	s_branch .LBB207_8
.LBB207_35:
                                        ; implicit-def: $vgpr16_vgpr17_vgpr18_vgpr19_vgpr20_vgpr21_vgpr22_vgpr23_vgpr24_vgpr25_vgpr26_vgpr27_vgpr28_vgpr29_vgpr30_vgpr31
	s_and_not1_b32 vcc_lo, exec_lo, s17
	s_cbranch_vccz .LBB207_5
	s_branch .LBB207_6
.LBB207_36:
	v_mov_b32_e32 v36, 0
.LBB207_37:
	v_cmp_eq_u32_e64 s0, 0, v33
	s_delay_alu instid0(VALU_DEP_1) | instskip(NEXT) | instid1(SALU_CYCLE_1)
	s_and_b32 s0, s0, vcc_lo
	s_and_b32 exec_lo, exec_lo, s0
	s_cbranch_execz .LBB207_41
; %bb.38:
	s_and_not1_b32 vcc_lo, exec_lo, s9
	s_cbranch_vccnz .LBB207_41
; %bb.39:
	v_mul_lo_u32 v0, v32, s12
	v_cmp_lt_f32_e32 vcc_lo, 0, v36
	v_cndmask_b32_e32 v2, 1.0, v36, vcc_lo
	s_delay_alu instid0(VALU_DEP_3) | instskip(NEXT) | instid1(VALU_DEP_1)
	v_ashrrev_i32_e32 v1, 31, v0
	v_lshlrev_b64 v[0:1], 2, v[0:1]
	s_delay_alu instid0(VALU_DEP_1) | instskip(NEXT) | instid1(VALU_DEP_2)
	v_add_co_u32 v0, vcc_lo, s20, v0
	v_add_co_ci_u32_e32 v1, vcc_lo, s21, v1, vcc_lo
	.p2align	6
.LBB207_40:                             ; =>This Inner Loop Header: Depth=1
	global_load_b32 v3, v[0:1], off
	s_add_i32 s12, s12, -1
	s_delay_alu instid0(SALU_CYCLE_1) | instskip(SKIP_3) | instid1(VALU_DEP_2)
	s_cmp_lg_u32 s12, 0
	s_waitcnt vmcnt(0)
	v_div_scale_f32 v4, null, v2, v2, v3
	v_div_scale_f32 v7, vcc_lo, v3, v2, v3
	v_rcp_f32_e32 v5, v4
	s_waitcnt_depctr 0xfff
	v_fma_f32 v6, -v4, v5, 1.0
	s_delay_alu instid0(VALU_DEP_1) | instskip(NEXT) | instid1(VALU_DEP_1)
	v_fmac_f32_e32 v5, v6, v5
	v_mul_f32_e32 v6, v7, v5
	s_delay_alu instid0(VALU_DEP_1) | instskip(NEXT) | instid1(VALU_DEP_1)
	v_fma_f32 v8, -v4, v6, v7
	v_fmac_f32_e32 v6, v8, v5
	s_delay_alu instid0(VALU_DEP_1) | instskip(NEXT) | instid1(VALU_DEP_1)
	v_fma_f32 v4, -v4, v6, v7
	v_div_fmas_f32 v4, v4, v5, v6
	s_delay_alu instid0(VALU_DEP_1)
	v_div_fixup_f32 v3, v4, v2, v3
	global_store_b32 v[0:1], v3, off
	v_add_co_u32 v0, vcc_lo, v0, 4
	v_add_co_ci_u32_e32 v1, vcc_lo, 0, v1, vcc_lo
	s_cbranch_scc1 .LBB207_40
.LBB207_41:
	s_nop 0
	s_sendmsg sendmsg(MSG_DEALLOC_VGPRS)
	s_endpgm
	.section	.rodata,"a",@progbits
	.p2align	6, 0x0
	.amdhsa_kernel _ZN4vllm3moe10topkGatingILi16ELi512ELi4ELi16ELi32EifLNS0_11ScoringFuncE1EEEvPKT5_PKbPfiPT4_PiiiibPKf
		.amdhsa_group_segment_fixed_size 0
		.amdhsa_private_segment_fixed_size 0
		.amdhsa_kernarg_size 72
		.amdhsa_user_sgpr_count 15
		.amdhsa_user_sgpr_dispatch_ptr 0
		.amdhsa_user_sgpr_queue_ptr 0
		.amdhsa_user_sgpr_kernarg_segment_ptr 1
		.amdhsa_user_sgpr_dispatch_id 0
		.amdhsa_user_sgpr_private_segment_size 0
		.amdhsa_wavefront_size32 1
		.amdhsa_uses_dynamic_stack 0
		.amdhsa_enable_private_segment 0
		.amdhsa_system_sgpr_workgroup_id_x 1
		.amdhsa_system_sgpr_workgroup_id_y 0
		.amdhsa_system_sgpr_workgroup_id_z 0
		.amdhsa_system_sgpr_workgroup_info 0
		.amdhsa_system_vgpr_workitem_id 1
		.amdhsa_next_free_vgpr 92
		.amdhsa_next_free_sgpr 24
		.amdhsa_reserve_vcc 1
		.amdhsa_float_round_mode_32 0
		.amdhsa_float_round_mode_16_64 0
		.amdhsa_float_denorm_mode_32 3
		.amdhsa_float_denorm_mode_16_64 3
		.amdhsa_dx10_clamp 1
		.amdhsa_ieee_mode 1
		.amdhsa_fp16_overflow 0
		.amdhsa_workgroup_processor_mode 1
		.amdhsa_memory_ordered 1
		.amdhsa_forward_progress 0
		.amdhsa_shared_vgpr_count 0
		.amdhsa_exception_fp_ieee_invalid_op 0
		.amdhsa_exception_fp_denorm_src 0
		.amdhsa_exception_fp_ieee_div_zero 0
		.amdhsa_exception_fp_ieee_overflow 0
		.amdhsa_exception_fp_ieee_underflow 0
		.amdhsa_exception_fp_ieee_inexact 0
		.amdhsa_exception_int_div_zero 0
	.end_amdhsa_kernel
	.section	.text._ZN4vllm3moe10topkGatingILi16ELi512ELi4ELi16ELi32EifLNS0_11ScoringFuncE1EEEvPKT5_PKbPfiPT4_PiiiibPKf,"axG",@progbits,_ZN4vllm3moe10topkGatingILi16ELi512ELi4ELi16ELi32EifLNS0_11ScoringFuncE1EEEvPKT5_PKbPfiPT4_PiiiibPKf,comdat
.Lfunc_end207:
	.size	_ZN4vllm3moe10topkGatingILi16ELi512ELi4ELi16ELi32EifLNS0_11ScoringFuncE1EEEvPKT5_PKbPfiPT4_PiiiibPKf, .Lfunc_end207-_ZN4vllm3moe10topkGatingILi16ELi512ELi4ELi16ELi32EifLNS0_11ScoringFuncE1EEEvPKT5_PKbPfiPT4_PiiiibPKf
                                        ; -- End function
	.section	.AMDGPU.csdata,"",@progbits
; Kernel info:
; codeLenInByte = 4700
; NumSgprs: 26
; NumVgprs: 92
; ScratchSize: 0
; MemoryBound: 0
; FloatMode: 240
; IeeeMode: 1
; LDSByteSize: 0 bytes/workgroup (compile time only)
; SGPRBlocks: 3
; VGPRBlocks: 11
; NumSGPRsForWavesPerEU: 26
; NumVGPRsForWavesPerEU: 92
; Occupancy: 16
; WaveLimiterHint : 1
; COMPUTE_PGM_RSRC2:SCRATCH_EN: 0
; COMPUTE_PGM_RSRC2:USER_SGPR: 15
; COMPUTE_PGM_RSRC2:TRAP_HANDLER: 0
; COMPUTE_PGM_RSRC2:TGID_X_EN: 1
; COMPUTE_PGM_RSRC2:TGID_Y_EN: 0
; COMPUTE_PGM_RSRC2:TGID_Z_EN: 0
; COMPUTE_PGM_RSRC2:TIDIG_COMP_CNT: 1
	.section	.text._ZN4vllm3moe10moeSigmoidILi256EfEEvPKT0_PKbPfi,"axG",@progbits,_ZN4vllm3moe10moeSigmoidILi256EfEEvPKT0_PKbPfi,comdat
	.protected	_ZN4vllm3moe10moeSigmoidILi256EfEEvPKT0_PKbPfi ; -- Begin function _ZN4vllm3moe10moeSigmoidILi256EfEEvPKT0_PKbPfi
	.globl	_ZN4vllm3moe10moeSigmoidILi256EfEEvPKT0_PKbPfi
	.p2align	8
	.type	_ZN4vllm3moe10moeSigmoidILi256EfEEvPKT0_PKbPfi,@function
_ZN4vllm3moe10moeSigmoidILi256EfEEvPKT0_PKbPfi: ; @_ZN4vllm3moe10moeSigmoidILi256EfEEvPKT0_PKbPfi
; %bb.0:
	s_clause 0x1
	s_load_b32 s3, s[0:1], 0x18
	s_load_b128 s[4:7], s[0:1], 0x0
	s_waitcnt lgkmcnt(0)
	v_cmp_gt_i32_e32 vcc_lo, s3, v0
	s_cmp_eq_u64 s[6:7], 0
	s_cbranch_scc1 .LBB208_7
; %bb.1:
	v_mov_b32_e32 v1, s15
	global_load_u8 v1, v1, s[6:7]
	s_waitcnt vmcnt(0)
	v_and_b32_e32 v1, 1, v1
	s_delay_alu instid0(VALU_DEP_1) | instskip(NEXT) | instid1(VALU_DEP_1)
	v_cmp_eq_u32_e64 s2, 1, v1
	s_xor_b32 s2, s2, -1
	s_delay_alu instid0(SALU_CYCLE_1) | instskip(NEXT) | instid1(SALU_CYCLE_1)
	s_and_b32 s2, vcc_lo, s2
	s_and_b32 s2, s2, exec_lo
	s_cbranch_execnz .LBB208_3
.LBB208_2:
	v_cmp_gt_i32_e32 vcc_lo, s3, v0
	s_and_not1_b32 s2, s2, exec_lo
	s_and_b32 s6, vcc_lo, exec_lo
	s_delay_alu instid0(SALU_CYCLE_1)
	s_or_b32 s2, s2, s6
.LBB208_3:
	s_delay_alu instid0(SALU_CYCLE_1)
	s_and_saveexec_b32 s6, s2
	s_cbranch_execz .LBB208_6
; %bb.4:
	s_load_b64 s[0:1], s[0:1], 0x10
	s_mul_i32 s15, s15, s3
	s_delay_alu instid0(SALU_CYCLE_1) | instskip(SKIP_1) | instid1(VALU_DEP_1)
	s_ashr_i32 s2, s15, 31
	v_add_co_u32 v1, s6, s15, v0
	v_add_co_ci_u32_e64 v2, null, s2, 0, s6
	s_delay_alu instid0(VALU_DEP_1) | instskip(NEXT) | instid1(VALU_DEP_1)
	v_lshlrev_b64 v[3:4], 2, v[1:2]
	v_add_co_u32 v1, vcc_lo, s4, v3
	s_delay_alu instid0(VALU_DEP_2)
	v_add_co_ci_u32_e32 v2, vcc_lo, s5, v4, vcc_lo
	s_waitcnt lgkmcnt(0)
	v_add_co_u32 v3, vcc_lo, s0, v3
	v_add_co_ci_u32_e32 v4, vcc_lo, s1, v4, vcc_lo
	s_mov_b32 s1, 0
	s_set_inst_prefetch_distance 0x1
	.p2align	6
.LBB208_5:                              ; =>This Inner Loop Header: Depth=1
	global_load_b32 v5, v[1:2], off
	v_add_co_u32 v1, vcc_lo, 0x400, v1
	v_add_co_ci_u32_e32 v2, vcc_lo, 0, v2, vcc_lo
	s_waitcnt vmcnt(0)
	v_mul_f32_e32 v5, 0xbfb8aa3b, v5
	s_delay_alu instid0(VALU_DEP_1) | instskip(SKIP_2) | instid1(VALU_DEP_1)
	v_exp_f32_e32 v5, v5
	s_waitcnt_depctr 0xfff
	v_dual_add_f32 v5, 1.0, v5 :: v_dual_add_nc_u32 v0, 0x100, v0
	v_cmp_le_i32_e64 s0, s3, v0
	s_delay_alu instid0(VALU_DEP_2) | instskip(SKIP_1) | instid1(VALU_DEP_3)
	v_div_scale_f32 v6, null, v5, v5, 1.0
	v_div_scale_f32 v8, vcc_lo, 1.0, v5, 1.0
	s_or_b32 s1, s0, s1
	s_delay_alu instid0(VALU_DEP_2) | instskip(SKIP_2) | instid1(VALU_DEP_1)
	v_rcp_f32_e32 v7, v6
	s_waitcnt_depctr 0xfff
	v_fma_f32 v9, -v6, v7, 1.0
	v_fmac_f32_e32 v7, v9, v7
	s_delay_alu instid0(VALU_DEP_1) | instskip(NEXT) | instid1(VALU_DEP_1)
	v_mul_f32_e32 v9, v8, v7
	v_fma_f32 v10, -v6, v9, v8
	s_delay_alu instid0(VALU_DEP_1) | instskip(NEXT) | instid1(VALU_DEP_1)
	v_fmac_f32_e32 v9, v10, v7
	v_fma_f32 v6, -v6, v9, v8
	s_delay_alu instid0(VALU_DEP_1) | instskip(NEXT) | instid1(VALU_DEP_1)
	v_div_fmas_f32 v6, v6, v7, v9
	v_div_fixup_f32 v5, v6, v5, 1.0
	s_delay_alu instid0(VALU_DEP_1)
	v_cmp_class_f32_e64 vcc_lo, v5, 0x1f8
	v_cndmask_b32_e32 v5, 0, v5, vcc_lo
	global_store_b32 v[3:4], v5, off
	v_add_co_u32 v3, vcc_lo, 0x400, v3
	v_add_co_ci_u32_e32 v4, vcc_lo, 0, v4, vcc_lo
	s_and_not1_b32 exec_lo, exec_lo, s1
	s_cbranch_execnz .LBB208_5
.LBB208_6:
	s_set_inst_prefetch_distance 0x2
	s_nop 0
	s_sendmsg sendmsg(MSG_DEALLOC_VGPRS)
	s_endpgm
.LBB208_7:
	s_mov_b32 s2, 0
	s_branch .LBB208_2
	.section	.rodata,"a",@progbits
	.p2align	6, 0x0
	.amdhsa_kernel _ZN4vllm3moe10moeSigmoidILi256EfEEvPKT0_PKbPfi
		.amdhsa_group_segment_fixed_size 0
		.amdhsa_private_segment_fixed_size 0
		.amdhsa_kernarg_size 28
		.amdhsa_user_sgpr_count 15
		.amdhsa_user_sgpr_dispatch_ptr 0
		.amdhsa_user_sgpr_queue_ptr 0
		.amdhsa_user_sgpr_kernarg_segment_ptr 1
		.amdhsa_user_sgpr_dispatch_id 0
		.amdhsa_user_sgpr_private_segment_size 0
		.amdhsa_wavefront_size32 1
		.amdhsa_uses_dynamic_stack 0
		.amdhsa_enable_private_segment 0
		.amdhsa_system_sgpr_workgroup_id_x 1
		.amdhsa_system_sgpr_workgroup_id_y 0
		.amdhsa_system_sgpr_workgroup_id_z 0
		.amdhsa_system_sgpr_workgroup_info 0
		.amdhsa_system_vgpr_workitem_id 0
		.amdhsa_next_free_vgpr 11
		.amdhsa_next_free_sgpr 16
		.amdhsa_reserve_vcc 1
		.amdhsa_float_round_mode_32 0
		.amdhsa_float_round_mode_16_64 0
		.amdhsa_float_denorm_mode_32 3
		.amdhsa_float_denorm_mode_16_64 3
		.amdhsa_dx10_clamp 1
		.amdhsa_ieee_mode 1
		.amdhsa_fp16_overflow 0
		.amdhsa_workgroup_processor_mode 1
		.amdhsa_memory_ordered 1
		.amdhsa_forward_progress 0
		.amdhsa_shared_vgpr_count 0
		.amdhsa_exception_fp_ieee_invalid_op 0
		.amdhsa_exception_fp_denorm_src 0
		.amdhsa_exception_fp_ieee_div_zero 0
		.amdhsa_exception_fp_ieee_overflow 0
		.amdhsa_exception_fp_ieee_underflow 0
		.amdhsa_exception_fp_ieee_inexact 0
		.amdhsa_exception_int_div_zero 0
	.end_amdhsa_kernel
	.section	.text._ZN4vllm3moe10moeSigmoidILi256EfEEvPKT0_PKbPfi,"axG",@progbits,_ZN4vllm3moe10moeSigmoidILi256EfEEvPKT0_PKbPfi,comdat
.Lfunc_end208:
	.size	_ZN4vllm3moe10moeSigmoidILi256EfEEvPKT0_PKbPfi, .Lfunc_end208-_ZN4vllm3moe10moeSigmoidILi256EfEEvPKT0_PKbPfi
                                        ; -- End function
	.section	.AMDGPU.csdata,"",@progbits
; Kernel info:
; codeLenInByte = 452
; NumSgprs: 18
; NumVgprs: 11
; ScratchSize: 0
; MemoryBound: 0
; FloatMode: 240
; IeeeMode: 1
; LDSByteSize: 0 bytes/workgroup (compile time only)
; SGPRBlocks: 2
; VGPRBlocks: 1
; NumSGPRsForWavesPerEU: 18
; NumVGPRsForWavesPerEU: 11
; Occupancy: 16
; WaveLimiterHint : 0
; COMPUTE_PGM_RSRC2:SCRATCH_EN: 0
; COMPUTE_PGM_RSRC2:USER_SGPR: 15
; COMPUTE_PGM_RSRC2:TRAP_HANDLER: 0
; COMPUTE_PGM_RSRC2:TGID_X_EN: 1
; COMPUTE_PGM_RSRC2:TGID_Y_EN: 0
; COMPUTE_PGM_RSRC2:TGID_Z_EN: 0
; COMPUTE_PGM_RSRC2:TIDIG_COMP_CNT: 0
	.section	.text._ZN4vllm3moe10topkGatingILi1ELi1ELi4ELi4ELi64EjfLNS0_11ScoringFuncE1EEEvPKT5_PKbPfiPT4_PiiiibPKf,"axG",@progbits,_ZN4vllm3moe10topkGatingILi1ELi1ELi4ELi4ELi64EjfLNS0_11ScoringFuncE1EEEvPKT5_PKbPfiPT4_PiiiibPKf,comdat
	.protected	_ZN4vllm3moe10topkGatingILi1ELi1ELi4ELi4ELi64EjfLNS0_11ScoringFuncE1EEEvPKT5_PKbPfiPT4_PiiiibPKf ; -- Begin function _ZN4vllm3moe10topkGatingILi1ELi1ELi4ELi4ELi64EjfLNS0_11ScoringFuncE1EEEvPKT5_PKbPfiPT4_PiiiibPKf
	.globl	_ZN4vllm3moe10topkGatingILi1ELi1ELi4ELi4ELi64EjfLNS0_11ScoringFuncE1EEEvPKT5_PKbPfiPT4_PiiiibPKf
	.p2align	8
	.type	_ZN4vllm3moe10topkGatingILi1ELi1ELi4ELi4ELi64EjfLNS0_11ScoringFuncE1EEEvPKT5_PKbPfiPT4_PiiiibPKf,@function
_ZN4vllm3moe10topkGatingILi1ELi1ELi4ELi4ELi64EjfLNS0_11ScoringFuncE1EEEvPKT5_PKbPfiPT4_PiiiibPKf: ; @_ZN4vllm3moe10topkGatingILi1ELi1ELi4ELi4ELi64EjfLNS0_11ScoringFuncE1EEEvPKT5_PKbPfiPT4_PiiiibPKf
; %bb.0:
	s_load_b32 s3, s[0:1], 0x18
	v_bfe_u32 v1, v0, 10, 10
	v_and_b32_e32 v0, 0x3ff, v0
	s_lshl_b32 s2, s15, 8
	s_delay_alu instid0(VALU_DEP_2) | instskip(NEXT) | instid1(VALU_DEP_1)
	v_lshlrev_b32_e32 v1, 6, v1
	v_add3_u32 v0, v1, v0, s2
	s_mov_b32 s2, exec_lo
	s_waitcnt lgkmcnt(0)
	s_delay_alu instid0(VALU_DEP_1)
	v_cmpx_gt_i32_e64 s3, v0
	s_cbranch_execz .LBB209_12
; %bb.1:
	s_clause 0x1
	s_load_b128 s[8:11], s[0:1], 0x0
	s_load_b64 s[12:13], s[0:1], 0x10
	v_ashrrev_i32_e32 v1, 31, v0
	s_waitcnt lgkmcnt(0)
	s_cmp_eq_u64 s[10:11], 0
	s_cbranch_scc1 .LBB209_3
; %bb.2:
	v_add_co_u32 v2, vcc_lo, s10, v0
	v_add_co_ci_u32_e32 v3, vcc_lo, s11, v1, vcc_lo
	global_load_u8 v2, v[2:3], off
	s_waitcnt vmcnt(0)
	v_and_b32_e32 v2, 1, v2
	s_delay_alu instid0(VALU_DEP_1) | instskip(SKIP_1) | instid1(SALU_CYCLE_1)
	v_cmp_eq_u32_e32 vcc_lo, 1, v2
	s_xor_b32 s2, vcc_lo, -1
	s_or_not1_b32 s10, s2, exec_lo
	s_branch .LBB209_4
.LBB209_3:
	s_mov_b32 s10, -1
.LBB209_4:
	s_load_b128 s[4:7], s[0:1], 0x30
	s_waitcnt lgkmcnt(0)
	s_bitcmp1_b32 s7, 0
	s_cselect_b32 s2, -1, 0
	s_cmp_gt_i32 s4, 0
	s_cselect_b32 s7, -1, 0
	s_cmp_lt_i32 s4, 1
	s_cbranch_scc1 .LBB209_8
; %bb.5:
	v_lshlrev_b64 v[1:2], 2, v[0:1]
	s_load_b128 s[16:19], s[0:1], 0x20
	s_cmp_lt_i32 s5, 1
	v_mov_b32_e32 v7, 0
	s_cselect_b32 s0, -1, 0
	s_cmp_gt_i32 s6, 0
	v_add_co_u32 v1, vcc_lo, s8, v1
	v_add_co_ci_u32_e32 v2, vcc_lo, s9, v2, vcc_lo
	s_cselect_b32 s1, -1, 0
	s_delay_alu instid0(SALU_CYCLE_1) | instskip(SKIP_3) | instid1(SALU_CYCLE_1)
	s_and_b32 s0, s0, s1
	global_load_b32 v1, v[1:2], off
	s_sub_i32 s1, 0, s5
	s_and_b32 s0, s10, s0
	v_cndmask_b32_e64 v8, 1, s1, s0
	s_waitcnt vmcnt(0)
	v_mul_f32_e32 v1, 0xbfb8aa3b, v1
	s_delay_alu instid0(VALU_DEP_1) | instskip(SKIP_2) | instid1(VALU_DEP_1)
	v_exp_f32_e32 v1, v1
	s_waitcnt_depctr 0xfff
	v_add_f32_e32 v9, 1.0, v1
	v_div_scale_f32 v3, null, v9, v9, 1.0
	s_delay_alu instid0(VALU_DEP_1) | instskip(SKIP_2) | instid1(VALU_DEP_1)
	v_rcp_f32_e32 v4, v3
	s_waitcnt_depctr 0xfff
	v_fma_f32 v1, -v3, v4, 1.0
	v_fmac_f32_e32 v4, v1, v4
	v_div_scale_f32 v10, vcc_lo, 1.0, v9, 1.0
	v_mul_lo_u32 v1, v0, s4
	s_delay_alu instid0(VALU_DEP_2) | instskip(NEXT) | instid1(VALU_DEP_2)
	v_mul_f32_e32 v11, v10, v4
	v_ashrrev_i32_e32 v2, 31, v1
	s_delay_alu instid0(VALU_DEP_2) | instskip(NEXT) | instid1(VALU_DEP_1)
	v_fma_f32 v5, -v3, v11, v10
	v_fmac_f32_e32 v11, v5, v4
	s_delay_alu instid0(VALU_DEP_3) | instskip(NEXT) | instid1(VALU_DEP_2)
	v_lshlrev_b64 v[5:6], 2, v[1:2]
	v_fma_f32 v3, -v3, v11, v10
	s_delay_alu instid0(VALU_DEP_2) | instskip(NEXT) | instid1(VALU_DEP_1)
	v_add_co_u32 v1, s0, s12, v5
	v_add_co_ci_u32_e64 v2, s0, s13, v6, s0
	s_delay_alu instid0(VALU_DEP_3) | instskip(SKIP_3) | instid1(VALU_DEP_3)
	v_div_fmas_f32 v10, v3, v4, v11
	s_waitcnt lgkmcnt(0)
	v_add_co_u32 v3, vcc_lo, s16, v5
	v_add_co_ci_u32_e32 v4, vcc_lo, s17, v6, vcc_lo
	v_div_fixup_f32 v9, v10, v9, 1.0
	v_add_co_u32 v5, vcc_lo, s18, v5
	v_add_co_ci_u32_e32 v6, vcc_lo, s19, v6, vcc_lo
	s_delay_alu instid0(VALU_DEP_3)
	v_cmp_class_f32_e64 vcc_lo, v9, 0x1f8
	v_mov_b32_e32 v10, v0
	s_mov_b32 s0, s4
	v_cndmask_b32_e32 v9, 0, v9, vcc_lo
	.p2align	6
.LBB209_6:                              ; =>This Inner Loop Header: Depth=1
	global_store_b32 v[1:2], v9, off
	global_store_b32 v[3:4], v8, off
	;; [unrolled: 1-line block ×3, first 2 shown]
	v_add_co_u32 v1, vcc_lo, v1, 4
	v_add_co_ci_u32_e32 v2, vcc_lo, 0, v2, vcc_lo
	v_dual_add_f32 v11, v7, v9 :: v_dual_add_nc_u32 v10, s3, v10
	v_add_co_u32 v3, vcc_lo, v3, 4
	v_add_co_ci_u32_e32 v4, vcc_lo, 0, v4, vcc_lo
	v_add_co_u32 v5, vcc_lo, v5, 4
	s_delay_alu instid0(VALU_DEP_4) | instskip(SKIP_2) | instid1(SALU_CYCLE_1)
	v_cndmask_b32_e64 v7, v7, v11, s2
	v_add_co_ci_u32_e32 v6, vcc_lo, 0, v6, vcc_lo
	s_add_i32 s0, s0, -1
	s_cmp_lg_u32 s0, 0
	s_cbranch_scc1 .LBB209_6
; %bb.7:
	s_and_not1_b32 vcc_lo, exec_lo, s2
	s_cbranch_vccz .LBB209_9
	s_branch .LBB209_12
.LBB209_8:
	v_mov_b32_e32 v7, 0
	s_and_not1_b32 vcc_lo, exec_lo, s2
	s_cbranch_vccnz .LBB209_12
.LBB209_9:
	s_and_not1_b32 vcc_lo, exec_lo, s7
	s_cbranch_vccnz .LBB209_12
; %bb.10:
	v_mul_lo_u32 v0, v0, s4
	v_cmp_lt_f32_e32 vcc_lo, 0, v7
	v_cndmask_b32_e32 v2, 1.0, v7, vcc_lo
	s_delay_alu instid0(VALU_DEP_3) | instskip(NEXT) | instid1(VALU_DEP_1)
	v_ashrrev_i32_e32 v1, 31, v0
	v_lshlrev_b64 v[0:1], 2, v[0:1]
	s_delay_alu instid0(VALU_DEP_1) | instskip(NEXT) | instid1(VALU_DEP_2)
	v_add_co_u32 v0, vcc_lo, s12, v0
	v_add_co_ci_u32_e32 v1, vcc_lo, s13, v1, vcc_lo
	.p2align	6
.LBB209_11:                             ; =>This Inner Loop Header: Depth=1
	global_load_b32 v3, v[0:1], off
	s_add_i32 s4, s4, -1
	s_delay_alu instid0(SALU_CYCLE_1) | instskip(SKIP_3) | instid1(VALU_DEP_2)
	s_cmp_lg_u32 s4, 0
	s_waitcnt vmcnt(0)
	v_div_scale_f32 v4, null, v2, v2, v3
	v_div_scale_f32 v7, vcc_lo, v3, v2, v3
	v_rcp_f32_e32 v5, v4
	s_waitcnt_depctr 0xfff
	v_fma_f32 v6, -v4, v5, 1.0
	s_delay_alu instid0(VALU_DEP_1) | instskip(NEXT) | instid1(VALU_DEP_1)
	v_fmac_f32_e32 v5, v6, v5
	v_mul_f32_e32 v6, v7, v5
	s_delay_alu instid0(VALU_DEP_1) | instskip(NEXT) | instid1(VALU_DEP_1)
	v_fma_f32 v8, -v4, v6, v7
	v_fmac_f32_e32 v6, v8, v5
	s_delay_alu instid0(VALU_DEP_1) | instskip(NEXT) | instid1(VALU_DEP_1)
	v_fma_f32 v4, -v4, v6, v7
	v_div_fmas_f32 v4, v4, v5, v6
	s_delay_alu instid0(VALU_DEP_1)
	v_div_fixup_f32 v3, v4, v2, v3
	global_store_b32 v[0:1], v3, off
	v_add_co_u32 v0, vcc_lo, v0, 4
	v_add_co_ci_u32_e32 v1, vcc_lo, 0, v1, vcc_lo
	s_cbranch_scc1 .LBB209_11
.LBB209_12:
	s_nop 0
	s_sendmsg sendmsg(MSG_DEALLOC_VGPRS)
	s_endpgm
	.section	.rodata,"a",@progbits
	.p2align	6, 0x0
	.amdhsa_kernel _ZN4vllm3moe10topkGatingILi1ELi1ELi4ELi4ELi64EjfLNS0_11ScoringFuncE1EEEvPKT5_PKbPfiPT4_PiiiibPKf
		.amdhsa_group_segment_fixed_size 0
		.amdhsa_private_segment_fixed_size 0
		.amdhsa_kernarg_size 72
		.amdhsa_user_sgpr_count 15
		.amdhsa_user_sgpr_dispatch_ptr 0
		.amdhsa_user_sgpr_queue_ptr 0
		.amdhsa_user_sgpr_kernarg_segment_ptr 1
		.amdhsa_user_sgpr_dispatch_id 0
		.amdhsa_user_sgpr_private_segment_size 0
		.amdhsa_wavefront_size32 1
		.amdhsa_uses_dynamic_stack 0
		.amdhsa_enable_private_segment 0
		.amdhsa_system_sgpr_workgroup_id_x 1
		.amdhsa_system_sgpr_workgroup_id_y 0
		.amdhsa_system_sgpr_workgroup_id_z 0
		.amdhsa_system_sgpr_workgroup_info 0
		.amdhsa_system_vgpr_workitem_id 1
		.amdhsa_next_free_vgpr 12
		.amdhsa_next_free_sgpr 20
		.amdhsa_reserve_vcc 1
		.amdhsa_float_round_mode_32 0
		.amdhsa_float_round_mode_16_64 0
		.amdhsa_float_denorm_mode_32 3
		.amdhsa_float_denorm_mode_16_64 3
		.amdhsa_dx10_clamp 1
		.amdhsa_ieee_mode 1
		.amdhsa_fp16_overflow 0
		.amdhsa_workgroup_processor_mode 1
		.amdhsa_memory_ordered 1
		.amdhsa_forward_progress 0
		.amdhsa_shared_vgpr_count 0
		.amdhsa_exception_fp_ieee_invalid_op 0
		.amdhsa_exception_fp_denorm_src 0
		.amdhsa_exception_fp_ieee_div_zero 0
		.amdhsa_exception_fp_ieee_overflow 0
		.amdhsa_exception_fp_ieee_underflow 0
		.amdhsa_exception_fp_ieee_inexact 0
		.amdhsa_exception_int_div_zero 0
	.end_amdhsa_kernel
	.section	.text._ZN4vllm3moe10topkGatingILi1ELi1ELi4ELi4ELi64EjfLNS0_11ScoringFuncE1EEEvPKT5_PKbPfiPT4_PiiiibPKf,"axG",@progbits,_ZN4vllm3moe10topkGatingILi1ELi1ELi4ELi4ELi64EjfLNS0_11ScoringFuncE1EEEvPKT5_PKbPfiPT4_PiiiibPKf,comdat
.Lfunc_end209:
	.size	_ZN4vllm3moe10topkGatingILi1ELi1ELi4ELi4ELi64EjfLNS0_11ScoringFuncE1EEEvPKT5_PKbPfiPT4_PiiiibPKf, .Lfunc_end209-_ZN4vllm3moe10topkGatingILi1ELi1ELi4ELi4ELi64EjfLNS0_11ScoringFuncE1EEEvPKT5_PKbPfiPT4_PiiiibPKf
                                        ; -- End function
	.section	.AMDGPU.csdata,"",@progbits
; Kernel info:
; codeLenInByte = 816
; NumSgprs: 22
; NumVgprs: 12
; ScratchSize: 0
; MemoryBound: 0
; FloatMode: 240
; IeeeMode: 1
; LDSByteSize: 0 bytes/workgroup (compile time only)
; SGPRBlocks: 2
; VGPRBlocks: 1
; NumSGPRsForWavesPerEU: 22
; NumVGPRsForWavesPerEU: 12
; Occupancy: 16
; WaveLimiterHint : 0
; COMPUTE_PGM_RSRC2:SCRATCH_EN: 0
; COMPUTE_PGM_RSRC2:USER_SGPR: 15
; COMPUTE_PGM_RSRC2:TRAP_HANDLER: 0
; COMPUTE_PGM_RSRC2:TGID_X_EN: 1
; COMPUTE_PGM_RSRC2:TGID_Y_EN: 0
; COMPUTE_PGM_RSRC2:TGID_Z_EN: 0
; COMPUTE_PGM_RSRC2:TIDIG_COMP_CNT: 1
	.section	.text._ZN4vllm3moe10topkGatingILi1ELi1ELi4ELi4ELi32EjfLNS0_11ScoringFuncE1EEEvPKT5_PKbPfiPT4_PiiiibPKf,"axG",@progbits,_ZN4vllm3moe10topkGatingILi1ELi1ELi4ELi4ELi32EjfLNS0_11ScoringFuncE1EEEvPKT5_PKbPfiPT4_PiiiibPKf,comdat
	.protected	_ZN4vllm3moe10topkGatingILi1ELi1ELi4ELi4ELi32EjfLNS0_11ScoringFuncE1EEEvPKT5_PKbPfiPT4_PiiiibPKf ; -- Begin function _ZN4vllm3moe10topkGatingILi1ELi1ELi4ELi4ELi32EjfLNS0_11ScoringFuncE1EEEvPKT5_PKbPfiPT4_PiiiibPKf
	.globl	_ZN4vllm3moe10topkGatingILi1ELi1ELi4ELi4ELi32EjfLNS0_11ScoringFuncE1EEEvPKT5_PKbPfiPT4_PiiiibPKf
	.p2align	8
	.type	_ZN4vllm3moe10topkGatingILi1ELi1ELi4ELi4ELi32EjfLNS0_11ScoringFuncE1EEEvPKT5_PKbPfiPT4_PiiiibPKf,@function
_ZN4vllm3moe10topkGatingILi1ELi1ELi4ELi4ELi32EjfLNS0_11ScoringFuncE1EEEvPKT5_PKbPfiPT4_PiiiibPKf: ; @_ZN4vllm3moe10topkGatingILi1ELi1ELi4ELi4ELi32EjfLNS0_11ScoringFuncE1EEEvPKT5_PKbPfiPT4_PiiiibPKf
; %bb.0:
	s_load_b32 s3, s[0:1], 0x18
	v_bfe_u32 v1, v0, 10, 10
	v_and_b32_e32 v0, 0x3ff, v0
	s_lshl_b32 s2, s15, 7
	s_delay_alu instid0(VALU_DEP_2) | instskip(NEXT) | instid1(VALU_DEP_1)
	v_lshlrev_b32_e32 v1, 5, v1
	v_add3_u32 v0, v1, v0, s2
	s_mov_b32 s2, exec_lo
	s_waitcnt lgkmcnt(0)
	s_delay_alu instid0(VALU_DEP_1)
	v_cmpx_gt_i32_e64 s3, v0
	s_cbranch_execz .LBB210_12
; %bb.1:
	s_clause 0x1
	s_load_b128 s[8:11], s[0:1], 0x0
	s_load_b64 s[12:13], s[0:1], 0x10
	v_ashrrev_i32_e32 v1, 31, v0
	s_waitcnt lgkmcnt(0)
	s_cmp_eq_u64 s[10:11], 0
	s_cbranch_scc1 .LBB210_3
; %bb.2:
	v_add_co_u32 v2, vcc_lo, s10, v0
	v_add_co_ci_u32_e32 v3, vcc_lo, s11, v1, vcc_lo
	global_load_u8 v2, v[2:3], off
	s_waitcnt vmcnt(0)
	v_and_b32_e32 v2, 1, v2
	s_delay_alu instid0(VALU_DEP_1) | instskip(SKIP_1) | instid1(SALU_CYCLE_1)
	v_cmp_eq_u32_e32 vcc_lo, 1, v2
	s_xor_b32 s2, vcc_lo, -1
	s_or_not1_b32 s10, s2, exec_lo
	s_branch .LBB210_4
.LBB210_3:
	s_mov_b32 s10, -1
.LBB210_4:
	s_load_b128 s[4:7], s[0:1], 0x30
	s_waitcnt lgkmcnt(0)
	s_bitcmp1_b32 s7, 0
	s_cselect_b32 s2, -1, 0
	s_cmp_gt_i32 s4, 0
	s_cselect_b32 s7, -1, 0
	s_cmp_lt_i32 s4, 1
	s_cbranch_scc1 .LBB210_8
; %bb.5:
	v_lshlrev_b64 v[1:2], 2, v[0:1]
	s_load_b128 s[16:19], s[0:1], 0x20
	s_cmp_lt_i32 s5, 1
	v_mov_b32_e32 v7, 0
	s_cselect_b32 s0, -1, 0
	s_cmp_gt_i32 s6, 0
	v_add_co_u32 v1, vcc_lo, s8, v1
	v_add_co_ci_u32_e32 v2, vcc_lo, s9, v2, vcc_lo
	s_cselect_b32 s1, -1, 0
	s_delay_alu instid0(SALU_CYCLE_1) | instskip(SKIP_3) | instid1(SALU_CYCLE_1)
	s_and_b32 s0, s0, s1
	global_load_b32 v1, v[1:2], off
	s_sub_i32 s1, 0, s5
	s_and_b32 s0, s10, s0
	v_cndmask_b32_e64 v8, 1, s1, s0
	s_waitcnt vmcnt(0)
	v_mul_f32_e32 v1, 0xbfb8aa3b, v1
	s_delay_alu instid0(VALU_DEP_1) | instskip(SKIP_2) | instid1(VALU_DEP_1)
	v_exp_f32_e32 v1, v1
	s_waitcnt_depctr 0xfff
	v_add_f32_e32 v9, 1.0, v1
	v_div_scale_f32 v3, null, v9, v9, 1.0
	s_delay_alu instid0(VALU_DEP_1) | instskip(SKIP_2) | instid1(VALU_DEP_1)
	v_rcp_f32_e32 v4, v3
	s_waitcnt_depctr 0xfff
	v_fma_f32 v1, -v3, v4, 1.0
	v_fmac_f32_e32 v4, v1, v4
	v_div_scale_f32 v10, vcc_lo, 1.0, v9, 1.0
	v_mul_lo_u32 v1, v0, s4
	s_delay_alu instid0(VALU_DEP_2) | instskip(NEXT) | instid1(VALU_DEP_2)
	v_mul_f32_e32 v11, v10, v4
	v_ashrrev_i32_e32 v2, 31, v1
	s_delay_alu instid0(VALU_DEP_2) | instskip(NEXT) | instid1(VALU_DEP_1)
	v_fma_f32 v5, -v3, v11, v10
	v_fmac_f32_e32 v11, v5, v4
	s_delay_alu instid0(VALU_DEP_3) | instskip(NEXT) | instid1(VALU_DEP_2)
	v_lshlrev_b64 v[5:6], 2, v[1:2]
	v_fma_f32 v3, -v3, v11, v10
	s_delay_alu instid0(VALU_DEP_2) | instskip(NEXT) | instid1(VALU_DEP_1)
	v_add_co_u32 v1, s0, s12, v5
	v_add_co_ci_u32_e64 v2, s0, s13, v6, s0
	s_delay_alu instid0(VALU_DEP_3) | instskip(SKIP_3) | instid1(VALU_DEP_3)
	v_div_fmas_f32 v10, v3, v4, v11
	s_waitcnt lgkmcnt(0)
	v_add_co_u32 v3, vcc_lo, s16, v5
	v_add_co_ci_u32_e32 v4, vcc_lo, s17, v6, vcc_lo
	v_div_fixup_f32 v9, v10, v9, 1.0
	v_add_co_u32 v5, vcc_lo, s18, v5
	v_add_co_ci_u32_e32 v6, vcc_lo, s19, v6, vcc_lo
	s_delay_alu instid0(VALU_DEP_3)
	v_cmp_class_f32_e64 vcc_lo, v9, 0x1f8
	v_mov_b32_e32 v10, v0
	s_mov_b32 s0, s4
	v_cndmask_b32_e32 v9, 0, v9, vcc_lo
	.p2align	6
.LBB210_6:                              ; =>This Inner Loop Header: Depth=1
	global_store_b32 v[1:2], v9, off
	global_store_b32 v[3:4], v8, off
	;; [unrolled: 1-line block ×3, first 2 shown]
	v_add_co_u32 v1, vcc_lo, v1, 4
	v_add_co_ci_u32_e32 v2, vcc_lo, 0, v2, vcc_lo
	v_dual_add_f32 v11, v7, v9 :: v_dual_add_nc_u32 v10, s3, v10
	v_add_co_u32 v3, vcc_lo, v3, 4
	v_add_co_ci_u32_e32 v4, vcc_lo, 0, v4, vcc_lo
	v_add_co_u32 v5, vcc_lo, v5, 4
	s_delay_alu instid0(VALU_DEP_4) | instskip(SKIP_2) | instid1(SALU_CYCLE_1)
	v_cndmask_b32_e64 v7, v7, v11, s2
	v_add_co_ci_u32_e32 v6, vcc_lo, 0, v6, vcc_lo
	s_add_i32 s0, s0, -1
	s_cmp_lg_u32 s0, 0
	s_cbranch_scc1 .LBB210_6
; %bb.7:
	s_and_not1_b32 vcc_lo, exec_lo, s2
	s_cbranch_vccz .LBB210_9
	s_branch .LBB210_12
.LBB210_8:
	v_mov_b32_e32 v7, 0
	s_and_not1_b32 vcc_lo, exec_lo, s2
	s_cbranch_vccnz .LBB210_12
.LBB210_9:
	s_and_not1_b32 vcc_lo, exec_lo, s7
	s_cbranch_vccnz .LBB210_12
; %bb.10:
	v_mul_lo_u32 v0, v0, s4
	v_cmp_lt_f32_e32 vcc_lo, 0, v7
	v_cndmask_b32_e32 v2, 1.0, v7, vcc_lo
	s_delay_alu instid0(VALU_DEP_3) | instskip(NEXT) | instid1(VALU_DEP_1)
	v_ashrrev_i32_e32 v1, 31, v0
	v_lshlrev_b64 v[0:1], 2, v[0:1]
	s_delay_alu instid0(VALU_DEP_1) | instskip(NEXT) | instid1(VALU_DEP_2)
	v_add_co_u32 v0, vcc_lo, s12, v0
	v_add_co_ci_u32_e32 v1, vcc_lo, s13, v1, vcc_lo
	.p2align	6
.LBB210_11:                             ; =>This Inner Loop Header: Depth=1
	global_load_b32 v3, v[0:1], off
	s_add_i32 s4, s4, -1
	s_delay_alu instid0(SALU_CYCLE_1) | instskip(SKIP_3) | instid1(VALU_DEP_2)
	s_cmp_lg_u32 s4, 0
	s_waitcnt vmcnt(0)
	v_div_scale_f32 v4, null, v2, v2, v3
	v_div_scale_f32 v7, vcc_lo, v3, v2, v3
	v_rcp_f32_e32 v5, v4
	s_waitcnt_depctr 0xfff
	v_fma_f32 v6, -v4, v5, 1.0
	s_delay_alu instid0(VALU_DEP_1) | instskip(NEXT) | instid1(VALU_DEP_1)
	v_fmac_f32_e32 v5, v6, v5
	v_mul_f32_e32 v6, v7, v5
	s_delay_alu instid0(VALU_DEP_1) | instskip(NEXT) | instid1(VALU_DEP_1)
	v_fma_f32 v8, -v4, v6, v7
	v_fmac_f32_e32 v6, v8, v5
	s_delay_alu instid0(VALU_DEP_1) | instskip(NEXT) | instid1(VALU_DEP_1)
	v_fma_f32 v4, -v4, v6, v7
	v_div_fmas_f32 v4, v4, v5, v6
	s_delay_alu instid0(VALU_DEP_1)
	v_div_fixup_f32 v3, v4, v2, v3
	global_store_b32 v[0:1], v3, off
	v_add_co_u32 v0, vcc_lo, v0, 4
	v_add_co_ci_u32_e32 v1, vcc_lo, 0, v1, vcc_lo
	s_cbranch_scc1 .LBB210_11
.LBB210_12:
	s_nop 0
	s_sendmsg sendmsg(MSG_DEALLOC_VGPRS)
	s_endpgm
	.section	.rodata,"a",@progbits
	.p2align	6, 0x0
	.amdhsa_kernel _ZN4vllm3moe10topkGatingILi1ELi1ELi4ELi4ELi32EjfLNS0_11ScoringFuncE1EEEvPKT5_PKbPfiPT4_PiiiibPKf
		.amdhsa_group_segment_fixed_size 0
		.amdhsa_private_segment_fixed_size 0
		.amdhsa_kernarg_size 72
		.amdhsa_user_sgpr_count 15
		.amdhsa_user_sgpr_dispatch_ptr 0
		.amdhsa_user_sgpr_queue_ptr 0
		.amdhsa_user_sgpr_kernarg_segment_ptr 1
		.amdhsa_user_sgpr_dispatch_id 0
		.amdhsa_user_sgpr_private_segment_size 0
		.amdhsa_wavefront_size32 1
		.amdhsa_uses_dynamic_stack 0
		.amdhsa_enable_private_segment 0
		.amdhsa_system_sgpr_workgroup_id_x 1
		.amdhsa_system_sgpr_workgroup_id_y 0
		.amdhsa_system_sgpr_workgroup_id_z 0
		.amdhsa_system_sgpr_workgroup_info 0
		.amdhsa_system_vgpr_workitem_id 1
		.amdhsa_next_free_vgpr 12
		.amdhsa_next_free_sgpr 20
		.amdhsa_reserve_vcc 1
		.amdhsa_float_round_mode_32 0
		.amdhsa_float_round_mode_16_64 0
		.amdhsa_float_denorm_mode_32 3
		.amdhsa_float_denorm_mode_16_64 3
		.amdhsa_dx10_clamp 1
		.amdhsa_ieee_mode 1
		.amdhsa_fp16_overflow 0
		.amdhsa_workgroup_processor_mode 1
		.amdhsa_memory_ordered 1
		.amdhsa_forward_progress 0
		.amdhsa_shared_vgpr_count 0
		.amdhsa_exception_fp_ieee_invalid_op 0
		.amdhsa_exception_fp_denorm_src 0
		.amdhsa_exception_fp_ieee_div_zero 0
		.amdhsa_exception_fp_ieee_overflow 0
		.amdhsa_exception_fp_ieee_underflow 0
		.amdhsa_exception_fp_ieee_inexact 0
		.amdhsa_exception_int_div_zero 0
	.end_amdhsa_kernel
	.section	.text._ZN4vllm3moe10topkGatingILi1ELi1ELi4ELi4ELi32EjfLNS0_11ScoringFuncE1EEEvPKT5_PKbPfiPT4_PiiiibPKf,"axG",@progbits,_ZN4vllm3moe10topkGatingILi1ELi1ELi4ELi4ELi32EjfLNS0_11ScoringFuncE1EEEvPKT5_PKbPfiPT4_PiiiibPKf,comdat
.Lfunc_end210:
	.size	_ZN4vllm3moe10topkGatingILi1ELi1ELi4ELi4ELi32EjfLNS0_11ScoringFuncE1EEEvPKT5_PKbPfiPT4_PiiiibPKf, .Lfunc_end210-_ZN4vllm3moe10topkGatingILi1ELi1ELi4ELi4ELi32EjfLNS0_11ScoringFuncE1EEEvPKT5_PKbPfiPT4_PiiiibPKf
                                        ; -- End function
	.section	.AMDGPU.csdata,"",@progbits
; Kernel info:
; codeLenInByte = 816
; NumSgprs: 22
; NumVgprs: 12
; ScratchSize: 0
; MemoryBound: 0
; FloatMode: 240
; IeeeMode: 1
; LDSByteSize: 0 bytes/workgroup (compile time only)
; SGPRBlocks: 2
; VGPRBlocks: 1
; NumSGPRsForWavesPerEU: 22
; NumVGPRsForWavesPerEU: 12
; Occupancy: 16
; WaveLimiterHint : 0
; COMPUTE_PGM_RSRC2:SCRATCH_EN: 0
; COMPUTE_PGM_RSRC2:USER_SGPR: 15
; COMPUTE_PGM_RSRC2:TRAP_HANDLER: 0
; COMPUTE_PGM_RSRC2:TGID_X_EN: 1
; COMPUTE_PGM_RSRC2:TGID_Y_EN: 0
; COMPUTE_PGM_RSRC2:TGID_Z_EN: 0
; COMPUTE_PGM_RSRC2:TIDIG_COMP_CNT: 1
	.section	.text._ZN4vllm3moe10topkGatingILi2ELi2ELi4ELi8ELi64EjfLNS0_11ScoringFuncE1EEEvPKT5_PKbPfiPT4_PiiiibPKf,"axG",@progbits,_ZN4vllm3moe10topkGatingILi2ELi2ELi4ELi8ELi64EjfLNS0_11ScoringFuncE1EEEvPKT5_PKbPfiPT4_PiiiibPKf,comdat
	.protected	_ZN4vllm3moe10topkGatingILi2ELi2ELi4ELi8ELi64EjfLNS0_11ScoringFuncE1EEEvPKT5_PKbPfiPT4_PiiiibPKf ; -- Begin function _ZN4vllm3moe10topkGatingILi2ELi2ELi4ELi8ELi64EjfLNS0_11ScoringFuncE1EEEvPKT5_PKbPfiPT4_PiiiibPKf
	.globl	_ZN4vllm3moe10topkGatingILi2ELi2ELi4ELi8ELi64EjfLNS0_11ScoringFuncE1EEEvPKT5_PKbPfiPT4_PiiiibPKf
	.p2align	8
	.type	_ZN4vllm3moe10topkGatingILi2ELi2ELi4ELi8ELi64EjfLNS0_11ScoringFuncE1EEEvPKT5_PKbPfiPT4_PiiiibPKf,@function
_ZN4vllm3moe10topkGatingILi2ELi2ELi4ELi8ELi64EjfLNS0_11ScoringFuncE1EEEvPKT5_PKbPfiPT4_PiiiibPKf: ; @_ZN4vllm3moe10topkGatingILi2ELi2ELi4ELi8ELi64EjfLNS0_11ScoringFuncE1EEEvPKT5_PKbPfiPT4_PiiiibPKf
; %bb.0:
	s_load_b32 s3, s[0:1], 0x18
	v_bfe_u32 v1, v0, 10, 10
	v_and_b32_e32 v0, 0x3ff, v0
	s_lshl_b32 s2, s15, 8
	s_delay_alu instid0(VALU_DEP_2) | instskip(NEXT) | instid1(VALU_DEP_1)
	v_lshlrev_b32_e32 v1, 6, v1
	v_add3_u32 v10, v1, v0, s2
	s_mov_b32 s2, exec_lo
	s_waitcnt lgkmcnt(0)
	s_delay_alu instid0(VALU_DEP_1)
	v_cmpx_gt_i32_e64 s3, v10
	s_cbranch_execz .LBB211_14
; %bb.1:
	s_clause 0x1
	s_load_b128 s[4:7], s[0:1], 0x0
	s_load_b64 s[8:9], s[0:1], 0x10
	s_waitcnt lgkmcnt(0)
	s_cmp_eq_u64 s[6:7], 0
	s_cbranch_scc1 .LBB211_3
; %bb.2:
	v_ashrrev_i32_e32 v1, 31, v10
	v_add_co_u32 v0, vcc_lo, s6, v10
	s_delay_alu instid0(VALU_DEP_2) | instskip(SKIP_3) | instid1(VALU_DEP_1)
	v_add_co_ci_u32_e32 v1, vcc_lo, s7, v1, vcc_lo
	global_load_u8 v0, v[0:1], off
	s_waitcnt vmcnt(0)
	v_and_b32_e32 v0, 1, v0
	v_cmp_eq_u32_e32 vcc_lo, 1, v0
	s_xor_b32 s2, vcc_lo, -1
	s_delay_alu instid0(SALU_CYCLE_1)
	s_or_not1_b32 s10, s2, exec_lo
	s_branch .LBB211_4
.LBB211_3:
	s_mov_b32 s10, -1
.LBB211_4:
	v_lshlrev_b32_e32 v0, 1, v10
	s_delay_alu instid0(VALU_DEP_1) | instskip(NEXT) | instid1(VALU_DEP_1)
	v_ashrrev_i32_e32 v1, 31, v0
	v_lshlrev_b64 v[0:1], 2, v[0:1]
	s_delay_alu instid0(VALU_DEP_1) | instskip(NEXT) | instid1(VALU_DEP_2)
	v_add_co_u32 v0, vcc_lo, s4, v0
	v_add_co_ci_u32_e32 v1, vcc_lo, s5, v1, vcc_lo
	s_load_b64 s[4:5], s[0:1], 0x40
	global_load_b64 v[0:1], v[0:1], off
	s_waitcnt lgkmcnt(0)
	s_cmp_eq_u64 s[4:5], 0
	s_waitcnt vmcnt(0)
	v_mul_f32_e32 v1, 0xbfb8aa3b, v1
	s_delay_alu instid0(VALU_DEP_1) | instskip(SKIP_2) | instid1(VALU_DEP_1)
	v_exp_f32_e32 v1, v1
	s_waitcnt_depctr 0xfff
	v_dual_mul_f32 v0, 0xbfb8aa3b, v0 :: v_dual_add_f32 v1, 1.0, v1
	v_exp_f32_e32 v0, v0
	s_delay_alu instid0(VALU_DEP_1) | instskip(NEXT) | instid1(VALU_DEP_1)
	v_div_scale_f32 v3, null, v1, v1, 1.0
	v_rcp_f32_e32 v5, v3
	s_waitcnt_depctr 0xfff
	v_fma_f32 v7, -v3, v5, 1.0
	s_delay_alu instid0(VALU_DEP_1) | instskip(NEXT) | instid1(VALU_DEP_1)
	v_dual_add_f32 v0, 1.0, v0 :: v_dual_fmac_f32 v5, v7, v5
	v_div_scale_f32 v2, null, v0, v0, 1.0
	v_div_scale_f32 v8, vcc_lo, 1.0, v0, 1.0
	s_delay_alu instid0(VALU_DEP_2) | instskip(SKIP_2) | instid1(VALU_DEP_1)
	v_rcp_f32_e32 v4, v2
	s_waitcnt_depctr 0xfff
	v_fma_f32 v6, -v2, v4, 1.0
	v_fmac_f32_e32 v4, v6, v4
	v_div_scale_f32 v6, s2, 1.0, v1, 1.0
	s_delay_alu instid0(VALU_DEP_1) | instskip(NEXT) | instid1(VALU_DEP_1)
	v_mul_f32_e32 v9, v6, v5
	v_fma_f32 v12, -v3, v9, v6
	s_delay_alu instid0(VALU_DEP_1) | instskip(SKIP_1) | instid1(VALU_DEP_2)
	v_fmac_f32_e32 v9, v12, v5
	v_mul_f32_e32 v7, v8, v4
	v_fma_f32 v3, -v3, v9, v6
	s_delay_alu instid0(VALU_DEP_2) | instskip(NEXT) | instid1(VALU_DEP_1)
	v_fma_f32 v11, -v2, v7, v8
	v_fmac_f32_e32 v7, v11, v4
	s_delay_alu instid0(VALU_DEP_1) | instskip(NEXT) | instid1(VALU_DEP_1)
	v_fma_f32 v2, -v2, v7, v8
	v_div_fmas_f32 v2, v2, v4, v7
	s_mov_b32 vcc_lo, s2
	v_div_fmas_f32 v3, v3, v5, v9
	s_delay_alu instid0(VALU_DEP_2) | instskip(NEXT) | instid1(VALU_DEP_2)
	v_div_fixup_f32 v0, v2, v0, 1.0
	v_div_fixup_f32 v1, v3, v1, 1.0
	s_delay_alu instid0(VALU_DEP_2) | instskip(SKIP_1) | instid1(VALU_DEP_3)
	v_cmp_class_f32_e64 vcc_lo, v0, 0x1f8
	v_cndmask_b32_e32 v0, 0, v0, vcc_lo
	v_cmp_class_f32_e64 vcc_lo, v1, 0x1f8
	v_cndmask_b32_e32 v1, 0, v1, vcc_lo
	s_delay_alu instid0(VALU_DEP_1)
	v_dual_mov_b32 v3, v1 :: v_dual_mov_b32 v2, v0
	s_cbranch_scc1 .LBB211_6
; %bb.5:
	s_load_b64 s[4:5], s[4:5], 0x0
	s_waitcnt lgkmcnt(0)
	v_dual_add_f32 v2, s4, v0 :: v_dual_add_f32 v3, s5, v1
.LBB211_6:
	s_load_b128 s[4:7], s[0:1], 0x30
	s_waitcnt lgkmcnt(0)
	s_bitcmp1_b32 s7, 0
	s_cselect_b32 vcc_lo, -1, 0
	s_cmp_gt_i32 s4, 0
	s_cselect_b32 s7, -1, 0
	s_cmp_lt_i32 s4, 1
	s_cbranch_scc1 .LBB211_10
; %bb.7:
	v_mul_lo_u32 v4, v10, s4
	s_load_b128 s[12:15], s[0:1], 0x20
	v_dual_mov_b32 v11, 0 :: v_dual_mov_b32 v12, v10
	s_mov_b32 s11, 0
	s_delay_alu instid0(VALU_DEP_2) | instskip(NEXT) | instid1(VALU_DEP_1)
	v_ashrrev_i32_e32 v5, 31, v4
	v_lshlrev_b64 v[8:9], 2, v[4:5]
	s_delay_alu instid0(VALU_DEP_1) | instskip(NEXT) | instid1(VALU_DEP_1)
	v_add_co_u32 v4, s0, s8, v8
	v_add_co_ci_u32_e64 v5, s0, s9, v9, s0
	s_waitcnt lgkmcnt(0)
	v_add_co_u32 v6, s0, s12, v8
	s_delay_alu instid0(VALU_DEP_1) | instskip(SKIP_1) | instid1(VALU_DEP_1)
	v_add_co_ci_u32_e64 v7, s0, s13, v9, s0
	v_add_co_u32 v8, s0, s14, v8
	v_add_co_ci_u32_e64 v9, s0, s15, v9, s0
.LBB211_8:                              ; =>This Inner Loop Header: Depth=1
	v_cmp_gt_f32_e64 s0, v3, v2
	s_add_i32 s11, s11, 1
	s_delay_alu instid0(VALU_DEP_1) | instskip(SKIP_3) | instid1(VALU_DEP_4)
	v_cndmask_b32_e64 v13, 0, 1, s0
	v_cndmask_b32_e64 v14, v0, v1, s0
	;; [unrolled: 1-line block ×4, first 2 shown]
	v_cmp_le_i32_e64 s1, s5, v13
	v_cmp_gt_i32_e64 s2, s6, v13
	v_subrev_nc_u32_e32 v13, s5, v13
	global_store_b32 v[4:5], v14, off
	v_add_f32_e32 v16, v11, v14
	s_and_b32 s1, s1, s2
	s_delay_alu instid0(SALU_CYCLE_1)
	s_and_b32 s1, s10, s1
	s_cmp_lt_i32 s11, s4
	v_cndmask_b32_e64 v13, 2, v13, s1
	s_cselect_b32 s0, -1, 0
	v_cndmask_b32_e32 v11, v11, v16, vcc_lo
	v_cndmask_b32_e64 v3, v3, v17, s0
	v_cndmask_b32_e64 v2, v2, v15, s0
	v_add_co_u32 v4, s0, v4, 4
	s_delay_alu instid0(VALU_DEP_1) | instskip(SKIP_3) | instid1(VALU_DEP_1)
	v_add_co_ci_u32_e64 v5, s0, 0, v5, s0
	global_store_b32 v[6:7], v13, off
	global_store_b32 v[8:9], v12, off
	v_add_co_u32 v6, s0, v6, 4
	v_add_co_ci_u32_e64 v7, s0, 0, v7, s0
	v_add_co_u32 v8, s0, v8, 4
	v_add_nc_u32_e32 v12, s3, v12
	v_add_co_ci_u32_e64 v9, s0, 0, v9, s0
	s_cmp_eq_u32 s4, s11
	s_cbranch_scc0 .LBB211_8
; %bb.9:
	s_and_b32 vcc_lo, exec_lo, vcc_lo
	s_cbranch_vccnz .LBB211_11
	s_branch .LBB211_14
.LBB211_10:
	v_mov_b32_e32 v11, 0
	s_and_b32 vcc_lo, exec_lo, vcc_lo
	s_cbranch_vccz .LBB211_14
.LBB211_11:
	s_and_not1_b32 vcc_lo, exec_lo, s7
	s_cbranch_vccnz .LBB211_14
; %bb.12:
	v_mul_lo_u32 v0, v10, s4
	v_cmp_lt_f32_e32 vcc_lo, 0, v11
	v_cndmask_b32_e32 v2, 1.0, v11, vcc_lo
	s_delay_alu instid0(VALU_DEP_3) | instskip(NEXT) | instid1(VALU_DEP_1)
	v_ashrrev_i32_e32 v1, 31, v0
	v_lshlrev_b64 v[0:1], 2, v[0:1]
	s_delay_alu instid0(VALU_DEP_1) | instskip(NEXT) | instid1(VALU_DEP_2)
	v_add_co_u32 v0, vcc_lo, s8, v0
	v_add_co_ci_u32_e32 v1, vcc_lo, s9, v1, vcc_lo
	.p2align	6
.LBB211_13:                             ; =>This Inner Loop Header: Depth=1
	global_load_b32 v3, v[0:1], off
	s_add_i32 s4, s4, -1
	s_delay_alu instid0(SALU_CYCLE_1) | instskip(SKIP_3) | instid1(VALU_DEP_2)
	s_cmp_lg_u32 s4, 0
	s_waitcnt vmcnt(0)
	v_div_scale_f32 v4, null, v2, v2, v3
	v_div_scale_f32 v7, vcc_lo, v3, v2, v3
	v_rcp_f32_e32 v5, v4
	s_waitcnt_depctr 0xfff
	v_fma_f32 v6, -v4, v5, 1.0
	s_delay_alu instid0(VALU_DEP_1) | instskip(NEXT) | instid1(VALU_DEP_1)
	v_fmac_f32_e32 v5, v6, v5
	v_mul_f32_e32 v6, v7, v5
	s_delay_alu instid0(VALU_DEP_1) | instskip(NEXT) | instid1(VALU_DEP_1)
	v_fma_f32 v8, -v4, v6, v7
	v_fmac_f32_e32 v6, v8, v5
	s_delay_alu instid0(VALU_DEP_1) | instskip(NEXT) | instid1(VALU_DEP_1)
	v_fma_f32 v4, -v4, v6, v7
	v_div_fmas_f32 v4, v4, v5, v6
	s_delay_alu instid0(VALU_DEP_1)
	v_div_fixup_f32 v3, v4, v2, v3
	global_store_b32 v[0:1], v3, off
	v_add_co_u32 v0, vcc_lo, v0, 4
	v_add_co_ci_u32_e32 v1, vcc_lo, 0, v1, vcc_lo
	s_cbranch_scc1 .LBB211_13
.LBB211_14:
	s_nop 0
	s_sendmsg sendmsg(MSG_DEALLOC_VGPRS)
	s_endpgm
	.section	.rodata,"a",@progbits
	.p2align	6, 0x0
	.amdhsa_kernel _ZN4vllm3moe10topkGatingILi2ELi2ELi4ELi8ELi64EjfLNS0_11ScoringFuncE1EEEvPKT5_PKbPfiPT4_PiiiibPKf
		.amdhsa_group_segment_fixed_size 0
		.amdhsa_private_segment_fixed_size 0
		.amdhsa_kernarg_size 72
		.amdhsa_user_sgpr_count 15
		.amdhsa_user_sgpr_dispatch_ptr 0
		.amdhsa_user_sgpr_queue_ptr 0
		.amdhsa_user_sgpr_kernarg_segment_ptr 1
		.amdhsa_user_sgpr_dispatch_id 0
		.amdhsa_user_sgpr_private_segment_size 0
		.amdhsa_wavefront_size32 1
		.amdhsa_uses_dynamic_stack 0
		.amdhsa_enable_private_segment 0
		.amdhsa_system_sgpr_workgroup_id_x 1
		.amdhsa_system_sgpr_workgroup_id_y 0
		.amdhsa_system_sgpr_workgroup_id_z 0
		.amdhsa_system_sgpr_workgroup_info 0
		.amdhsa_system_vgpr_workitem_id 1
		.amdhsa_next_free_vgpr 18
		.amdhsa_next_free_sgpr 16
		.amdhsa_reserve_vcc 1
		.amdhsa_float_round_mode_32 0
		.amdhsa_float_round_mode_16_64 0
		.amdhsa_float_denorm_mode_32 3
		.amdhsa_float_denorm_mode_16_64 3
		.amdhsa_dx10_clamp 1
		.amdhsa_ieee_mode 1
		.amdhsa_fp16_overflow 0
		.amdhsa_workgroup_processor_mode 1
		.amdhsa_memory_ordered 1
		.amdhsa_forward_progress 0
		.amdhsa_shared_vgpr_count 0
		.amdhsa_exception_fp_ieee_invalid_op 0
		.amdhsa_exception_fp_denorm_src 0
		.amdhsa_exception_fp_ieee_div_zero 0
		.amdhsa_exception_fp_ieee_overflow 0
		.amdhsa_exception_fp_ieee_underflow 0
		.amdhsa_exception_fp_ieee_inexact 0
		.amdhsa_exception_int_div_zero 0
	.end_amdhsa_kernel
	.section	.text._ZN4vllm3moe10topkGatingILi2ELi2ELi4ELi8ELi64EjfLNS0_11ScoringFuncE1EEEvPKT5_PKbPfiPT4_PiiiibPKf,"axG",@progbits,_ZN4vllm3moe10topkGatingILi2ELi2ELi4ELi8ELi64EjfLNS0_11ScoringFuncE1EEEvPKT5_PKbPfiPT4_PiiiibPKf,comdat
.Lfunc_end211:
	.size	_ZN4vllm3moe10topkGatingILi2ELi2ELi4ELi8ELi64EjfLNS0_11ScoringFuncE1EEEvPKT5_PKbPfiPT4_PiiiibPKf, .Lfunc_end211-_ZN4vllm3moe10topkGatingILi2ELi2ELi4ELi8ELi64EjfLNS0_11ScoringFuncE1EEEvPKT5_PKbPfiPT4_PiiiibPKf
                                        ; -- End function
	.section	.AMDGPU.csdata,"",@progbits
; Kernel info:
; codeLenInByte = 1112
; NumSgprs: 18
; NumVgprs: 18
; ScratchSize: 0
; MemoryBound: 0
; FloatMode: 240
; IeeeMode: 1
; LDSByteSize: 0 bytes/workgroup (compile time only)
; SGPRBlocks: 2
; VGPRBlocks: 2
; NumSGPRsForWavesPerEU: 18
; NumVGPRsForWavesPerEU: 18
; Occupancy: 16
; WaveLimiterHint : 0
; COMPUTE_PGM_RSRC2:SCRATCH_EN: 0
; COMPUTE_PGM_RSRC2:USER_SGPR: 15
; COMPUTE_PGM_RSRC2:TRAP_HANDLER: 0
; COMPUTE_PGM_RSRC2:TGID_X_EN: 1
; COMPUTE_PGM_RSRC2:TGID_Y_EN: 0
; COMPUTE_PGM_RSRC2:TGID_Z_EN: 0
; COMPUTE_PGM_RSRC2:TIDIG_COMP_CNT: 1
	.section	.text._ZN4vllm3moe10topkGatingILi2ELi2ELi4ELi8ELi32EjfLNS0_11ScoringFuncE1EEEvPKT5_PKbPfiPT4_PiiiibPKf,"axG",@progbits,_ZN4vllm3moe10topkGatingILi2ELi2ELi4ELi8ELi32EjfLNS0_11ScoringFuncE1EEEvPKT5_PKbPfiPT4_PiiiibPKf,comdat
	.protected	_ZN4vllm3moe10topkGatingILi2ELi2ELi4ELi8ELi32EjfLNS0_11ScoringFuncE1EEEvPKT5_PKbPfiPT4_PiiiibPKf ; -- Begin function _ZN4vllm3moe10topkGatingILi2ELi2ELi4ELi8ELi32EjfLNS0_11ScoringFuncE1EEEvPKT5_PKbPfiPT4_PiiiibPKf
	.globl	_ZN4vllm3moe10topkGatingILi2ELi2ELi4ELi8ELi32EjfLNS0_11ScoringFuncE1EEEvPKT5_PKbPfiPT4_PiiiibPKf
	.p2align	8
	.type	_ZN4vllm3moe10topkGatingILi2ELi2ELi4ELi8ELi32EjfLNS0_11ScoringFuncE1EEEvPKT5_PKbPfiPT4_PiiiibPKf,@function
_ZN4vllm3moe10topkGatingILi2ELi2ELi4ELi8ELi32EjfLNS0_11ScoringFuncE1EEEvPKT5_PKbPfiPT4_PiiiibPKf: ; @_ZN4vllm3moe10topkGatingILi2ELi2ELi4ELi8ELi32EjfLNS0_11ScoringFuncE1EEEvPKT5_PKbPfiPT4_PiiiibPKf
; %bb.0:
	s_load_b32 s3, s[0:1], 0x18
	v_bfe_u32 v1, v0, 10, 10
	v_and_b32_e32 v0, 0x3ff, v0
	s_lshl_b32 s2, s15, 7
	s_delay_alu instid0(VALU_DEP_2) | instskip(NEXT) | instid1(VALU_DEP_1)
	v_lshlrev_b32_e32 v1, 5, v1
	v_add3_u32 v10, v1, v0, s2
	s_mov_b32 s2, exec_lo
	s_waitcnt lgkmcnt(0)
	s_delay_alu instid0(VALU_DEP_1)
	v_cmpx_gt_i32_e64 s3, v10
	s_cbranch_execz .LBB212_14
; %bb.1:
	s_clause 0x1
	s_load_b128 s[4:7], s[0:1], 0x0
	s_load_b64 s[8:9], s[0:1], 0x10
	s_waitcnt lgkmcnt(0)
	s_cmp_eq_u64 s[6:7], 0
	s_cbranch_scc1 .LBB212_3
; %bb.2:
	v_ashrrev_i32_e32 v1, 31, v10
	v_add_co_u32 v0, vcc_lo, s6, v10
	s_delay_alu instid0(VALU_DEP_2) | instskip(SKIP_3) | instid1(VALU_DEP_1)
	v_add_co_ci_u32_e32 v1, vcc_lo, s7, v1, vcc_lo
	global_load_u8 v0, v[0:1], off
	s_waitcnt vmcnt(0)
	v_and_b32_e32 v0, 1, v0
	v_cmp_eq_u32_e32 vcc_lo, 1, v0
	s_xor_b32 s2, vcc_lo, -1
	s_delay_alu instid0(SALU_CYCLE_1)
	s_or_not1_b32 s10, s2, exec_lo
	s_branch .LBB212_4
.LBB212_3:
	s_mov_b32 s10, -1
.LBB212_4:
	v_lshlrev_b32_e32 v0, 1, v10
	s_delay_alu instid0(VALU_DEP_1) | instskip(NEXT) | instid1(VALU_DEP_1)
	v_ashrrev_i32_e32 v1, 31, v0
	v_lshlrev_b64 v[0:1], 2, v[0:1]
	s_delay_alu instid0(VALU_DEP_1) | instskip(NEXT) | instid1(VALU_DEP_2)
	v_add_co_u32 v0, vcc_lo, s4, v0
	v_add_co_ci_u32_e32 v1, vcc_lo, s5, v1, vcc_lo
	s_load_b64 s[4:5], s[0:1], 0x40
	global_load_b64 v[0:1], v[0:1], off
	s_waitcnt lgkmcnt(0)
	s_cmp_eq_u64 s[4:5], 0
	s_waitcnt vmcnt(0)
	v_mul_f32_e32 v1, 0xbfb8aa3b, v1
	s_delay_alu instid0(VALU_DEP_1) | instskip(SKIP_2) | instid1(VALU_DEP_1)
	v_exp_f32_e32 v1, v1
	s_waitcnt_depctr 0xfff
	v_dual_mul_f32 v0, 0xbfb8aa3b, v0 :: v_dual_add_f32 v1, 1.0, v1
	v_exp_f32_e32 v0, v0
	s_delay_alu instid0(VALU_DEP_1) | instskip(NEXT) | instid1(VALU_DEP_1)
	v_div_scale_f32 v3, null, v1, v1, 1.0
	v_rcp_f32_e32 v5, v3
	s_waitcnt_depctr 0xfff
	v_fma_f32 v7, -v3, v5, 1.0
	s_delay_alu instid0(VALU_DEP_1) | instskip(NEXT) | instid1(VALU_DEP_1)
	v_dual_add_f32 v0, 1.0, v0 :: v_dual_fmac_f32 v5, v7, v5
	v_div_scale_f32 v2, null, v0, v0, 1.0
	v_div_scale_f32 v8, vcc_lo, 1.0, v0, 1.0
	s_delay_alu instid0(VALU_DEP_2) | instskip(SKIP_2) | instid1(VALU_DEP_1)
	v_rcp_f32_e32 v4, v2
	s_waitcnt_depctr 0xfff
	v_fma_f32 v6, -v2, v4, 1.0
	v_fmac_f32_e32 v4, v6, v4
	v_div_scale_f32 v6, s2, 1.0, v1, 1.0
	s_delay_alu instid0(VALU_DEP_1) | instskip(NEXT) | instid1(VALU_DEP_1)
	v_mul_f32_e32 v9, v6, v5
	v_fma_f32 v12, -v3, v9, v6
	s_delay_alu instid0(VALU_DEP_1) | instskip(SKIP_1) | instid1(VALU_DEP_2)
	v_fmac_f32_e32 v9, v12, v5
	v_mul_f32_e32 v7, v8, v4
	v_fma_f32 v3, -v3, v9, v6
	s_delay_alu instid0(VALU_DEP_2) | instskip(NEXT) | instid1(VALU_DEP_1)
	v_fma_f32 v11, -v2, v7, v8
	v_fmac_f32_e32 v7, v11, v4
	s_delay_alu instid0(VALU_DEP_1) | instskip(NEXT) | instid1(VALU_DEP_1)
	v_fma_f32 v2, -v2, v7, v8
	v_div_fmas_f32 v2, v2, v4, v7
	s_mov_b32 vcc_lo, s2
	v_div_fmas_f32 v3, v3, v5, v9
	s_delay_alu instid0(VALU_DEP_2) | instskip(NEXT) | instid1(VALU_DEP_2)
	v_div_fixup_f32 v0, v2, v0, 1.0
	v_div_fixup_f32 v1, v3, v1, 1.0
	s_delay_alu instid0(VALU_DEP_2) | instskip(SKIP_1) | instid1(VALU_DEP_3)
	v_cmp_class_f32_e64 vcc_lo, v0, 0x1f8
	v_cndmask_b32_e32 v0, 0, v0, vcc_lo
	v_cmp_class_f32_e64 vcc_lo, v1, 0x1f8
	v_cndmask_b32_e32 v1, 0, v1, vcc_lo
	s_delay_alu instid0(VALU_DEP_1)
	v_dual_mov_b32 v3, v1 :: v_dual_mov_b32 v2, v0
	s_cbranch_scc1 .LBB212_6
; %bb.5:
	s_load_b64 s[4:5], s[4:5], 0x0
	s_waitcnt lgkmcnt(0)
	v_dual_add_f32 v2, s4, v0 :: v_dual_add_f32 v3, s5, v1
.LBB212_6:
	s_load_b128 s[4:7], s[0:1], 0x30
	s_waitcnt lgkmcnt(0)
	s_bitcmp1_b32 s7, 0
	s_cselect_b32 vcc_lo, -1, 0
	s_cmp_gt_i32 s4, 0
	s_cselect_b32 s7, -1, 0
	s_cmp_lt_i32 s4, 1
	s_cbranch_scc1 .LBB212_10
; %bb.7:
	v_mul_lo_u32 v4, v10, s4
	s_load_b128 s[12:15], s[0:1], 0x20
	v_dual_mov_b32 v11, 0 :: v_dual_mov_b32 v12, v10
	s_mov_b32 s11, 0
	s_delay_alu instid0(VALU_DEP_2) | instskip(NEXT) | instid1(VALU_DEP_1)
	v_ashrrev_i32_e32 v5, 31, v4
	v_lshlrev_b64 v[8:9], 2, v[4:5]
	s_delay_alu instid0(VALU_DEP_1) | instskip(NEXT) | instid1(VALU_DEP_1)
	v_add_co_u32 v4, s0, s8, v8
	v_add_co_ci_u32_e64 v5, s0, s9, v9, s0
	s_waitcnt lgkmcnt(0)
	v_add_co_u32 v6, s0, s12, v8
	s_delay_alu instid0(VALU_DEP_1) | instskip(SKIP_1) | instid1(VALU_DEP_1)
	v_add_co_ci_u32_e64 v7, s0, s13, v9, s0
	v_add_co_u32 v8, s0, s14, v8
	v_add_co_ci_u32_e64 v9, s0, s15, v9, s0
.LBB212_8:                              ; =>This Inner Loop Header: Depth=1
	v_cmp_gt_f32_e64 s0, v3, v2
	s_add_i32 s11, s11, 1
	s_delay_alu instid0(VALU_DEP_1) | instskip(SKIP_3) | instid1(VALU_DEP_4)
	v_cndmask_b32_e64 v13, 0, 1, s0
	v_cndmask_b32_e64 v14, v0, v1, s0
	;; [unrolled: 1-line block ×4, first 2 shown]
	v_cmp_le_i32_e64 s1, s5, v13
	v_cmp_gt_i32_e64 s2, s6, v13
	v_subrev_nc_u32_e32 v13, s5, v13
	global_store_b32 v[4:5], v14, off
	v_add_f32_e32 v16, v11, v14
	s_and_b32 s1, s1, s2
	s_delay_alu instid0(SALU_CYCLE_1)
	s_and_b32 s1, s10, s1
	s_cmp_lt_i32 s11, s4
	v_cndmask_b32_e64 v13, 2, v13, s1
	s_cselect_b32 s0, -1, 0
	v_cndmask_b32_e32 v11, v11, v16, vcc_lo
	v_cndmask_b32_e64 v3, v3, v17, s0
	v_cndmask_b32_e64 v2, v2, v15, s0
	v_add_co_u32 v4, s0, v4, 4
	s_delay_alu instid0(VALU_DEP_1) | instskip(SKIP_3) | instid1(VALU_DEP_1)
	v_add_co_ci_u32_e64 v5, s0, 0, v5, s0
	global_store_b32 v[6:7], v13, off
	global_store_b32 v[8:9], v12, off
	v_add_co_u32 v6, s0, v6, 4
	v_add_co_ci_u32_e64 v7, s0, 0, v7, s0
	v_add_co_u32 v8, s0, v8, 4
	v_add_nc_u32_e32 v12, s3, v12
	v_add_co_ci_u32_e64 v9, s0, 0, v9, s0
	s_cmp_eq_u32 s4, s11
	s_cbranch_scc0 .LBB212_8
; %bb.9:
	s_and_b32 vcc_lo, exec_lo, vcc_lo
	s_cbranch_vccnz .LBB212_11
	s_branch .LBB212_14
.LBB212_10:
	v_mov_b32_e32 v11, 0
	s_and_b32 vcc_lo, exec_lo, vcc_lo
	s_cbranch_vccz .LBB212_14
.LBB212_11:
	s_and_not1_b32 vcc_lo, exec_lo, s7
	s_cbranch_vccnz .LBB212_14
; %bb.12:
	v_mul_lo_u32 v0, v10, s4
	v_cmp_lt_f32_e32 vcc_lo, 0, v11
	v_cndmask_b32_e32 v2, 1.0, v11, vcc_lo
	s_delay_alu instid0(VALU_DEP_3) | instskip(NEXT) | instid1(VALU_DEP_1)
	v_ashrrev_i32_e32 v1, 31, v0
	v_lshlrev_b64 v[0:1], 2, v[0:1]
	s_delay_alu instid0(VALU_DEP_1) | instskip(NEXT) | instid1(VALU_DEP_2)
	v_add_co_u32 v0, vcc_lo, s8, v0
	v_add_co_ci_u32_e32 v1, vcc_lo, s9, v1, vcc_lo
	.p2align	6
.LBB212_13:                             ; =>This Inner Loop Header: Depth=1
	global_load_b32 v3, v[0:1], off
	s_add_i32 s4, s4, -1
	s_delay_alu instid0(SALU_CYCLE_1) | instskip(SKIP_3) | instid1(VALU_DEP_2)
	s_cmp_lg_u32 s4, 0
	s_waitcnt vmcnt(0)
	v_div_scale_f32 v4, null, v2, v2, v3
	v_div_scale_f32 v7, vcc_lo, v3, v2, v3
	v_rcp_f32_e32 v5, v4
	s_waitcnt_depctr 0xfff
	v_fma_f32 v6, -v4, v5, 1.0
	s_delay_alu instid0(VALU_DEP_1) | instskip(NEXT) | instid1(VALU_DEP_1)
	v_fmac_f32_e32 v5, v6, v5
	v_mul_f32_e32 v6, v7, v5
	s_delay_alu instid0(VALU_DEP_1) | instskip(NEXT) | instid1(VALU_DEP_1)
	v_fma_f32 v8, -v4, v6, v7
	v_fmac_f32_e32 v6, v8, v5
	s_delay_alu instid0(VALU_DEP_1) | instskip(NEXT) | instid1(VALU_DEP_1)
	v_fma_f32 v4, -v4, v6, v7
	v_div_fmas_f32 v4, v4, v5, v6
	s_delay_alu instid0(VALU_DEP_1)
	v_div_fixup_f32 v3, v4, v2, v3
	global_store_b32 v[0:1], v3, off
	v_add_co_u32 v0, vcc_lo, v0, 4
	v_add_co_ci_u32_e32 v1, vcc_lo, 0, v1, vcc_lo
	s_cbranch_scc1 .LBB212_13
.LBB212_14:
	s_nop 0
	s_sendmsg sendmsg(MSG_DEALLOC_VGPRS)
	s_endpgm
	.section	.rodata,"a",@progbits
	.p2align	6, 0x0
	.amdhsa_kernel _ZN4vllm3moe10topkGatingILi2ELi2ELi4ELi8ELi32EjfLNS0_11ScoringFuncE1EEEvPKT5_PKbPfiPT4_PiiiibPKf
		.amdhsa_group_segment_fixed_size 0
		.amdhsa_private_segment_fixed_size 0
		.amdhsa_kernarg_size 72
		.amdhsa_user_sgpr_count 15
		.amdhsa_user_sgpr_dispatch_ptr 0
		.amdhsa_user_sgpr_queue_ptr 0
		.amdhsa_user_sgpr_kernarg_segment_ptr 1
		.amdhsa_user_sgpr_dispatch_id 0
		.amdhsa_user_sgpr_private_segment_size 0
		.amdhsa_wavefront_size32 1
		.amdhsa_uses_dynamic_stack 0
		.amdhsa_enable_private_segment 0
		.amdhsa_system_sgpr_workgroup_id_x 1
		.amdhsa_system_sgpr_workgroup_id_y 0
		.amdhsa_system_sgpr_workgroup_id_z 0
		.amdhsa_system_sgpr_workgroup_info 0
		.amdhsa_system_vgpr_workitem_id 1
		.amdhsa_next_free_vgpr 18
		.amdhsa_next_free_sgpr 16
		.amdhsa_reserve_vcc 1
		.amdhsa_float_round_mode_32 0
		.amdhsa_float_round_mode_16_64 0
		.amdhsa_float_denorm_mode_32 3
		.amdhsa_float_denorm_mode_16_64 3
		.amdhsa_dx10_clamp 1
		.amdhsa_ieee_mode 1
		.amdhsa_fp16_overflow 0
		.amdhsa_workgroup_processor_mode 1
		.amdhsa_memory_ordered 1
		.amdhsa_forward_progress 0
		.amdhsa_shared_vgpr_count 0
		.amdhsa_exception_fp_ieee_invalid_op 0
		.amdhsa_exception_fp_denorm_src 0
		.amdhsa_exception_fp_ieee_div_zero 0
		.amdhsa_exception_fp_ieee_overflow 0
		.amdhsa_exception_fp_ieee_underflow 0
		.amdhsa_exception_fp_ieee_inexact 0
		.amdhsa_exception_int_div_zero 0
	.end_amdhsa_kernel
	.section	.text._ZN4vllm3moe10topkGatingILi2ELi2ELi4ELi8ELi32EjfLNS0_11ScoringFuncE1EEEvPKT5_PKbPfiPT4_PiiiibPKf,"axG",@progbits,_ZN4vllm3moe10topkGatingILi2ELi2ELi4ELi8ELi32EjfLNS0_11ScoringFuncE1EEEvPKT5_PKbPfiPT4_PiiiibPKf,comdat
.Lfunc_end212:
	.size	_ZN4vllm3moe10topkGatingILi2ELi2ELi4ELi8ELi32EjfLNS0_11ScoringFuncE1EEEvPKT5_PKbPfiPT4_PiiiibPKf, .Lfunc_end212-_ZN4vllm3moe10topkGatingILi2ELi2ELi4ELi8ELi32EjfLNS0_11ScoringFuncE1EEEvPKT5_PKbPfiPT4_PiiiibPKf
                                        ; -- End function
	.section	.AMDGPU.csdata,"",@progbits
; Kernel info:
; codeLenInByte = 1112
; NumSgprs: 18
; NumVgprs: 18
; ScratchSize: 0
; MemoryBound: 0
; FloatMode: 240
; IeeeMode: 1
; LDSByteSize: 0 bytes/workgroup (compile time only)
; SGPRBlocks: 2
; VGPRBlocks: 2
; NumSGPRsForWavesPerEU: 18
; NumVGPRsForWavesPerEU: 18
; Occupancy: 16
; WaveLimiterHint : 0
; COMPUTE_PGM_RSRC2:SCRATCH_EN: 0
; COMPUTE_PGM_RSRC2:USER_SGPR: 15
; COMPUTE_PGM_RSRC2:TRAP_HANDLER: 0
; COMPUTE_PGM_RSRC2:TGID_X_EN: 1
; COMPUTE_PGM_RSRC2:TGID_Y_EN: 0
; COMPUTE_PGM_RSRC2:TGID_Z_EN: 0
; COMPUTE_PGM_RSRC2:TIDIG_COMP_CNT: 1
	.section	.text._ZN4vllm3moe10topkGatingILi4ELi4ELi4ELi16ELi64EjfLNS0_11ScoringFuncE1EEEvPKT5_PKbPfiPT4_PiiiibPKf,"axG",@progbits,_ZN4vllm3moe10topkGatingILi4ELi4ELi4ELi16ELi64EjfLNS0_11ScoringFuncE1EEEvPKT5_PKbPfiPT4_PiiiibPKf,comdat
	.protected	_ZN4vllm3moe10topkGatingILi4ELi4ELi4ELi16ELi64EjfLNS0_11ScoringFuncE1EEEvPKT5_PKbPfiPT4_PiiiibPKf ; -- Begin function _ZN4vllm3moe10topkGatingILi4ELi4ELi4ELi16ELi64EjfLNS0_11ScoringFuncE1EEEvPKT5_PKbPfiPT4_PiiiibPKf
	.globl	_ZN4vllm3moe10topkGatingILi4ELi4ELi4ELi16ELi64EjfLNS0_11ScoringFuncE1EEEvPKT5_PKbPfiPT4_PiiiibPKf
	.p2align	8
	.type	_ZN4vllm3moe10topkGatingILi4ELi4ELi4ELi16ELi64EjfLNS0_11ScoringFuncE1EEEvPKT5_PKbPfiPT4_PiiiibPKf,@function
_ZN4vllm3moe10topkGatingILi4ELi4ELi4ELi16ELi64EjfLNS0_11ScoringFuncE1EEEvPKT5_PKbPfiPT4_PiiiibPKf: ; @_ZN4vllm3moe10topkGatingILi4ELi4ELi4ELi16ELi64EjfLNS0_11ScoringFuncE1EEEvPKT5_PKbPfiPT4_PiiiibPKf
; %bb.0:
	s_load_b32 s10, s[0:1], 0x18
	v_bfe_u32 v1, v0, 10, 10
	v_and_b32_e32 v0, 0x3ff, v0
	s_lshl_b32 s2, s15, 8
	s_delay_alu instid0(VALU_DEP_2) | instskip(NEXT) | instid1(VALU_DEP_1)
	v_lshlrev_b32_e32 v1, 6, v1
	v_add3_u32 v14, v1, v0, s2
	s_mov_b32 s2, exec_lo
	s_waitcnt lgkmcnt(0)
	s_delay_alu instid0(VALU_DEP_1)
	v_cmpx_gt_i32_e64 s10, v14
	s_cbranch_execz .LBB213_15
; %bb.1:
	s_clause 0x1
	s_load_b128 s[4:7], s[0:1], 0x0
	s_load_b64 s[8:9], s[0:1], 0x10
	s_mov_b32 s12, -1
	s_mov_b32 s11, -1
	s_waitcnt lgkmcnt(0)
	s_cmp_eq_u64 s[6:7], 0
	s_cbranch_scc1 .LBB213_3
; %bb.2:
	v_ashrrev_i32_e32 v1, 31, v14
	v_add_co_u32 v0, vcc_lo, s6, v14
	s_delay_alu instid0(VALU_DEP_2) | instskip(SKIP_3) | instid1(VALU_DEP_1)
	v_add_co_ci_u32_e32 v1, vcc_lo, s7, v1, vcc_lo
	global_load_u8 v0, v[0:1], off
	s_waitcnt vmcnt(0)
	v_and_b32_e32 v0, 1, v0
	v_cmp_eq_u32_e32 vcc_lo, 1, v0
	s_xor_b32 s2, vcc_lo, -1
	s_delay_alu instid0(SALU_CYCLE_1)
	s_or_not1_b32 s11, s2, exec_lo
.LBB213_3:
	v_lshlrev_b32_e32 v0, 2, v14
	s_load_b64 s[6:7], s[0:1], 0x40
	s_delay_alu instid0(VALU_DEP_1) | instskip(NEXT) | instid1(VALU_DEP_1)
	v_ashrrev_i32_e32 v1, 31, v0
	v_lshlrev_b64 v[0:1], 2, v[0:1]
	s_delay_alu instid0(VALU_DEP_1) | instskip(NEXT) | instid1(VALU_DEP_2)
	v_add_co_u32 v0, vcc_lo, s4, v0
	v_add_co_ci_u32_e32 v1, vcc_lo, s5, v1, vcc_lo
	s_waitcnt lgkmcnt(0)
	s_cmp_eq_u64 s[6:7], 0
	global_load_b128 v[0:3], v[0:1], off
	s_waitcnt vmcnt(0)
	v_dual_mul_f32 v1, 0xbfb8aa3b, v1 :: v_dual_mul_f32 v0, 0xbfb8aa3b, v0
	v_mul_f32_e32 v3, 0xbfb8aa3b, v3
	s_delay_alu instid0(VALU_DEP_2) | instskip(SKIP_1) | instid1(VALU_DEP_3)
	v_exp_f32_e32 v1, v1
	v_mul_f32_e32 v2, 0xbfb8aa3b, v2
	v_exp_f32_e32 v0, v0
	s_delay_alu instid0(VALU_DEP_2) | instskip(NEXT) | instid1(TRANS32_DEP_3)
	v_exp_f32_e32 v3, v3
	v_add_f32_e32 v1, 1.0, v1
	s_delay_alu instid0(VALU_DEP_2) | instskip(SKIP_3) | instid1(VALU_DEP_2)
	v_exp_f32_e32 v2, v2
	s_waitcnt_depctr 0xfff
	v_dual_add_f32 v0, 1.0, v0 :: v_dual_add_f32 v3, 1.0, v3
	v_div_scale_f32 v5, null, v1, v1, 1.0
	v_div_scale_f32 v4, null, v0, v0, 1.0
	s_delay_alu instid0(VALU_DEP_3) | instskip(NEXT) | instid1(VALU_DEP_3)
	v_div_scale_f32 v7, null, v3, v3, 1.0
	v_rcp_f32_e32 v9, v5
	s_delay_alu instid0(VALU_DEP_2) | instskip(SKIP_1) | instid1(VALU_DEP_2)
	v_rcp_f32_e32 v8, v4
	v_div_scale_f32 v13, s2, 1.0, v1, 1.0
	v_rcp_f32_e32 v11, v7
	v_div_scale_f32 v12, vcc_lo, 1.0, v0, 1.0
	v_div_scale_f32 v20, s4, 1.0, v3, 1.0
	s_delay_alu instid0(TRANS32_DEP_3) | instskip(SKIP_1) | instid1(TRANS32_DEP_2)
	v_fma_f32 v17, -v5, v9, 1.0
	v_add_f32_e32 v2, 1.0, v2
	v_fma_f32 v16, -v4, v8, 1.0
	s_waitcnt_depctr 0xfff
	v_fma_f32 v19, -v7, v11, 1.0
	v_fmac_f32_e32 v9, v17, v9
	v_div_scale_f32 v6, null, v2, v2, 1.0
	s_delay_alu instid0(VALU_DEP_3) | instskip(SKIP_1) | instid1(VALU_DEP_3)
	v_dual_fmac_f32 v8, v16, v8 :: v_dual_fmac_f32 v11, v19, v11
	v_div_scale_f32 v15, s3, 1.0, v2, 1.0
	v_rcp_f32_e32 v10, v6
	v_mul_f32_e32 v17, v13, v9
	s_delay_alu instid0(VALU_DEP_3) | instskip(NEXT) | instid1(VALU_DEP_2)
	v_mul_f32_e32 v19, v20, v11
	v_fma_f32 v22, -v5, v17, v13
	v_mul_f32_e32 v16, v12, v8
	s_delay_alu instid0(VALU_DEP_3) | instskip(SKIP_4) | instid1(VALU_DEP_3)
	v_fma_f32 v24, -v7, v19, v20
	s_waitcnt_depctr 0xfff
	v_fma_f32 v18, -v6, v10, 1.0
	v_fmac_f32_e32 v17, v22, v9
	v_fma_f32 v21, -v4, v16, v12
	v_dual_fmac_f32 v19, v24, v11 :: v_dual_fmac_f32 v10, v18, v10
	s_delay_alu instid0(VALU_DEP_3) | instskip(NEXT) | instid1(VALU_DEP_3)
	v_fma_f32 v5, -v5, v17, v13
	v_fmac_f32_e32 v16, v21, v8
	s_delay_alu instid0(VALU_DEP_3) | instskip(NEXT) | instid1(VALU_DEP_4)
	v_fma_f32 v7, -v7, v19, v20
	v_mul_f32_e32 v18, v15, v10
	s_delay_alu instid0(VALU_DEP_3) | instskip(NEXT) | instid1(VALU_DEP_2)
	v_fma_f32 v4, -v4, v16, v12
	v_fma_f32 v23, -v6, v18, v15
	s_delay_alu instid0(VALU_DEP_2) | instskip(SKIP_3) | instid1(VALU_DEP_2)
	v_div_fmas_f32 v4, v4, v8, v16
	s_mov_b32 vcc_lo, s2
	v_div_fmas_f32 v5, v5, v9, v17
	s_mov_b32 vcc_lo, s3
	v_div_fixup_f32 v0, v4, v0, 1.0
	s_delay_alu instid0(VALU_DEP_2) | instskip(SKIP_1) | instid1(VALU_DEP_1)
	v_div_fixup_f32 v1, v5, v1, 1.0
	v_fmac_f32_e32 v18, v23, v10
	v_fma_f32 v6, -v6, v18, v15
	s_delay_alu instid0(VALU_DEP_1) | instskip(SKIP_3) | instid1(VALU_DEP_3)
	v_div_fmas_f32 v6, v6, v10, v18
	s_mov_b32 vcc_lo, s4
	v_div_fmas_f32 v4, v7, v11, v19
	v_cmp_class_f32_e64 vcc_lo, v0, 0x1f8
	v_div_fixup_f32 v2, v6, v2, 1.0
	s_delay_alu instid0(VALU_DEP_3)
	v_div_fixup_f32 v3, v4, v3, 1.0
	v_cndmask_b32_e32 v0, 0, v0, vcc_lo
	v_cmp_class_f32_e64 vcc_lo, v1, 0x1f8
	v_cndmask_b32_e32 v1, 0, v1, vcc_lo
	v_cmp_class_f32_e64 vcc_lo, v2, 0x1f8
	;; [unrolled: 2-line block ×3, first 2 shown]
	v_cndmask_b32_e32 v3, 0, v3, vcc_lo
	s_cbranch_scc1 .LBB213_10
; %bb.4:
	s_load_b128 s[4:7], s[6:7], 0x0
	s_waitcnt lgkmcnt(0)
	v_dual_add_f32 v4, s4, v0 :: v_dual_add_f32 v5, s5, v1
	v_dual_add_f32 v6, s6, v2 :: v_dual_add_f32 v7, s7, v3
	s_cbranch_execnz .LBB213_6
.LBB213_5:
	v_dual_mov_b32 v7, v3 :: v_dual_mov_b32 v6, v2
	v_dual_mov_b32 v5, v1 :: v_dual_mov_b32 v4, v0
.LBB213_6:
	s_load_b128 s[4:7], s[0:1], 0x30
	s_waitcnt lgkmcnt(0)
	s_bitcmp1_b32 s7, 0
	s_mov_b32 s7, 0
	s_cselect_b32 vcc_lo, -1, 0
	s_cmp_gt_i32 s4, 0
	s_cselect_b32 s3, -1, 0
	s_cmp_lt_i32 s4, 1
	s_cbranch_scc1 .LBB213_11
; %bb.7:
	v_mul_lo_u32 v8, v14, s4
	s_load_b128 s[12:15], s[0:1], 0x20
	v_dual_mov_b32 v15, 0 :: v_dual_mov_b32 v16, v14
	s_delay_alu instid0(VALU_DEP_2) | instskip(NEXT) | instid1(VALU_DEP_1)
	v_ashrrev_i32_e32 v9, 31, v8
	v_lshlrev_b64 v[12:13], 2, v[8:9]
	s_delay_alu instid0(VALU_DEP_1) | instskip(NEXT) | instid1(VALU_DEP_1)
	v_add_co_u32 v8, s0, s8, v12
	v_add_co_ci_u32_e64 v9, s0, s9, v13, s0
	s_waitcnt lgkmcnt(0)
	v_add_co_u32 v10, s0, s12, v12
	s_delay_alu instid0(VALU_DEP_1) | instskip(SKIP_1) | instid1(VALU_DEP_1)
	v_add_co_ci_u32_e64 v11, s0, s13, v13, s0
	v_add_co_u32 v12, s0, s14, v12
	v_add_co_ci_u32_e64 v13, s0, s15, v13, s0
.LBB213_8:                              ; =>This Inner Loop Header: Depth=1
	v_cmp_gt_f32_e64 s0, v5, v4
	s_add_i32 s7, s7, 1
	s_delay_alu instid0(VALU_DEP_1) | instskip(SKIP_2) | instid1(VALU_DEP_3)
	v_cndmask_b32_e64 v18, v4, v5, s0
	v_cndmask_b32_e64 v17, 0, 1, s0
	;; [unrolled: 1-line block ×3, first 2 shown]
	v_cmp_gt_f32_e64 s1, v6, v18
	s_delay_alu instid0(VALU_DEP_1) | instskip(NEXT) | instid1(VALU_DEP_4)
	v_cndmask_b32_e64 v18, v18, v6, s1
	v_cndmask_b32_e64 v17, v17, 2, s1
	s_delay_alu instid0(VALU_DEP_4) | instskip(NEXT) | instid1(VALU_DEP_3)
	v_cndmask_b32_e64 v19, v19, v2, s1
	v_cmp_gt_f32_e64 s0, v7, v18
	s_delay_alu instid0(VALU_DEP_1) | instskip(NEXT) | instid1(VALU_DEP_3)
	v_cndmask_b32_e64 v17, v17, 3, s0
	v_cndmask_b32_e64 v18, v19, v3, s0
	s_delay_alu instid0(VALU_DEP_2)
	v_cmp_ne_u32_e64 s2, 0, v17
	v_cmp_le_i32_e64 s0, s5, v17
	v_cmp_gt_i32_e64 s1, s6, v17
	v_subrev_nc_u32_e32 v19, s5, v17
	v_add_f32_e32 v23, v15, v18
	v_cndmask_b32_e64 v20, 0xc61c4000, v4, s2
	v_cmp_ne_u32_e64 s2, 1, v17
	s_and_b32 s0, s0, s1
	global_store_b32 v[8:9], v18, off
	s_and_b32 s0, s11, s0
	s_cmp_lt_i32 s7, s4
	v_cndmask_b32_e64 v21, 0xc61c4000, v5, s2
	v_cmp_ne_u32_e64 s2, 2, v17
	v_cndmask_b32_e64 v18, 4, v19, s0
	s_cselect_b32 s0, -1, 0
	global_store_b32 v[10:11], v18, off
	global_store_b32 v[12:13], v16, off
	v_add_nc_u32_e32 v16, s10, v16
	v_cndmask_b32_e64 v22, 0xc61c4000, v6, s2
	v_cmp_ne_u32_e64 s2, 3, v17
	v_cndmask_b32_e64 v5, v5, v21, s0
	v_cndmask_b32_e64 v4, v4, v20, s0
	v_cndmask_b32_e32 v15, v15, v23, vcc_lo
	v_cndmask_b32_e64 v6, v6, v22, s0
	v_cndmask_b32_e64 v17, 0xc61c4000, v7, s2
	s_cmp_eq_u32 s4, s7
	s_delay_alu instid0(VALU_DEP_1) | instskip(SKIP_1) | instid1(VALU_DEP_1)
	v_cndmask_b32_e64 v7, v7, v17, s0
	v_add_co_u32 v8, s0, v8, 4
	v_add_co_ci_u32_e64 v9, s0, 0, v9, s0
	v_add_co_u32 v10, s0, v10, 4
	s_delay_alu instid0(VALU_DEP_1) | instskip(SKIP_1) | instid1(VALU_DEP_1)
	v_add_co_ci_u32_e64 v11, s0, 0, v11, s0
	v_add_co_u32 v12, s0, v12, 4
	v_add_co_ci_u32_e64 v13, s0, 0, v13, s0
	s_cbranch_scc0 .LBB213_8
; %bb.9:
	s_and_b32 vcc_lo, exec_lo, vcc_lo
	s_cbranch_vccnz .LBB213_12
	s_branch .LBB213_15
.LBB213_10:
                                        ; implicit-def: $vgpr4_vgpr5_vgpr6_vgpr7
	s_and_not1_b32 vcc_lo, exec_lo, s12
	s_cbranch_vccz .LBB213_5
	s_branch .LBB213_6
.LBB213_11:
	v_mov_b32_e32 v15, 0
	s_and_b32 vcc_lo, exec_lo, vcc_lo
	s_cbranch_vccz .LBB213_15
.LBB213_12:
	s_and_not1_b32 vcc_lo, exec_lo, s3
	s_cbranch_vccnz .LBB213_15
; %bb.13:
	v_mul_lo_u32 v0, v14, s4
	v_cmp_lt_f32_e32 vcc_lo, 0, v15
	v_cndmask_b32_e32 v2, 1.0, v15, vcc_lo
	s_delay_alu instid0(VALU_DEP_3) | instskip(NEXT) | instid1(VALU_DEP_1)
	v_ashrrev_i32_e32 v1, 31, v0
	v_lshlrev_b64 v[0:1], 2, v[0:1]
	s_delay_alu instid0(VALU_DEP_1) | instskip(NEXT) | instid1(VALU_DEP_2)
	v_add_co_u32 v0, vcc_lo, s8, v0
	v_add_co_ci_u32_e32 v1, vcc_lo, s9, v1, vcc_lo
	.p2align	6
.LBB213_14:                             ; =>This Inner Loop Header: Depth=1
	global_load_b32 v3, v[0:1], off
	s_add_i32 s4, s4, -1
	s_delay_alu instid0(SALU_CYCLE_1) | instskip(SKIP_3) | instid1(VALU_DEP_2)
	s_cmp_lg_u32 s4, 0
	s_waitcnt vmcnt(0)
	v_div_scale_f32 v4, null, v2, v2, v3
	v_div_scale_f32 v7, vcc_lo, v3, v2, v3
	v_rcp_f32_e32 v5, v4
	s_waitcnt_depctr 0xfff
	v_fma_f32 v6, -v4, v5, 1.0
	s_delay_alu instid0(VALU_DEP_1) | instskip(NEXT) | instid1(VALU_DEP_1)
	v_fmac_f32_e32 v5, v6, v5
	v_mul_f32_e32 v6, v7, v5
	s_delay_alu instid0(VALU_DEP_1) | instskip(NEXT) | instid1(VALU_DEP_1)
	v_fma_f32 v8, -v4, v6, v7
	v_fmac_f32_e32 v6, v8, v5
	s_delay_alu instid0(VALU_DEP_1) | instskip(NEXT) | instid1(VALU_DEP_1)
	v_fma_f32 v4, -v4, v6, v7
	v_div_fmas_f32 v4, v4, v5, v6
	s_delay_alu instid0(VALU_DEP_1)
	v_div_fixup_f32 v3, v4, v2, v3
	global_store_b32 v[0:1], v3, off
	v_add_co_u32 v0, vcc_lo, v0, 4
	v_add_co_ci_u32_e32 v1, vcc_lo, 0, v1, vcc_lo
	s_cbranch_scc1 .LBB213_14
.LBB213_15:
	s_nop 0
	s_sendmsg sendmsg(MSG_DEALLOC_VGPRS)
	s_endpgm
	.section	.rodata,"a",@progbits
	.p2align	6, 0x0
	.amdhsa_kernel _ZN4vllm3moe10topkGatingILi4ELi4ELi4ELi16ELi64EjfLNS0_11ScoringFuncE1EEEvPKT5_PKbPfiPT4_PiiiibPKf
		.amdhsa_group_segment_fixed_size 0
		.amdhsa_private_segment_fixed_size 0
		.amdhsa_kernarg_size 72
		.amdhsa_user_sgpr_count 15
		.amdhsa_user_sgpr_dispatch_ptr 0
		.amdhsa_user_sgpr_queue_ptr 0
		.amdhsa_user_sgpr_kernarg_segment_ptr 1
		.amdhsa_user_sgpr_dispatch_id 0
		.amdhsa_user_sgpr_private_segment_size 0
		.amdhsa_wavefront_size32 1
		.amdhsa_uses_dynamic_stack 0
		.amdhsa_enable_private_segment 0
		.amdhsa_system_sgpr_workgroup_id_x 1
		.amdhsa_system_sgpr_workgroup_id_y 0
		.amdhsa_system_sgpr_workgroup_id_z 0
		.amdhsa_system_sgpr_workgroup_info 0
		.amdhsa_system_vgpr_workitem_id 1
		.amdhsa_next_free_vgpr 25
		.amdhsa_next_free_sgpr 16
		.amdhsa_reserve_vcc 1
		.amdhsa_float_round_mode_32 0
		.amdhsa_float_round_mode_16_64 0
		.amdhsa_float_denorm_mode_32 3
		.amdhsa_float_denorm_mode_16_64 3
		.amdhsa_dx10_clamp 1
		.amdhsa_ieee_mode 1
		.amdhsa_fp16_overflow 0
		.amdhsa_workgroup_processor_mode 1
		.amdhsa_memory_ordered 1
		.amdhsa_forward_progress 0
		.amdhsa_shared_vgpr_count 0
		.amdhsa_exception_fp_ieee_invalid_op 0
		.amdhsa_exception_fp_denorm_src 0
		.amdhsa_exception_fp_ieee_div_zero 0
		.amdhsa_exception_fp_ieee_overflow 0
		.amdhsa_exception_fp_ieee_underflow 0
		.amdhsa_exception_fp_ieee_inexact 0
		.amdhsa_exception_int_div_zero 0
	.end_amdhsa_kernel
	.section	.text._ZN4vllm3moe10topkGatingILi4ELi4ELi4ELi16ELi64EjfLNS0_11ScoringFuncE1EEEvPKT5_PKbPfiPT4_PiiiibPKf,"axG",@progbits,_ZN4vllm3moe10topkGatingILi4ELi4ELi4ELi16ELi64EjfLNS0_11ScoringFuncE1EEEvPKT5_PKbPfiPT4_PiiiibPKf,comdat
.Lfunc_end213:
	.size	_ZN4vllm3moe10topkGatingILi4ELi4ELi4ELi16ELi64EjfLNS0_11ScoringFuncE1EEEvPKT5_PKbPfiPT4_PiiiibPKf, .Lfunc_end213-_ZN4vllm3moe10topkGatingILi4ELi4ELi4ELi16ELi64EjfLNS0_11ScoringFuncE1EEEvPKT5_PKbPfiPT4_PiiiibPKf
                                        ; -- End function
	.section	.AMDGPU.csdata,"",@progbits
; Kernel info:
; codeLenInByte = 1528
; NumSgprs: 18
; NumVgprs: 25
; ScratchSize: 0
; MemoryBound: 0
; FloatMode: 240
; IeeeMode: 1
; LDSByteSize: 0 bytes/workgroup (compile time only)
; SGPRBlocks: 2
; VGPRBlocks: 3
; NumSGPRsForWavesPerEU: 18
; NumVGPRsForWavesPerEU: 25
; Occupancy: 16
; WaveLimiterHint : 0
; COMPUTE_PGM_RSRC2:SCRATCH_EN: 0
; COMPUTE_PGM_RSRC2:USER_SGPR: 15
; COMPUTE_PGM_RSRC2:TRAP_HANDLER: 0
; COMPUTE_PGM_RSRC2:TGID_X_EN: 1
; COMPUTE_PGM_RSRC2:TGID_Y_EN: 0
; COMPUTE_PGM_RSRC2:TGID_Z_EN: 0
; COMPUTE_PGM_RSRC2:TIDIG_COMP_CNT: 1
	.section	.text._ZN4vllm3moe10topkGatingILi4ELi4ELi4ELi16ELi32EjfLNS0_11ScoringFuncE1EEEvPKT5_PKbPfiPT4_PiiiibPKf,"axG",@progbits,_ZN4vllm3moe10topkGatingILi4ELi4ELi4ELi16ELi32EjfLNS0_11ScoringFuncE1EEEvPKT5_PKbPfiPT4_PiiiibPKf,comdat
	.protected	_ZN4vllm3moe10topkGatingILi4ELi4ELi4ELi16ELi32EjfLNS0_11ScoringFuncE1EEEvPKT5_PKbPfiPT4_PiiiibPKf ; -- Begin function _ZN4vllm3moe10topkGatingILi4ELi4ELi4ELi16ELi32EjfLNS0_11ScoringFuncE1EEEvPKT5_PKbPfiPT4_PiiiibPKf
	.globl	_ZN4vllm3moe10topkGatingILi4ELi4ELi4ELi16ELi32EjfLNS0_11ScoringFuncE1EEEvPKT5_PKbPfiPT4_PiiiibPKf
	.p2align	8
	.type	_ZN4vllm3moe10topkGatingILi4ELi4ELi4ELi16ELi32EjfLNS0_11ScoringFuncE1EEEvPKT5_PKbPfiPT4_PiiiibPKf,@function
_ZN4vllm3moe10topkGatingILi4ELi4ELi4ELi16ELi32EjfLNS0_11ScoringFuncE1EEEvPKT5_PKbPfiPT4_PiiiibPKf: ; @_ZN4vllm3moe10topkGatingILi4ELi4ELi4ELi16ELi32EjfLNS0_11ScoringFuncE1EEEvPKT5_PKbPfiPT4_PiiiibPKf
; %bb.0:
	s_load_b32 s10, s[0:1], 0x18
	v_bfe_u32 v1, v0, 10, 10
	v_and_b32_e32 v0, 0x3ff, v0
	s_lshl_b32 s2, s15, 7
	s_delay_alu instid0(VALU_DEP_2) | instskip(NEXT) | instid1(VALU_DEP_1)
	v_lshlrev_b32_e32 v1, 5, v1
	v_add3_u32 v14, v1, v0, s2
	s_mov_b32 s2, exec_lo
	s_waitcnt lgkmcnt(0)
	s_delay_alu instid0(VALU_DEP_1)
	v_cmpx_gt_i32_e64 s10, v14
	s_cbranch_execz .LBB214_15
; %bb.1:
	s_clause 0x1
	s_load_b128 s[4:7], s[0:1], 0x0
	s_load_b64 s[8:9], s[0:1], 0x10
	s_mov_b32 s12, -1
	s_mov_b32 s11, -1
	s_waitcnt lgkmcnt(0)
	s_cmp_eq_u64 s[6:7], 0
	s_cbranch_scc1 .LBB214_3
; %bb.2:
	v_ashrrev_i32_e32 v1, 31, v14
	v_add_co_u32 v0, vcc_lo, s6, v14
	s_delay_alu instid0(VALU_DEP_2) | instskip(SKIP_3) | instid1(VALU_DEP_1)
	v_add_co_ci_u32_e32 v1, vcc_lo, s7, v1, vcc_lo
	global_load_u8 v0, v[0:1], off
	s_waitcnt vmcnt(0)
	v_and_b32_e32 v0, 1, v0
	v_cmp_eq_u32_e32 vcc_lo, 1, v0
	s_xor_b32 s2, vcc_lo, -1
	s_delay_alu instid0(SALU_CYCLE_1)
	s_or_not1_b32 s11, s2, exec_lo
.LBB214_3:
	v_lshlrev_b32_e32 v0, 2, v14
	s_load_b64 s[6:7], s[0:1], 0x40
	s_delay_alu instid0(VALU_DEP_1) | instskip(NEXT) | instid1(VALU_DEP_1)
	v_ashrrev_i32_e32 v1, 31, v0
	v_lshlrev_b64 v[0:1], 2, v[0:1]
	s_delay_alu instid0(VALU_DEP_1) | instskip(NEXT) | instid1(VALU_DEP_2)
	v_add_co_u32 v0, vcc_lo, s4, v0
	v_add_co_ci_u32_e32 v1, vcc_lo, s5, v1, vcc_lo
	s_waitcnt lgkmcnt(0)
	s_cmp_eq_u64 s[6:7], 0
	global_load_b128 v[0:3], v[0:1], off
	s_waitcnt vmcnt(0)
	v_dual_mul_f32 v1, 0xbfb8aa3b, v1 :: v_dual_mul_f32 v0, 0xbfb8aa3b, v0
	v_mul_f32_e32 v3, 0xbfb8aa3b, v3
	s_delay_alu instid0(VALU_DEP_2) | instskip(SKIP_1) | instid1(VALU_DEP_3)
	v_exp_f32_e32 v1, v1
	v_mul_f32_e32 v2, 0xbfb8aa3b, v2
	v_exp_f32_e32 v0, v0
	s_delay_alu instid0(VALU_DEP_2) | instskip(NEXT) | instid1(TRANS32_DEP_3)
	v_exp_f32_e32 v3, v3
	v_add_f32_e32 v1, 1.0, v1
	s_delay_alu instid0(VALU_DEP_2) | instskip(SKIP_3) | instid1(VALU_DEP_2)
	v_exp_f32_e32 v2, v2
	s_waitcnt_depctr 0xfff
	v_dual_add_f32 v0, 1.0, v0 :: v_dual_add_f32 v3, 1.0, v3
	v_div_scale_f32 v5, null, v1, v1, 1.0
	v_div_scale_f32 v4, null, v0, v0, 1.0
	s_delay_alu instid0(VALU_DEP_3) | instskip(NEXT) | instid1(VALU_DEP_3)
	v_div_scale_f32 v7, null, v3, v3, 1.0
	v_rcp_f32_e32 v9, v5
	s_delay_alu instid0(VALU_DEP_2) | instskip(SKIP_1) | instid1(VALU_DEP_2)
	v_rcp_f32_e32 v8, v4
	v_div_scale_f32 v13, s2, 1.0, v1, 1.0
	v_rcp_f32_e32 v11, v7
	v_div_scale_f32 v12, vcc_lo, 1.0, v0, 1.0
	v_div_scale_f32 v20, s4, 1.0, v3, 1.0
	s_delay_alu instid0(TRANS32_DEP_3) | instskip(SKIP_1) | instid1(TRANS32_DEP_2)
	v_fma_f32 v17, -v5, v9, 1.0
	v_add_f32_e32 v2, 1.0, v2
	v_fma_f32 v16, -v4, v8, 1.0
	s_waitcnt_depctr 0xfff
	v_fma_f32 v19, -v7, v11, 1.0
	v_fmac_f32_e32 v9, v17, v9
	v_div_scale_f32 v6, null, v2, v2, 1.0
	s_delay_alu instid0(VALU_DEP_3) | instskip(SKIP_1) | instid1(VALU_DEP_3)
	v_dual_fmac_f32 v8, v16, v8 :: v_dual_fmac_f32 v11, v19, v11
	v_div_scale_f32 v15, s3, 1.0, v2, 1.0
	v_rcp_f32_e32 v10, v6
	v_mul_f32_e32 v17, v13, v9
	s_delay_alu instid0(VALU_DEP_3) | instskip(NEXT) | instid1(VALU_DEP_2)
	v_mul_f32_e32 v19, v20, v11
	v_fma_f32 v22, -v5, v17, v13
	v_mul_f32_e32 v16, v12, v8
	s_delay_alu instid0(VALU_DEP_3) | instskip(SKIP_4) | instid1(VALU_DEP_3)
	v_fma_f32 v24, -v7, v19, v20
	s_waitcnt_depctr 0xfff
	v_fma_f32 v18, -v6, v10, 1.0
	v_fmac_f32_e32 v17, v22, v9
	v_fma_f32 v21, -v4, v16, v12
	v_dual_fmac_f32 v19, v24, v11 :: v_dual_fmac_f32 v10, v18, v10
	s_delay_alu instid0(VALU_DEP_3) | instskip(NEXT) | instid1(VALU_DEP_3)
	v_fma_f32 v5, -v5, v17, v13
	v_fmac_f32_e32 v16, v21, v8
	s_delay_alu instid0(VALU_DEP_3) | instskip(NEXT) | instid1(VALU_DEP_4)
	v_fma_f32 v7, -v7, v19, v20
	v_mul_f32_e32 v18, v15, v10
	s_delay_alu instid0(VALU_DEP_3) | instskip(NEXT) | instid1(VALU_DEP_2)
	v_fma_f32 v4, -v4, v16, v12
	v_fma_f32 v23, -v6, v18, v15
	s_delay_alu instid0(VALU_DEP_2) | instskip(SKIP_3) | instid1(VALU_DEP_2)
	v_div_fmas_f32 v4, v4, v8, v16
	s_mov_b32 vcc_lo, s2
	v_div_fmas_f32 v5, v5, v9, v17
	s_mov_b32 vcc_lo, s3
	v_div_fixup_f32 v0, v4, v0, 1.0
	s_delay_alu instid0(VALU_DEP_2) | instskip(SKIP_1) | instid1(VALU_DEP_1)
	v_div_fixup_f32 v1, v5, v1, 1.0
	v_fmac_f32_e32 v18, v23, v10
	v_fma_f32 v6, -v6, v18, v15
	s_delay_alu instid0(VALU_DEP_1) | instskip(SKIP_3) | instid1(VALU_DEP_3)
	v_div_fmas_f32 v6, v6, v10, v18
	s_mov_b32 vcc_lo, s4
	v_div_fmas_f32 v4, v7, v11, v19
	v_cmp_class_f32_e64 vcc_lo, v0, 0x1f8
	v_div_fixup_f32 v2, v6, v2, 1.0
	s_delay_alu instid0(VALU_DEP_3)
	v_div_fixup_f32 v3, v4, v3, 1.0
	v_cndmask_b32_e32 v0, 0, v0, vcc_lo
	v_cmp_class_f32_e64 vcc_lo, v1, 0x1f8
	v_cndmask_b32_e32 v1, 0, v1, vcc_lo
	v_cmp_class_f32_e64 vcc_lo, v2, 0x1f8
	;; [unrolled: 2-line block ×3, first 2 shown]
	v_cndmask_b32_e32 v3, 0, v3, vcc_lo
	s_cbranch_scc1 .LBB214_10
; %bb.4:
	s_load_b128 s[4:7], s[6:7], 0x0
	s_waitcnt lgkmcnt(0)
	v_dual_add_f32 v4, s4, v0 :: v_dual_add_f32 v5, s5, v1
	v_dual_add_f32 v6, s6, v2 :: v_dual_add_f32 v7, s7, v3
	s_cbranch_execnz .LBB214_6
.LBB214_5:
	v_dual_mov_b32 v7, v3 :: v_dual_mov_b32 v6, v2
	v_dual_mov_b32 v5, v1 :: v_dual_mov_b32 v4, v0
.LBB214_6:
	s_load_b128 s[4:7], s[0:1], 0x30
	s_waitcnt lgkmcnt(0)
	s_bitcmp1_b32 s7, 0
	s_mov_b32 s7, 0
	s_cselect_b32 vcc_lo, -1, 0
	s_cmp_gt_i32 s4, 0
	s_cselect_b32 s3, -1, 0
	s_cmp_lt_i32 s4, 1
	s_cbranch_scc1 .LBB214_11
; %bb.7:
	v_mul_lo_u32 v8, v14, s4
	s_load_b128 s[12:15], s[0:1], 0x20
	v_dual_mov_b32 v15, 0 :: v_dual_mov_b32 v16, v14
	s_delay_alu instid0(VALU_DEP_2) | instskip(NEXT) | instid1(VALU_DEP_1)
	v_ashrrev_i32_e32 v9, 31, v8
	v_lshlrev_b64 v[12:13], 2, v[8:9]
	s_delay_alu instid0(VALU_DEP_1) | instskip(NEXT) | instid1(VALU_DEP_1)
	v_add_co_u32 v8, s0, s8, v12
	v_add_co_ci_u32_e64 v9, s0, s9, v13, s0
	s_waitcnt lgkmcnt(0)
	v_add_co_u32 v10, s0, s12, v12
	s_delay_alu instid0(VALU_DEP_1) | instskip(SKIP_1) | instid1(VALU_DEP_1)
	v_add_co_ci_u32_e64 v11, s0, s13, v13, s0
	v_add_co_u32 v12, s0, s14, v12
	v_add_co_ci_u32_e64 v13, s0, s15, v13, s0
.LBB214_8:                              ; =>This Inner Loop Header: Depth=1
	v_cmp_gt_f32_e64 s0, v5, v4
	s_add_i32 s7, s7, 1
	s_delay_alu instid0(VALU_DEP_1) | instskip(SKIP_2) | instid1(VALU_DEP_3)
	v_cndmask_b32_e64 v18, v4, v5, s0
	v_cndmask_b32_e64 v17, 0, 1, s0
	;; [unrolled: 1-line block ×3, first 2 shown]
	v_cmp_gt_f32_e64 s1, v6, v18
	s_delay_alu instid0(VALU_DEP_1) | instskip(NEXT) | instid1(VALU_DEP_4)
	v_cndmask_b32_e64 v18, v18, v6, s1
	v_cndmask_b32_e64 v17, v17, 2, s1
	s_delay_alu instid0(VALU_DEP_4) | instskip(NEXT) | instid1(VALU_DEP_3)
	v_cndmask_b32_e64 v19, v19, v2, s1
	v_cmp_gt_f32_e64 s0, v7, v18
	s_delay_alu instid0(VALU_DEP_1) | instskip(NEXT) | instid1(VALU_DEP_3)
	v_cndmask_b32_e64 v17, v17, 3, s0
	v_cndmask_b32_e64 v18, v19, v3, s0
	s_delay_alu instid0(VALU_DEP_2)
	v_cmp_ne_u32_e64 s2, 0, v17
	v_cmp_le_i32_e64 s0, s5, v17
	v_cmp_gt_i32_e64 s1, s6, v17
	v_subrev_nc_u32_e32 v19, s5, v17
	v_add_f32_e32 v23, v15, v18
	v_cndmask_b32_e64 v20, 0xc61c4000, v4, s2
	v_cmp_ne_u32_e64 s2, 1, v17
	s_and_b32 s0, s0, s1
	global_store_b32 v[8:9], v18, off
	s_and_b32 s0, s11, s0
	s_cmp_lt_i32 s7, s4
	v_cndmask_b32_e64 v21, 0xc61c4000, v5, s2
	v_cmp_ne_u32_e64 s2, 2, v17
	v_cndmask_b32_e64 v18, 4, v19, s0
	s_cselect_b32 s0, -1, 0
	global_store_b32 v[10:11], v18, off
	global_store_b32 v[12:13], v16, off
	v_add_nc_u32_e32 v16, s10, v16
	v_cndmask_b32_e64 v22, 0xc61c4000, v6, s2
	v_cmp_ne_u32_e64 s2, 3, v17
	v_cndmask_b32_e64 v5, v5, v21, s0
	v_cndmask_b32_e64 v4, v4, v20, s0
	v_cndmask_b32_e32 v15, v15, v23, vcc_lo
	v_cndmask_b32_e64 v6, v6, v22, s0
	v_cndmask_b32_e64 v17, 0xc61c4000, v7, s2
	s_cmp_eq_u32 s4, s7
	s_delay_alu instid0(VALU_DEP_1) | instskip(SKIP_1) | instid1(VALU_DEP_1)
	v_cndmask_b32_e64 v7, v7, v17, s0
	v_add_co_u32 v8, s0, v8, 4
	v_add_co_ci_u32_e64 v9, s0, 0, v9, s0
	v_add_co_u32 v10, s0, v10, 4
	s_delay_alu instid0(VALU_DEP_1) | instskip(SKIP_1) | instid1(VALU_DEP_1)
	v_add_co_ci_u32_e64 v11, s0, 0, v11, s0
	v_add_co_u32 v12, s0, v12, 4
	v_add_co_ci_u32_e64 v13, s0, 0, v13, s0
	s_cbranch_scc0 .LBB214_8
; %bb.9:
	s_and_b32 vcc_lo, exec_lo, vcc_lo
	s_cbranch_vccnz .LBB214_12
	s_branch .LBB214_15
.LBB214_10:
                                        ; implicit-def: $vgpr4_vgpr5_vgpr6_vgpr7
	s_and_not1_b32 vcc_lo, exec_lo, s12
	s_cbranch_vccz .LBB214_5
	s_branch .LBB214_6
.LBB214_11:
	v_mov_b32_e32 v15, 0
	s_and_b32 vcc_lo, exec_lo, vcc_lo
	s_cbranch_vccz .LBB214_15
.LBB214_12:
	s_and_not1_b32 vcc_lo, exec_lo, s3
	s_cbranch_vccnz .LBB214_15
; %bb.13:
	v_mul_lo_u32 v0, v14, s4
	v_cmp_lt_f32_e32 vcc_lo, 0, v15
	v_cndmask_b32_e32 v2, 1.0, v15, vcc_lo
	s_delay_alu instid0(VALU_DEP_3) | instskip(NEXT) | instid1(VALU_DEP_1)
	v_ashrrev_i32_e32 v1, 31, v0
	v_lshlrev_b64 v[0:1], 2, v[0:1]
	s_delay_alu instid0(VALU_DEP_1) | instskip(NEXT) | instid1(VALU_DEP_2)
	v_add_co_u32 v0, vcc_lo, s8, v0
	v_add_co_ci_u32_e32 v1, vcc_lo, s9, v1, vcc_lo
	.p2align	6
.LBB214_14:                             ; =>This Inner Loop Header: Depth=1
	global_load_b32 v3, v[0:1], off
	s_add_i32 s4, s4, -1
	s_delay_alu instid0(SALU_CYCLE_1) | instskip(SKIP_3) | instid1(VALU_DEP_2)
	s_cmp_lg_u32 s4, 0
	s_waitcnt vmcnt(0)
	v_div_scale_f32 v4, null, v2, v2, v3
	v_div_scale_f32 v7, vcc_lo, v3, v2, v3
	v_rcp_f32_e32 v5, v4
	s_waitcnt_depctr 0xfff
	v_fma_f32 v6, -v4, v5, 1.0
	s_delay_alu instid0(VALU_DEP_1) | instskip(NEXT) | instid1(VALU_DEP_1)
	v_fmac_f32_e32 v5, v6, v5
	v_mul_f32_e32 v6, v7, v5
	s_delay_alu instid0(VALU_DEP_1) | instskip(NEXT) | instid1(VALU_DEP_1)
	v_fma_f32 v8, -v4, v6, v7
	v_fmac_f32_e32 v6, v8, v5
	s_delay_alu instid0(VALU_DEP_1) | instskip(NEXT) | instid1(VALU_DEP_1)
	v_fma_f32 v4, -v4, v6, v7
	v_div_fmas_f32 v4, v4, v5, v6
	s_delay_alu instid0(VALU_DEP_1)
	v_div_fixup_f32 v3, v4, v2, v3
	global_store_b32 v[0:1], v3, off
	v_add_co_u32 v0, vcc_lo, v0, 4
	v_add_co_ci_u32_e32 v1, vcc_lo, 0, v1, vcc_lo
	s_cbranch_scc1 .LBB214_14
.LBB214_15:
	s_nop 0
	s_sendmsg sendmsg(MSG_DEALLOC_VGPRS)
	s_endpgm
	.section	.rodata,"a",@progbits
	.p2align	6, 0x0
	.amdhsa_kernel _ZN4vllm3moe10topkGatingILi4ELi4ELi4ELi16ELi32EjfLNS0_11ScoringFuncE1EEEvPKT5_PKbPfiPT4_PiiiibPKf
		.amdhsa_group_segment_fixed_size 0
		.amdhsa_private_segment_fixed_size 0
		.amdhsa_kernarg_size 72
		.amdhsa_user_sgpr_count 15
		.amdhsa_user_sgpr_dispatch_ptr 0
		.amdhsa_user_sgpr_queue_ptr 0
		.amdhsa_user_sgpr_kernarg_segment_ptr 1
		.amdhsa_user_sgpr_dispatch_id 0
		.amdhsa_user_sgpr_private_segment_size 0
		.amdhsa_wavefront_size32 1
		.amdhsa_uses_dynamic_stack 0
		.amdhsa_enable_private_segment 0
		.amdhsa_system_sgpr_workgroup_id_x 1
		.amdhsa_system_sgpr_workgroup_id_y 0
		.amdhsa_system_sgpr_workgroup_id_z 0
		.amdhsa_system_sgpr_workgroup_info 0
		.amdhsa_system_vgpr_workitem_id 1
		.amdhsa_next_free_vgpr 25
		.amdhsa_next_free_sgpr 16
		.amdhsa_reserve_vcc 1
		.amdhsa_float_round_mode_32 0
		.amdhsa_float_round_mode_16_64 0
		.amdhsa_float_denorm_mode_32 3
		.amdhsa_float_denorm_mode_16_64 3
		.amdhsa_dx10_clamp 1
		.amdhsa_ieee_mode 1
		.amdhsa_fp16_overflow 0
		.amdhsa_workgroup_processor_mode 1
		.amdhsa_memory_ordered 1
		.amdhsa_forward_progress 0
		.amdhsa_shared_vgpr_count 0
		.amdhsa_exception_fp_ieee_invalid_op 0
		.amdhsa_exception_fp_denorm_src 0
		.amdhsa_exception_fp_ieee_div_zero 0
		.amdhsa_exception_fp_ieee_overflow 0
		.amdhsa_exception_fp_ieee_underflow 0
		.amdhsa_exception_fp_ieee_inexact 0
		.amdhsa_exception_int_div_zero 0
	.end_amdhsa_kernel
	.section	.text._ZN4vllm3moe10topkGatingILi4ELi4ELi4ELi16ELi32EjfLNS0_11ScoringFuncE1EEEvPKT5_PKbPfiPT4_PiiiibPKf,"axG",@progbits,_ZN4vllm3moe10topkGatingILi4ELi4ELi4ELi16ELi32EjfLNS0_11ScoringFuncE1EEEvPKT5_PKbPfiPT4_PiiiibPKf,comdat
.Lfunc_end214:
	.size	_ZN4vllm3moe10topkGatingILi4ELi4ELi4ELi16ELi32EjfLNS0_11ScoringFuncE1EEEvPKT5_PKbPfiPT4_PiiiibPKf, .Lfunc_end214-_ZN4vllm3moe10topkGatingILi4ELi4ELi4ELi16ELi32EjfLNS0_11ScoringFuncE1EEEvPKT5_PKbPfiPT4_PiiiibPKf
                                        ; -- End function
	.section	.AMDGPU.csdata,"",@progbits
; Kernel info:
; codeLenInByte = 1528
; NumSgprs: 18
; NumVgprs: 25
; ScratchSize: 0
; MemoryBound: 0
; FloatMode: 240
; IeeeMode: 1
; LDSByteSize: 0 bytes/workgroup (compile time only)
; SGPRBlocks: 2
; VGPRBlocks: 3
; NumSGPRsForWavesPerEU: 18
; NumVGPRsForWavesPerEU: 25
; Occupancy: 16
; WaveLimiterHint : 0
; COMPUTE_PGM_RSRC2:SCRATCH_EN: 0
; COMPUTE_PGM_RSRC2:USER_SGPR: 15
; COMPUTE_PGM_RSRC2:TRAP_HANDLER: 0
; COMPUTE_PGM_RSRC2:TGID_X_EN: 1
; COMPUTE_PGM_RSRC2:TGID_Y_EN: 0
; COMPUTE_PGM_RSRC2:TGID_Z_EN: 0
; COMPUTE_PGM_RSRC2:TIDIG_COMP_CNT: 1
	.section	.text._ZN4vllm3moe10topkGatingILi4ELi8ELi4ELi16ELi64EjfLNS0_11ScoringFuncE1EEEvPKT5_PKbPfiPT4_PiiiibPKf,"axG",@progbits,_ZN4vllm3moe10topkGatingILi4ELi8ELi4ELi16ELi64EjfLNS0_11ScoringFuncE1EEEvPKT5_PKbPfiPT4_PiiiibPKf,comdat
	.protected	_ZN4vllm3moe10topkGatingILi4ELi8ELi4ELi16ELi64EjfLNS0_11ScoringFuncE1EEEvPKT5_PKbPfiPT4_PiiiibPKf ; -- Begin function _ZN4vllm3moe10topkGatingILi4ELi8ELi4ELi16ELi64EjfLNS0_11ScoringFuncE1EEEvPKT5_PKbPfiPT4_PiiiibPKf
	.globl	_ZN4vllm3moe10topkGatingILi4ELi8ELi4ELi16ELi64EjfLNS0_11ScoringFuncE1EEEvPKT5_PKbPfiPT4_PiiiibPKf
	.p2align	8
	.type	_ZN4vllm3moe10topkGatingILi4ELi8ELi4ELi16ELi64EjfLNS0_11ScoringFuncE1EEEvPKT5_PKbPfiPT4_PiiiibPKf,@function
_ZN4vllm3moe10topkGatingILi4ELi8ELi4ELi16ELi64EjfLNS0_11ScoringFuncE1EEEvPKT5_PKbPfiPT4_PiiiibPKf: ; @_ZN4vllm3moe10topkGatingILi4ELi8ELi4ELi16ELi64EjfLNS0_11ScoringFuncE1EEEvPKT5_PKbPfiPT4_PiiiibPKf
; %bb.0:
	s_load_b32 s14, s[0:1], 0x18
	v_bfe_u32 v1, v0, 10, 10
	v_and_b32_e32 v0, 0x3ff, v0
	s_lshl_b32 s2, s15, 7
	s_delay_alu instid0(VALU_DEP_2) | instskip(NEXT) | instid1(VALU_DEP_2)
	v_lshlrev_b32_e32 v1, 5, v1
	v_lshrrev_b32_e32 v2, 1, v0
	s_delay_alu instid0(VALU_DEP_1) | instskip(SKIP_2) | instid1(VALU_DEP_1)
	v_add3_u32 v8, s2, v1, v2
	s_mov_b32 s2, exec_lo
	s_waitcnt lgkmcnt(0)
	v_cmpx_gt_i32_e64 s14, v8
	s_cbranch_execz .LBB215_25
; %bb.1:
	s_clause 0x1
	s_load_b128 s[4:7], s[0:1], 0x0
	s_load_b64 s[12:13], s[0:1], 0x10
	s_mov_b32 s8, -1
	s_mov_b32 s15, -1
	s_waitcnt lgkmcnt(0)
	s_cmp_eq_u64 s[6:7], 0
	s_cbranch_scc1 .LBB215_3
; %bb.2:
	v_ashrrev_i32_e32 v2, 31, v8
	v_add_co_u32 v1, vcc_lo, s6, v8
	s_delay_alu instid0(VALU_DEP_2) | instskip(SKIP_3) | instid1(VALU_DEP_1)
	v_add_co_ci_u32_e32 v2, vcc_lo, s7, v2, vcc_lo
	global_load_u8 v1, v[1:2], off
	s_waitcnt vmcnt(0)
	v_and_b32_e32 v1, 1, v1
	v_cmp_eq_u32_e32 vcc_lo, 1, v1
	s_xor_b32 s2, vcc_lo, -1
	s_delay_alu instid0(SALU_CYCLE_1)
	s_or_not1_b32 s15, s2, exec_lo
.LBB215_3:
	v_lshlrev_b32_e32 v1, 3, v8
	v_and_b32_e32 v9, 1, v0
	s_load_b64 s[6:7], s[0:1], 0x40
	s_delay_alu instid0(VALU_DEP_2) | instskip(NEXT) | instid1(VALU_DEP_1)
	v_ashrrev_i32_e32 v2, 31, v1
	v_lshlrev_b64 v[0:1], 2, v[1:2]
	s_delay_alu instid0(VALU_DEP_3) | instskip(NEXT) | instid1(VALU_DEP_2)
	v_lshlrev_b32_e32 v2, 4, v9
	v_add_co_u32 v0, vcc_lo, s4, v0
	s_delay_alu instid0(VALU_DEP_3) | instskip(NEXT) | instid1(VALU_DEP_2)
	v_add_co_ci_u32_e32 v1, vcc_lo, s5, v1, vcc_lo
	v_add_co_u32 v0, vcc_lo, v0, v2
	s_delay_alu instid0(VALU_DEP_2)
	v_add_co_ci_u32_e32 v1, vcc_lo, 0, v1, vcc_lo
	s_waitcnt lgkmcnt(0)
	s_cmp_eq_u64 s[6:7], 0
	global_load_b128 v[0:3], v[0:1], off
	s_waitcnt vmcnt(0)
	v_dual_mul_f32 v3, 0xbfb8aa3b, v3 :: v_dual_mul_f32 v0, 0xbfb8aa3b, v0
	v_dual_mul_f32 v1, 0xbfb8aa3b, v1 :: v_dual_mul_f32 v2, 0xbfb8aa3b, v2
	s_delay_alu instid0(VALU_DEP_2) | instskip(NEXT) | instid1(VALU_DEP_2)
	v_exp_f32_e32 v3, v3
	v_exp_f32_e32 v0, v0
	s_delay_alu instid0(VALU_DEP_1) | instskip(NEXT) | instid1(VALU_DEP_1)
	v_exp_f32_e32 v1, v1
	v_exp_f32_e32 v2, v2
	s_waitcnt_depctr 0xfff
	v_dual_add_f32 v0, 1.0, v0 :: v_dual_add_f32 v1, 1.0, v1
	v_add_f32_e32 v2, 1.0, v2
	s_delay_alu instid0(VALU_DEP_2) | instskip(NEXT) | instid1(VALU_DEP_3)
	v_div_scale_f32 v4, null, v0, v0, 1.0
	v_div_scale_f32 v5, null, v1, v1, 1.0
	s_delay_alu instid0(VALU_DEP_3) | instskip(NEXT) | instid1(VALU_DEP_3)
	v_div_scale_f32 v6, null, v2, v2, 1.0
	v_rcp_f32_e32 v11, v4
	s_delay_alu instid0(VALU_DEP_2) | instskip(SKIP_1) | instid1(VALU_DEP_2)
	v_rcp_f32_e32 v12, v5
	v_div_scale_f32 v15, vcc_lo, 1.0, v0, 1.0
	v_rcp_f32_e32 v13, v6
	v_div_scale_f32 v16, s2, 1.0, v1, 1.0
	v_div_scale_f32 v17, s3, 1.0, v2, 1.0
	s_delay_alu instid0(TRANS32_DEP_3) | instskip(SKIP_4) | instid1(VALU_DEP_3)
	v_fma_f32 v10, -v4, v11, 1.0
	s_waitcnt_depctr 0xfff
	v_fma_f32 v18, -v5, v12, 1.0
	v_add_f32_e32 v3, 1.0, v3
	v_fma_f32 v19, -v6, v13, 1.0
	v_fmac_f32_e32 v12, v18, v12
	s_delay_alu instid0(VALU_DEP_3) | instskip(SKIP_1) | instid1(VALU_DEP_2)
	v_div_scale_f32 v7, null, v3, v3, 1.0
	v_div_scale_f32 v21, s4, 1.0, v3, 1.0
	v_rcp_f32_e32 v14, v7
	s_waitcnt_depctr 0xfff
	v_fma_f32 v20, -v7, v14, 1.0
	s_delay_alu instid0(VALU_DEP_1) | instskip(NEXT) | instid1(VALU_DEP_1)
	v_dual_fmac_f32 v11, v10, v11 :: v_dual_fmac_f32 v14, v20, v14
	v_mul_f32_e32 v18, v15, v11
	v_fmac_f32_e32 v13, v19, v13
	s_delay_alu instid0(VALU_DEP_3) | instskip(NEXT) | instid1(VALU_DEP_3)
	v_dual_mul_f32 v19, v16, v12 :: v_dual_mul_f32 v22, v21, v14
	v_fma_f32 v10, -v4, v18, v15
	s_delay_alu instid0(VALU_DEP_2) | instskip(NEXT) | instid1(VALU_DEP_4)
	v_fma_f32 v23, -v5, v19, v16
	v_mul_f32_e32 v20, v17, v13
	s_delay_alu instid0(VALU_DEP_4) | instskip(NEXT) | instid1(VALU_DEP_4)
	v_fma_f32 v25, -v7, v22, v21
	v_fmac_f32_e32 v18, v10, v11
	s_delay_alu instid0(VALU_DEP_4) | instskip(NEXT) | instid1(VALU_DEP_4)
	v_dual_fmac_f32 v19, v23, v12 :: v_dual_lshlrev_b32 v10, 2, v9
	v_fma_f32 v24, -v6, v20, v17
	s_delay_alu instid0(VALU_DEP_4) | instskip(NEXT) | instid1(VALU_DEP_4)
	v_fmac_f32_e32 v22, v25, v14
	v_fma_f32 v4, -v4, v18, v15
	s_delay_alu instid0(VALU_DEP_4) | instskip(NEXT) | instid1(VALU_DEP_4)
	v_fma_f32 v5, -v5, v19, v16
	v_fmac_f32_e32 v20, v24, v13
	s_delay_alu instid0(VALU_DEP_4) | instskip(NEXT) | instid1(VALU_DEP_4)
	v_fma_f32 v7, -v7, v22, v21
	v_div_fmas_f32 v4, v4, v11, v18
	s_mov_b32 vcc_lo, s2
	s_delay_alu instid0(VALU_DEP_3) | instskip(SKIP_1) | instid1(VALU_DEP_3)
	v_fma_f32 v6, -v6, v20, v17
	v_div_fmas_f32 v5, v5, v12, v19
	v_div_fixup_f32 v0, v4, v0, 1.0
	s_mov_b32 vcc_lo, s3
	s_delay_alu instid0(VALU_DEP_3)
	v_div_fmas_f32 v6, v6, v13, v20
	s_mov_b32 vcc_lo, s4
	v_div_fixup_f32 v1, v5, v1, 1.0
	v_div_fmas_f32 v4, v7, v14, v22
	v_cmp_class_f32_e64 vcc_lo, v0, 0x1f8
	v_div_fixup_f32 v2, v6, v2, 1.0
	s_delay_alu instid0(VALU_DEP_3)
	v_div_fixup_f32 v3, v4, v3, 1.0
	v_cndmask_b32_e32 v0, 0, v0, vcc_lo
	v_cmp_class_f32_e64 vcc_lo, v1, 0x1f8
	v_cndmask_b32_e32 v1, 0, v1, vcc_lo
	v_cmp_class_f32_e64 vcc_lo, v2, 0x1f8
	v_cndmask_b32_e32 v2, 0, v2, vcc_lo
	v_cmp_class_f32_e64 vcc_lo, v3, 0x1f8
	v_cndmask_b32_e32 v3, 0, v3, vcc_lo
	s_cbranch_scc1 .LBB215_19
; %bb.4:
	v_lshlrev_b32_e32 v4, 2, v10
	global_load_b128 v[4:7], v4, s[6:7]
	s_waitcnt vmcnt(0)
	v_dual_add_f32 v5, v5, v1 :: v_dual_add_f32 v4, v4, v0
	v_dual_add_f32 v7, v7, v3 :: v_dual_add_f32 v6, v6, v2
	s_cbranch_execnz .LBB215_6
.LBB215_5:
	v_dual_mov_b32 v7, v3 :: v_dual_mov_b32 v6, v2
	v_dual_mov_b32 v5, v1 :: v_dual_mov_b32 v4, v0
.LBB215_6:
	s_load_b128 s[4:7], s[0:1], 0x30
	v_cmp_eq_u32_e64 s2, 0, v9
	s_waitcnt lgkmcnt(0)
	s_bitcmp1_b32 s7, 0
	s_mov_b32 s7, 0
	s_cselect_b32 vcc_lo, -1, 0
	s_cmp_gt_i32 s4, 0
	s_cselect_b32 s3, -1, 0
	s_cmp_lt_i32 s4, 1
	s_cbranch_scc1 .LBB215_20
; %bb.7:
	v_mbcnt_lo_u32_b32 v11, -1, 0
	s_load_b128 s[8:11], s[0:1], 0x20
	v_mov_b32_e32 v14, v8
	s_delay_alu instid0(VALU_DEP_2) | instskip(SKIP_1) | instid1(VALU_DEP_2)
	v_and_b32_e32 v12, 30, v11
	v_xor_b32_e32 v13, 1, v11
	v_add_nc_u32_e32 v12, 2, v12
	s_delay_alu instid0(VALU_DEP_1) | instskip(SKIP_1) | instid1(VALU_DEP_2)
	v_cmp_lt_i32_e64 s0, v13, v12
	v_mul_lo_u32 v12, v8, s4
	v_cndmask_b32_e64 v13, v11, v13, s0
	v_mov_b32_e32 v11, 0
	s_delay_alu instid0(VALU_DEP_2)
	v_lshlrev_b32_e32 v13, 2, v13
	s_branch .LBB215_10
.LBB215_8:                              ;   in Loop: Header=BB215_10 Depth=1
	s_or_b32 exec_lo, exec_lo, s1
.LBB215_9:                              ;   in Loop: Header=BB215_10 Depth=1
	v_add_nc_u32_e32 v14, s14, v14
	s_cmp_eq_u32 s4, s7
	s_cbranch_scc1 .LBB215_21
.LBB215_10:                             ; =>This Inner Loop Header: Depth=1
	v_cmp_gt_f32_e64 s0, v5, v4
	s_mov_b32 s17, exec_lo
	s_delay_alu instid0(VALU_DEP_1) | instskip(SKIP_2) | instid1(VALU_DEP_3)
	v_cndmask_b32_e64 v16, v4, v5, s0
	v_cndmask_b32_e64 v15, 0, 1, s0
	;; [unrolled: 1-line block ×3, first 2 shown]
	v_cmp_gt_f32_e64 s1, v6, v16
	s_delay_alu instid0(VALU_DEP_1) | instskip(NEXT) | instid1(VALU_DEP_4)
	v_cndmask_b32_e64 v16, v16, v6, s1
	v_cndmask_b32_e64 v15, v15, 2, s1
	s_delay_alu instid0(VALU_DEP_4) | instskip(NEXT) | instid1(VALU_DEP_3)
	v_cndmask_b32_e64 v17, v17, v2, s1
	v_cmp_gt_f32_e64 s0, v7, v16
	s_delay_alu instid0(VALU_DEP_1) | instskip(SKIP_1) | instid1(VALU_DEP_4)
	v_cndmask_b32_e64 v15, v15, 3, s0
	v_cndmask_b32_e64 v19, v16, v7, s0
	;; [unrolled: 1-line block ×3, first 2 shown]
	s_delay_alu instid0(VALU_DEP_3)
	v_or_b32_e32 v15, v10, v15
	ds_bpermute_b32 v20, v13, v19
	ds_bpermute_b32 v17, v13, v16
	;; [unrolled: 1-line block ×3, first 2 shown]
	s_waitcnt lgkmcnt(0)
	v_cmp_lt_f32_e64 s16, v19, v20
	v_cmpx_nlt_f32_e32 v19, v20
	s_cbranch_execnz .LBB215_14
; %bb.11:                               ;   in Loop: Header=BB215_10 Depth=1
	s_or_b32 exec_lo, exec_lo, s17
	s_delay_alu instid0(VALU_DEP_2)
	s_and_saveexec_b32 s0, s16
	s_cbranch_execnz .LBB215_15
.LBB215_12:                             ;   in Loop: Header=BB215_10 Depth=1
	s_or_b32 exec_lo, exec_lo, s0
	s_and_saveexec_b32 s16, s2
	s_cbranch_execnz .LBB215_16
.LBB215_13:                             ;   in Loop: Header=BB215_10 Depth=1
	s_or_b32 exec_lo, exec_lo, s16
	s_add_i32 s7, s7, 1
	s_delay_alu instid0(SALU_CYCLE_1)
	s_cmp_ge_i32 s7, s4
	s_cbranch_scc1 .LBB215_9
	s_branch .LBB215_17
.LBB215_14:                             ;   in Loop: Header=BB215_10 Depth=1
	v_cmp_eq_f32_e64 s0, v19, v20
	v_cmp_lt_i32_e64 s1, v18, v15
	s_delay_alu instid0(VALU_DEP_1) | instskip(SKIP_2) | instid1(SALU_CYCLE_1)
	s_and_b32 s0, s0, s1
	s_and_not1_b32 s1, s16, exec_lo
	s_and_b32 s0, s0, exec_lo
	s_or_b32 s16, s1, s0
	s_or_b32 exec_lo, exec_lo, s17
	s_and_saveexec_b32 s0, s16
	s_cbranch_execz .LBB215_12
.LBB215_15:                             ;   in Loop: Header=BB215_10 Depth=1
	v_dual_mov_b32 v15, v18 :: v_dual_mov_b32 v16, v17
	s_or_b32 exec_lo, exec_lo, s0
	s_and_saveexec_b32 s16, s2
	s_cbranch_execz .LBB215_13
.LBB215_16:                             ;   in Loop: Header=BB215_10 Depth=1
	v_add_nc_u32_e32 v17, s7, v12
	v_cmp_le_i32_e64 s0, s5, v15
	v_cmp_gt_i32_e64 s1, s6, v15
	v_subrev_nc_u32_e32 v19, s5, v15
	v_add_f32_e32 v24, v11, v16
	v_ashrrev_i32_e32 v18, 31, v17
	s_delay_alu instid0(VALU_DEP_4) | instskip(NEXT) | instid1(SALU_CYCLE_1)
	s_and_b32 s0, s0, s1
	s_and_b32 s0, s15, s0
	s_delay_alu instid0(VALU_DEP_1) | instskip(SKIP_2) | instid1(VALU_DEP_3)
	v_lshlrev_b64 v[17:18], 2, v[17:18]
	v_cndmask_b32_e64 v23, 8, v19, s0
	v_cndmask_b32_e32 v11, v11, v24, vcc_lo
	v_add_co_u32 v19, s0, s12, v17
	s_delay_alu instid0(VALU_DEP_1) | instskip(SKIP_1) | instid1(VALU_DEP_1)
	v_add_co_ci_u32_e64 v20, s0, s13, v18, s0
	v_add_co_u32 v21, s0, s8, v17
	v_add_co_ci_u32_e64 v22, s0, s9, v18, s0
	v_add_co_u32 v17, s0, s10, v17
	s_delay_alu instid0(VALU_DEP_1)
	v_add_co_ci_u32_e64 v18, s0, s11, v18, s0
	global_store_b32 v[19:20], v16, off
	global_store_b32 v[21:22], v23, off
	;; [unrolled: 1-line block ×3, first 2 shown]
	s_or_b32 exec_lo, exec_lo, s16
	s_add_i32 s7, s7, 1
	s_delay_alu instid0(SALU_CYCLE_1)
	s_cmp_ge_i32 s7, s4
	s_cbranch_scc1 .LBB215_9
.LBB215_17:                             ;   in Loop: Header=BB215_10 Depth=1
	v_ashrrev_i32_e32 v17, 31, v15
	s_mov_b32 s1, exec_lo
	s_delay_alu instid0(VALU_DEP_1) | instskip(NEXT) | instid1(VALU_DEP_1)
	v_lshrrev_b32_e32 v16, 30, v17
	v_add_nc_u32_e32 v18, v15, v16
	s_delay_alu instid0(VALU_DEP_1) | instskip(SKIP_1) | instid1(VALU_DEP_1)
	v_ashrrev_i32_e32 v16, 2, v18
	v_lshrrev_b32_e32 v18, 31, v18
	v_add_nc_u32_e32 v18, v16, v18
	s_delay_alu instid0(VALU_DEP_1) | instskip(NEXT) | instid1(VALU_DEP_1)
	v_and_b32_e32 v18, -2, v18
	v_sub_nc_u32_e32 v18, v16, v18
	s_delay_alu instid0(VALU_DEP_1)
	v_cmpx_eq_u32_e64 v9, v18
	s_cbranch_execz .LBB215_8
; %bb.18:                               ;   in Loop: Header=BB215_10 Depth=1
	v_lshrrev_b32_e32 v17, 29, v17
	v_lshlrev_b32_e32 v16, 2, v16
	s_delay_alu instid0(VALU_DEP_2) | instskip(NEXT) | instid1(VALU_DEP_2)
	v_add_nc_u32_e32 v17, v15, v17
	v_sub_nc_u32_e32 v15, v15, v16
	s_delay_alu instid0(VALU_DEP_2) | instskip(NEXT) | instid1(VALU_DEP_1)
	v_ashrrev_i32_e32 v16, 3, v17
	v_lshl_add_u32 v15, v16, 2, v15
	s_delay_alu instid0(VALU_DEP_1) | instskip(NEXT) | instid1(VALU_DEP_1)
	v_cmp_ne_u32_e64 s0, 3, v15
	v_cndmask_b32_e64 v7, 0xc61c4000, v7, s0
	v_cmp_ne_u32_e64 s0, 2, v15
	s_delay_alu instid0(VALU_DEP_1) | instskip(SKIP_1) | instid1(VALU_DEP_1)
	v_cndmask_b32_e64 v6, 0xc61c4000, v6, s0
	v_cmp_ne_u32_e64 s0, 1, v15
	v_cndmask_b32_e64 v5, 0xc61c4000, v5, s0
	v_cmp_ne_u32_e64 s0, 0, v15
	s_delay_alu instid0(VALU_DEP_1)
	v_cndmask_b32_e64 v4, 0xc61c4000, v4, s0
	s_branch .LBB215_8
.LBB215_19:
                                        ; implicit-def: $vgpr4_vgpr5_vgpr6_vgpr7
	s_and_not1_b32 vcc_lo, exec_lo, s8
	s_cbranch_vccz .LBB215_5
	s_branch .LBB215_6
.LBB215_20:
	v_mov_b32_e32 v11, 0
.LBB215_21:
	v_cmp_eq_u32_e64 s0, 0, v9
	s_delay_alu instid0(VALU_DEP_1) | instskip(NEXT) | instid1(SALU_CYCLE_1)
	s_and_b32 s0, s0, vcc_lo
	s_and_b32 exec_lo, exec_lo, s0
	s_cbranch_execz .LBB215_25
; %bb.22:
	s_and_not1_b32 vcc_lo, exec_lo, s3
	s_cbranch_vccnz .LBB215_25
; %bb.23:
	v_mul_lo_u32 v0, v8, s4
	v_cmp_lt_f32_e32 vcc_lo, 0, v11
	v_cndmask_b32_e32 v2, 1.0, v11, vcc_lo
	s_delay_alu instid0(VALU_DEP_3) | instskip(NEXT) | instid1(VALU_DEP_1)
	v_ashrrev_i32_e32 v1, 31, v0
	v_lshlrev_b64 v[0:1], 2, v[0:1]
	s_delay_alu instid0(VALU_DEP_1) | instskip(NEXT) | instid1(VALU_DEP_2)
	v_add_co_u32 v0, vcc_lo, s12, v0
	v_add_co_ci_u32_e32 v1, vcc_lo, s13, v1, vcc_lo
	.p2align	6
.LBB215_24:                             ; =>This Inner Loop Header: Depth=1
	global_load_b32 v3, v[0:1], off
	s_add_i32 s4, s4, -1
	s_delay_alu instid0(SALU_CYCLE_1) | instskip(SKIP_3) | instid1(VALU_DEP_2)
	s_cmp_lg_u32 s4, 0
	s_waitcnt vmcnt(0)
	v_div_scale_f32 v4, null, v2, v2, v3
	v_div_scale_f32 v7, vcc_lo, v3, v2, v3
	v_rcp_f32_e32 v5, v4
	s_waitcnt_depctr 0xfff
	v_fma_f32 v6, -v4, v5, 1.0
	s_delay_alu instid0(VALU_DEP_1) | instskip(NEXT) | instid1(VALU_DEP_1)
	v_fmac_f32_e32 v5, v6, v5
	v_mul_f32_e32 v6, v7, v5
	s_delay_alu instid0(VALU_DEP_1) | instskip(NEXT) | instid1(VALU_DEP_1)
	v_fma_f32 v8, -v4, v6, v7
	v_fmac_f32_e32 v6, v8, v5
	s_delay_alu instid0(VALU_DEP_1) | instskip(NEXT) | instid1(VALU_DEP_1)
	v_fma_f32 v4, -v4, v6, v7
	v_div_fmas_f32 v4, v4, v5, v6
	s_delay_alu instid0(VALU_DEP_1)
	v_div_fixup_f32 v3, v4, v2, v3
	global_store_b32 v[0:1], v3, off
	v_add_co_u32 v0, vcc_lo, v0, 4
	v_add_co_ci_u32_e32 v1, vcc_lo, 0, v1, vcc_lo
	s_cbranch_scc1 .LBB215_24
.LBB215_25:
	s_nop 0
	s_sendmsg sendmsg(MSG_DEALLOC_VGPRS)
	s_endpgm
	.section	.rodata,"a",@progbits
	.p2align	6, 0x0
	.amdhsa_kernel _ZN4vllm3moe10topkGatingILi4ELi8ELi4ELi16ELi64EjfLNS0_11ScoringFuncE1EEEvPKT5_PKbPfiPT4_PiiiibPKf
		.amdhsa_group_segment_fixed_size 0
		.amdhsa_private_segment_fixed_size 0
		.amdhsa_kernarg_size 72
		.amdhsa_user_sgpr_count 15
		.amdhsa_user_sgpr_dispatch_ptr 0
		.amdhsa_user_sgpr_queue_ptr 0
		.amdhsa_user_sgpr_kernarg_segment_ptr 1
		.amdhsa_user_sgpr_dispatch_id 0
		.amdhsa_user_sgpr_private_segment_size 0
		.amdhsa_wavefront_size32 1
		.amdhsa_uses_dynamic_stack 0
		.amdhsa_enable_private_segment 0
		.amdhsa_system_sgpr_workgroup_id_x 1
		.amdhsa_system_sgpr_workgroup_id_y 0
		.amdhsa_system_sgpr_workgroup_id_z 0
		.amdhsa_system_sgpr_workgroup_info 0
		.amdhsa_system_vgpr_workitem_id 1
		.amdhsa_next_free_vgpr 26
		.amdhsa_next_free_sgpr 18
		.amdhsa_reserve_vcc 1
		.amdhsa_float_round_mode_32 0
		.amdhsa_float_round_mode_16_64 0
		.amdhsa_float_denorm_mode_32 3
		.amdhsa_float_denorm_mode_16_64 3
		.amdhsa_dx10_clamp 1
		.amdhsa_ieee_mode 1
		.amdhsa_fp16_overflow 0
		.amdhsa_workgroup_processor_mode 1
		.amdhsa_memory_ordered 1
		.amdhsa_forward_progress 0
		.amdhsa_shared_vgpr_count 0
		.amdhsa_exception_fp_ieee_invalid_op 0
		.amdhsa_exception_fp_denorm_src 0
		.amdhsa_exception_fp_ieee_div_zero 0
		.amdhsa_exception_fp_ieee_overflow 0
		.amdhsa_exception_fp_ieee_underflow 0
		.amdhsa_exception_fp_ieee_inexact 0
		.amdhsa_exception_int_div_zero 0
	.end_amdhsa_kernel
	.section	.text._ZN4vllm3moe10topkGatingILi4ELi8ELi4ELi16ELi64EjfLNS0_11ScoringFuncE1EEEvPKT5_PKbPfiPT4_PiiiibPKf,"axG",@progbits,_ZN4vllm3moe10topkGatingILi4ELi8ELi4ELi16ELi64EjfLNS0_11ScoringFuncE1EEEvPKT5_PKbPfiPT4_PiiiibPKf,comdat
.Lfunc_end215:
	.size	_ZN4vllm3moe10topkGatingILi4ELi8ELi4ELi16ELi64EjfLNS0_11ScoringFuncE1EEEvPKT5_PKbPfiPT4_PiiiibPKf, .Lfunc_end215-_ZN4vllm3moe10topkGatingILi4ELi8ELi4ELi16ELi64EjfLNS0_11ScoringFuncE1EEEvPKT5_PKbPfiPT4_PiiiibPKf
                                        ; -- End function
	.section	.AMDGPU.csdata,"",@progbits
; Kernel info:
; codeLenInByte = 1864
; NumSgprs: 20
; NumVgprs: 26
; ScratchSize: 0
; MemoryBound: 0
; FloatMode: 240
; IeeeMode: 1
; LDSByteSize: 0 bytes/workgroup (compile time only)
; SGPRBlocks: 2
; VGPRBlocks: 3
; NumSGPRsForWavesPerEU: 20
; NumVGPRsForWavesPerEU: 26
; Occupancy: 16
; WaveLimiterHint : 0
; COMPUTE_PGM_RSRC2:SCRATCH_EN: 0
; COMPUTE_PGM_RSRC2:USER_SGPR: 15
; COMPUTE_PGM_RSRC2:TRAP_HANDLER: 0
; COMPUTE_PGM_RSRC2:TGID_X_EN: 1
; COMPUTE_PGM_RSRC2:TGID_Y_EN: 0
; COMPUTE_PGM_RSRC2:TGID_Z_EN: 0
; COMPUTE_PGM_RSRC2:TIDIG_COMP_CNT: 1
	.section	.text._ZN4vllm3moe10topkGatingILi4ELi8ELi4ELi16ELi32EjfLNS0_11ScoringFuncE1EEEvPKT5_PKbPfiPT4_PiiiibPKf,"axG",@progbits,_ZN4vllm3moe10topkGatingILi4ELi8ELi4ELi16ELi32EjfLNS0_11ScoringFuncE1EEEvPKT5_PKbPfiPT4_PiiiibPKf,comdat
	.protected	_ZN4vllm3moe10topkGatingILi4ELi8ELi4ELi16ELi32EjfLNS0_11ScoringFuncE1EEEvPKT5_PKbPfiPT4_PiiiibPKf ; -- Begin function _ZN4vllm3moe10topkGatingILi4ELi8ELi4ELi16ELi32EjfLNS0_11ScoringFuncE1EEEvPKT5_PKbPfiPT4_PiiiibPKf
	.globl	_ZN4vllm3moe10topkGatingILi4ELi8ELi4ELi16ELi32EjfLNS0_11ScoringFuncE1EEEvPKT5_PKbPfiPT4_PiiiibPKf
	.p2align	8
	.type	_ZN4vllm3moe10topkGatingILi4ELi8ELi4ELi16ELi32EjfLNS0_11ScoringFuncE1EEEvPKT5_PKbPfiPT4_PiiiibPKf,@function
_ZN4vllm3moe10topkGatingILi4ELi8ELi4ELi16ELi32EjfLNS0_11ScoringFuncE1EEEvPKT5_PKbPfiPT4_PiiiibPKf: ; @_ZN4vllm3moe10topkGatingILi4ELi8ELi4ELi16ELi32EjfLNS0_11ScoringFuncE1EEEvPKT5_PKbPfiPT4_PiiiibPKf
; %bb.0:
	s_load_b32 s14, s[0:1], 0x18
	v_bfe_u32 v1, v0, 10, 10
	v_and_b32_e32 v0, 0x3ff, v0
	s_lshl_b32 s2, s15, 6
	s_delay_alu instid0(VALU_DEP_2) | instskip(NEXT) | instid1(VALU_DEP_2)
	v_lshlrev_b32_e32 v1, 4, v1
	v_lshrrev_b32_e32 v2, 1, v0
	s_delay_alu instid0(VALU_DEP_1) | instskip(SKIP_2) | instid1(VALU_DEP_1)
	v_add3_u32 v8, s2, v1, v2
	s_mov_b32 s2, exec_lo
	s_waitcnt lgkmcnt(0)
	v_cmpx_gt_i32_e64 s14, v8
	s_cbranch_execz .LBB216_25
; %bb.1:
	s_clause 0x1
	s_load_b128 s[4:7], s[0:1], 0x0
	s_load_b64 s[12:13], s[0:1], 0x10
	s_mov_b32 s8, -1
	s_mov_b32 s15, -1
	s_waitcnt lgkmcnt(0)
	s_cmp_eq_u64 s[6:7], 0
	s_cbranch_scc1 .LBB216_3
; %bb.2:
	v_ashrrev_i32_e32 v2, 31, v8
	v_add_co_u32 v1, vcc_lo, s6, v8
	s_delay_alu instid0(VALU_DEP_2) | instskip(SKIP_3) | instid1(VALU_DEP_1)
	v_add_co_ci_u32_e32 v2, vcc_lo, s7, v2, vcc_lo
	global_load_u8 v1, v[1:2], off
	s_waitcnt vmcnt(0)
	v_and_b32_e32 v1, 1, v1
	v_cmp_eq_u32_e32 vcc_lo, 1, v1
	s_xor_b32 s2, vcc_lo, -1
	s_delay_alu instid0(SALU_CYCLE_1)
	s_or_not1_b32 s15, s2, exec_lo
.LBB216_3:
	v_lshlrev_b32_e32 v1, 3, v8
	v_and_b32_e32 v9, 1, v0
	s_load_b64 s[6:7], s[0:1], 0x40
	s_delay_alu instid0(VALU_DEP_2) | instskip(NEXT) | instid1(VALU_DEP_1)
	v_ashrrev_i32_e32 v2, 31, v1
	v_lshlrev_b64 v[0:1], 2, v[1:2]
	s_delay_alu instid0(VALU_DEP_3) | instskip(NEXT) | instid1(VALU_DEP_2)
	v_lshlrev_b32_e32 v2, 4, v9
	v_add_co_u32 v0, vcc_lo, s4, v0
	s_delay_alu instid0(VALU_DEP_3) | instskip(NEXT) | instid1(VALU_DEP_2)
	v_add_co_ci_u32_e32 v1, vcc_lo, s5, v1, vcc_lo
	v_add_co_u32 v0, vcc_lo, v0, v2
	s_delay_alu instid0(VALU_DEP_2)
	v_add_co_ci_u32_e32 v1, vcc_lo, 0, v1, vcc_lo
	s_waitcnt lgkmcnt(0)
	s_cmp_eq_u64 s[6:7], 0
	global_load_b128 v[0:3], v[0:1], off
	s_waitcnt vmcnt(0)
	v_dual_mul_f32 v3, 0xbfb8aa3b, v3 :: v_dual_mul_f32 v0, 0xbfb8aa3b, v0
	v_dual_mul_f32 v1, 0xbfb8aa3b, v1 :: v_dual_mul_f32 v2, 0xbfb8aa3b, v2
	s_delay_alu instid0(VALU_DEP_2) | instskip(NEXT) | instid1(VALU_DEP_2)
	v_exp_f32_e32 v3, v3
	v_exp_f32_e32 v0, v0
	s_delay_alu instid0(VALU_DEP_1) | instskip(NEXT) | instid1(VALU_DEP_1)
	v_exp_f32_e32 v1, v1
	v_exp_f32_e32 v2, v2
	s_waitcnt_depctr 0xfff
	v_dual_add_f32 v0, 1.0, v0 :: v_dual_add_f32 v1, 1.0, v1
	v_add_f32_e32 v2, 1.0, v2
	s_delay_alu instid0(VALU_DEP_2) | instskip(NEXT) | instid1(VALU_DEP_3)
	v_div_scale_f32 v4, null, v0, v0, 1.0
	v_div_scale_f32 v5, null, v1, v1, 1.0
	s_delay_alu instid0(VALU_DEP_3) | instskip(NEXT) | instid1(VALU_DEP_3)
	v_div_scale_f32 v6, null, v2, v2, 1.0
	v_rcp_f32_e32 v11, v4
	s_delay_alu instid0(VALU_DEP_2) | instskip(SKIP_1) | instid1(VALU_DEP_2)
	v_rcp_f32_e32 v12, v5
	v_div_scale_f32 v15, vcc_lo, 1.0, v0, 1.0
	v_rcp_f32_e32 v13, v6
	v_div_scale_f32 v16, s2, 1.0, v1, 1.0
	v_div_scale_f32 v17, s3, 1.0, v2, 1.0
	s_delay_alu instid0(TRANS32_DEP_3) | instskip(SKIP_4) | instid1(VALU_DEP_3)
	v_fma_f32 v10, -v4, v11, 1.0
	s_waitcnt_depctr 0xfff
	v_fma_f32 v18, -v5, v12, 1.0
	v_add_f32_e32 v3, 1.0, v3
	v_fma_f32 v19, -v6, v13, 1.0
	v_fmac_f32_e32 v12, v18, v12
	s_delay_alu instid0(VALU_DEP_3) | instskip(SKIP_1) | instid1(VALU_DEP_2)
	v_div_scale_f32 v7, null, v3, v3, 1.0
	v_div_scale_f32 v21, s4, 1.0, v3, 1.0
	v_rcp_f32_e32 v14, v7
	s_waitcnt_depctr 0xfff
	v_fma_f32 v20, -v7, v14, 1.0
	s_delay_alu instid0(VALU_DEP_1) | instskip(NEXT) | instid1(VALU_DEP_1)
	v_dual_fmac_f32 v11, v10, v11 :: v_dual_fmac_f32 v14, v20, v14
	v_mul_f32_e32 v18, v15, v11
	v_fmac_f32_e32 v13, v19, v13
	s_delay_alu instid0(VALU_DEP_3) | instskip(NEXT) | instid1(VALU_DEP_3)
	v_dual_mul_f32 v19, v16, v12 :: v_dual_mul_f32 v22, v21, v14
	v_fma_f32 v10, -v4, v18, v15
	s_delay_alu instid0(VALU_DEP_2) | instskip(NEXT) | instid1(VALU_DEP_4)
	v_fma_f32 v23, -v5, v19, v16
	v_mul_f32_e32 v20, v17, v13
	s_delay_alu instid0(VALU_DEP_4) | instskip(NEXT) | instid1(VALU_DEP_4)
	v_fma_f32 v25, -v7, v22, v21
	v_fmac_f32_e32 v18, v10, v11
	s_delay_alu instid0(VALU_DEP_4) | instskip(NEXT) | instid1(VALU_DEP_4)
	v_dual_fmac_f32 v19, v23, v12 :: v_dual_lshlrev_b32 v10, 2, v9
	v_fma_f32 v24, -v6, v20, v17
	s_delay_alu instid0(VALU_DEP_4) | instskip(NEXT) | instid1(VALU_DEP_4)
	v_fmac_f32_e32 v22, v25, v14
	v_fma_f32 v4, -v4, v18, v15
	s_delay_alu instid0(VALU_DEP_4) | instskip(NEXT) | instid1(VALU_DEP_4)
	v_fma_f32 v5, -v5, v19, v16
	v_fmac_f32_e32 v20, v24, v13
	s_delay_alu instid0(VALU_DEP_4) | instskip(NEXT) | instid1(VALU_DEP_4)
	v_fma_f32 v7, -v7, v22, v21
	v_div_fmas_f32 v4, v4, v11, v18
	s_mov_b32 vcc_lo, s2
	s_delay_alu instid0(VALU_DEP_3) | instskip(SKIP_1) | instid1(VALU_DEP_3)
	v_fma_f32 v6, -v6, v20, v17
	v_div_fmas_f32 v5, v5, v12, v19
	v_div_fixup_f32 v0, v4, v0, 1.0
	s_mov_b32 vcc_lo, s3
	s_delay_alu instid0(VALU_DEP_3)
	v_div_fmas_f32 v6, v6, v13, v20
	s_mov_b32 vcc_lo, s4
	v_div_fixup_f32 v1, v5, v1, 1.0
	v_div_fmas_f32 v4, v7, v14, v22
	v_cmp_class_f32_e64 vcc_lo, v0, 0x1f8
	v_div_fixup_f32 v2, v6, v2, 1.0
	s_delay_alu instid0(VALU_DEP_3)
	v_div_fixup_f32 v3, v4, v3, 1.0
	v_cndmask_b32_e32 v0, 0, v0, vcc_lo
	v_cmp_class_f32_e64 vcc_lo, v1, 0x1f8
	v_cndmask_b32_e32 v1, 0, v1, vcc_lo
	v_cmp_class_f32_e64 vcc_lo, v2, 0x1f8
	;; [unrolled: 2-line block ×3, first 2 shown]
	v_cndmask_b32_e32 v3, 0, v3, vcc_lo
	s_cbranch_scc1 .LBB216_19
; %bb.4:
	v_lshlrev_b32_e32 v4, 2, v10
	global_load_b128 v[4:7], v4, s[6:7]
	s_waitcnt vmcnt(0)
	v_dual_add_f32 v5, v5, v1 :: v_dual_add_f32 v4, v4, v0
	v_dual_add_f32 v7, v7, v3 :: v_dual_add_f32 v6, v6, v2
	s_cbranch_execnz .LBB216_6
.LBB216_5:
	v_dual_mov_b32 v7, v3 :: v_dual_mov_b32 v6, v2
	v_dual_mov_b32 v5, v1 :: v_dual_mov_b32 v4, v0
.LBB216_6:
	s_load_b128 s[4:7], s[0:1], 0x30
	v_cmp_eq_u32_e64 s2, 0, v9
	s_waitcnt lgkmcnt(0)
	s_bitcmp1_b32 s7, 0
	s_mov_b32 s7, 0
	s_cselect_b32 vcc_lo, -1, 0
	s_cmp_gt_i32 s4, 0
	s_cselect_b32 s3, -1, 0
	s_cmp_lt_i32 s4, 1
	s_cbranch_scc1 .LBB216_20
; %bb.7:
	v_mbcnt_lo_u32_b32 v11, -1, 0
	s_load_b128 s[8:11], s[0:1], 0x20
	v_mov_b32_e32 v14, v8
	s_delay_alu instid0(VALU_DEP_2) | instskip(SKIP_1) | instid1(VALU_DEP_2)
	v_and_b32_e32 v12, 30, v11
	v_xor_b32_e32 v13, 1, v11
	v_add_nc_u32_e32 v12, 2, v12
	s_delay_alu instid0(VALU_DEP_1) | instskip(SKIP_1) | instid1(VALU_DEP_2)
	v_cmp_lt_i32_e64 s0, v13, v12
	v_mul_lo_u32 v12, v8, s4
	v_cndmask_b32_e64 v13, v11, v13, s0
	v_mov_b32_e32 v11, 0
	s_delay_alu instid0(VALU_DEP_2)
	v_lshlrev_b32_e32 v13, 2, v13
	s_branch .LBB216_10
.LBB216_8:                              ;   in Loop: Header=BB216_10 Depth=1
	s_or_b32 exec_lo, exec_lo, s1
.LBB216_9:                              ;   in Loop: Header=BB216_10 Depth=1
	v_add_nc_u32_e32 v14, s14, v14
	s_cmp_eq_u32 s4, s7
	s_cbranch_scc1 .LBB216_21
.LBB216_10:                             ; =>This Inner Loop Header: Depth=1
	v_cmp_gt_f32_e64 s0, v5, v4
	s_mov_b32 s17, exec_lo
	s_delay_alu instid0(VALU_DEP_1) | instskip(SKIP_2) | instid1(VALU_DEP_3)
	v_cndmask_b32_e64 v16, v4, v5, s0
	v_cndmask_b32_e64 v15, 0, 1, s0
	;; [unrolled: 1-line block ×3, first 2 shown]
	v_cmp_gt_f32_e64 s1, v6, v16
	s_delay_alu instid0(VALU_DEP_1) | instskip(NEXT) | instid1(VALU_DEP_4)
	v_cndmask_b32_e64 v16, v16, v6, s1
	v_cndmask_b32_e64 v15, v15, 2, s1
	s_delay_alu instid0(VALU_DEP_4) | instskip(NEXT) | instid1(VALU_DEP_3)
	v_cndmask_b32_e64 v17, v17, v2, s1
	v_cmp_gt_f32_e64 s0, v7, v16
	s_delay_alu instid0(VALU_DEP_1) | instskip(SKIP_1) | instid1(VALU_DEP_4)
	v_cndmask_b32_e64 v15, v15, 3, s0
	v_cndmask_b32_e64 v19, v16, v7, s0
	;; [unrolled: 1-line block ×3, first 2 shown]
	s_delay_alu instid0(VALU_DEP_3)
	v_or_b32_e32 v15, v10, v15
	ds_bpermute_b32 v20, v13, v19
	ds_bpermute_b32 v17, v13, v16
	ds_bpermute_b32 v18, v13, v15
	s_waitcnt lgkmcnt(0)
	v_cmp_lt_f32_e64 s16, v19, v20
	v_cmpx_nlt_f32_e32 v19, v20
	s_cbranch_execnz .LBB216_14
; %bb.11:                               ;   in Loop: Header=BB216_10 Depth=1
	s_or_b32 exec_lo, exec_lo, s17
	s_delay_alu instid0(VALU_DEP_2)
	s_and_saveexec_b32 s0, s16
	s_cbranch_execnz .LBB216_15
.LBB216_12:                             ;   in Loop: Header=BB216_10 Depth=1
	s_or_b32 exec_lo, exec_lo, s0
	s_and_saveexec_b32 s16, s2
	s_cbranch_execnz .LBB216_16
.LBB216_13:                             ;   in Loop: Header=BB216_10 Depth=1
	s_or_b32 exec_lo, exec_lo, s16
	s_add_i32 s7, s7, 1
	s_delay_alu instid0(SALU_CYCLE_1)
	s_cmp_ge_i32 s7, s4
	s_cbranch_scc1 .LBB216_9
	s_branch .LBB216_17
.LBB216_14:                             ;   in Loop: Header=BB216_10 Depth=1
	v_cmp_eq_f32_e64 s0, v19, v20
	v_cmp_lt_i32_e64 s1, v18, v15
	s_delay_alu instid0(VALU_DEP_1) | instskip(SKIP_2) | instid1(SALU_CYCLE_1)
	s_and_b32 s0, s0, s1
	s_and_not1_b32 s1, s16, exec_lo
	s_and_b32 s0, s0, exec_lo
	s_or_b32 s16, s1, s0
	s_or_b32 exec_lo, exec_lo, s17
	s_and_saveexec_b32 s0, s16
	s_cbranch_execz .LBB216_12
.LBB216_15:                             ;   in Loop: Header=BB216_10 Depth=1
	v_dual_mov_b32 v15, v18 :: v_dual_mov_b32 v16, v17
	s_or_b32 exec_lo, exec_lo, s0
	s_and_saveexec_b32 s16, s2
	s_cbranch_execz .LBB216_13
.LBB216_16:                             ;   in Loop: Header=BB216_10 Depth=1
	v_add_nc_u32_e32 v17, s7, v12
	v_cmp_le_i32_e64 s0, s5, v15
	v_cmp_gt_i32_e64 s1, s6, v15
	v_subrev_nc_u32_e32 v19, s5, v15
	v_add_f32_e32 v24, v11, v16
	v_ashrrev_i32_e32 v18, 31, v17
	s_delay_alu instid0(VALU_DEP_4) | instskip(NEXT) | instid1(SALU_CYCLE_1)
	s_and_b32 s0, s0, s1
	s_and_b32 s0, s15, s0
	s_delay_alu instid0(VALU_DEP_1) | instskip(SKIP_2) | instid1(VALU_DEP_3)
	v_lshlrev_b64 v[17:18], 2, v[17:18]
	v_cndmask_b32_e64 v23, 8, v19, s0
	v_cndmask_b32_e32 v11, v11, v24, vcc_lo
	v_add_co_u32 v19, s0, s12, v17
	s_delay_alu instid0(VALU_DEP_1) | instskip(SKIP_1) | instid1(VALU_DEP_1)
	v_add_co_ci_u32_e64 v20, s0, s13, v18, s0
	v_add_co_u32 v21, s0, s8, v17
	v_add_co_ci_u32_e64 v22, s0, s9, v18, s0
	v_add_co_u32 v17, s0, s10, v17
	s_delay_alu instid0(VALU_DEP_1)
	v_add_co_ci_u32_e64 v18, s0, s11, v18, s0
	global_store_b32 v[19:20], v16, off
	global_store_b32 v[21:22], v23, off
	;; [unrolled: 1-line block ×3, first 2 shown]
	s_or_b32 exec_lo, exec_lo, s16
	s_add_i32 s7, s7, 1
	s_delay_alu instid0(SALU_CYCLE_1)
	s_cmp_ge_i32 s7, s4
	s_cbranch_scc1 .LBB216_9
.LBB216_17:                             ;   in Loop: Header=BB216_10 Depth=1
	v_ashrrev_i32_e32 v17, 31, v15
	s_mov_b32 s1, exec_lo
	s_delay_alu instid0(VALU_DEP_1) | instskip(NEXT) | instid1(VALU_DEP_1)
	v_lshrrev_b32_e32 v16, 30, v17
	v_add_nc_u32_e32 v18, v15, v16
	s_delay_alu instid0(VALU_DEP_1) | instskip(SKIP_1) | instid1(VALU_DEP_1)
	v_ashrrev_i32_e32 v16, 2, v18
	v_lshrrev_b32_e32 v18, 31, v18
	v_add_nc_u32_e32 v18, v16, v18
	s_delay_alu instid0(VALU_DEP_1) | instskip(NEXT) | instid1(VALU_DEP_1)
	v_and_b32_e32 v18, -2, v18
	v_sub_nc_u32_e32 v18, v16, v18
	s_delay_alu instid0(VALU_DEP_1)
	v_cmpx_eq_u32_e64 v9, v18
	s_cbranch_execz .LBB216_8
; %bb.18:                               ;   in Loop: Header=BB216_10 Depth=1
	v_lshrrev_b32_e32 v17, 29, v17
	v_lshlrev_b32_e32 v16, 2, v16
	s_delay_alu instid0(VALU_DEP_2) | instskip(NEXT) | instid1(VALU_DEP_2)
	v_add_nc_u32_e32 v17, v15, v17
	v_sub_nc_u32_e32 v15, v15, v16
	s_delay_alu instid0(VALU_DEP_2) | instskip(NEXT) | instid1(VALU_DEP_1)
	v_ashrrev_i32_e32 v16, 3, v17
	v_lshl_add_u32 v15, v16, 2, v15
	s_delay_alu instid0(VALU_DEP_1) | instskip(NEXT) | instid1(VALU_DEP_1)
	v_cmp_ne_u32_e64 s0, 3, v15
	v_cndmask_b32_e64 v7, 0xc61c4000, v7, s0
	v_cmp_ne_u32_e64 s0, 2, v15
	s_delay_alu instid0(VALU_DEP_1) | instskip(SKIP_1) | instid1(VALU_DEP_1)
	v_cndmask_b32_e64 v6, 0xc61c4000, v6, s0
	v_cmp_ne_u32_e64 s0, 1, v15
	v_cndmask_b32_e64 v5, 0xc61c4000, v5, s0
	v_cmp_ne_u32_e64 s0, 0, v15
	s_delay_alu instid0(VALU_DEP_1)
	v_cndmask_b32_e64 v4, 0xc61c4000, v4, s0
	s_branch .LBB216_8
.LBB216_19:
                                        ; implicit-def: $vgpr4_vgpr5_vgpr6_vgpr7
	s_and_not1_b32 vcc_lo, exec_lo, s8
	s_cbranch_vccz .LBB216_5
	s_branch .LBB216_6
.LBB216_20:
	v_mov_b32_e32 v11, 0
.LBB216_21:
	v_cmp_eq_u32_e64 s0, 0, v9
	s_delay_alu instid0(VALU_DEP_1) | instskip(NEXT) | instid1(SALU_CYCLE_1)
	s_and_b32 s0, s0, vcc_lo
	s_and_b32 exec_lo, exec_lo, s0
	s_cbranch_execz .LBB216_25
; %bb.22:
	s_and_not1_b32 vcc_lo, exec_lo, s3
	s_cbranch_vccnz .LBB216_25
; %bb.23:
	v_mul_lo_u32 v0, v8, s4
	v_cmp_lt_f32_e32 vcc_lo, 0, v11
	v_cndmask_b32_e32 v2, 1.0, v11, vcc_lo
	s_delay_alu instid0(VALU_DEP_3) | instskip(NEXT) | instid1(VALU_DEP_1)
	v_ashrrev_i32_e32 v1, 31, v0
	v_lshlrev_b64 v[0:1], 2, v[0:1]
	s_delay_alu instid0(VALU_DEP_1) | instskip(NEXT) | instid1(VALU_DEP_2)
	v_add_co_u32 v0, vcc_lo, s12, v0
	v_add_co_ci_u32_e32 v1, vcc_lo, s13, v1, vcc_lo
	.p2align	6
.LBB216_24:                             ; =>This Inner Loop Header: Depth=1
	global_load_b32 v3, v[0:1], off
	s_add_i32 s4, s4, -1
	s_delay_alu instid0(SALU_CYCLE_1) | instskip(SKIP_3) | instid1(VALU_DEP_2)
	s_cmp_lg_u32 s4, 0
	s_waitcnt vmcnt(0)
	v_div_scale_f32 v4, null, v2, v2, v3
	v_div_scale_f32 v7, vcc_lo, v3, v2, v3
	v_rcp_f32_e32 v5, v4
	s_waitcnt_depctr 0xfff
	v_fma_f32 v6, -v4, v5, 1.0
	s_delay_alu instid0(VALU_DEP_1) | instskip(NEXT) | instid1(VALU_DEP_1)
	v_fmac_f32_e32 v5, v6, v5
	v_mul_f32_e32 v6, v7, v5
	s_delay_alu instid0(VALU_DEP_1) | instskip(NEXT) | instid1(VALU_DEP_1)
	v_fma_f32 v8, -v4, v6, v7
	v_fmac_f32_e32 v6, v8, v5
	s_delay_alu instid0(VALU_DEP_1) | instskip(NEXT) | instid1(VALU_DEP_1)
	v_fma_f32 v4, -v4, v6, v7
	v_div_fmas_f32 v4, v4, v5, v6
	s_delay_alu instid0(VALU_DEP_1)
	v_div_fixup_f32 v3, v4, v2, v3
	global_store_b32 v[0:1], v3, off
	v_add_co_u32 v0, vcc_lo, v0, 4
	v_add_co_ci_u32_e32 v1, vcc_lo, 0, v1, vcc_lo
	s_cbranch_scc1 .LBB216_24
.LBB216_25:
	s_nop 0
	s_sendmsg sendmsg(MSG_DEALLOC_VGPRS)
	s_endpgm
	.section	.rodata,"a",@progbits
	.p2align	6, 0x0
	.amdhsa_kernel _ZN4vllm3moe10topkGatingILi4ELi8ELi4ELi16ELi32EjfLNS0_11ScoringFuncE1EEEvPKT5_PKbPfiPT4_PiiiibPKf
		.amdhsa_group_segment_fixed_size 0
		.amdhsa_private_segment_fixed_size 0
		.amdhsa_kernarg_size 72
		.amdhsa_user_sgpr_count 15
		.amdhsa_user_sgpr_dispatch_ptr 0
		.amdhsa_user_sgpr_queue_ptr 0
		.amdhsa_user_sgpr_kernarg_segment_ptr 1
		.amdhsa_user_sgpr_dispatch_id 0
		.amdhsa_user_sgpr_private_segment_size 0
		.amdhsa_wavefront_size32 1
		.amdhsa_uses_dynamic_stack 0
		.amdhsa_enable_private_segment 0
		.amdhsa_system_sgpr_workgroup_id_x 1
		.amdhsa_system_sgpr_workgroup_id_y 0
		.amdhsa_system_sgpr_workgroup_id_z 0
		.amdhsa_system_sgpr_workgroup_info 0
		.amdhsa_system_vgpr_workitem_id 1
		.amdhsa_next_free_vgpr 26
		.amdhsa_next_free_sgpr 18
		.amdhsa_reserve_vcc 1
		.amdhsa_float_round_mode_32 0
		.amdhsa_float_round_mode_16_64 0
		.amdhsa_float_denorm_mode_32 3
		.amdhsa_float_denorm_mode_16_64 3
		.amdhsa_dx10_clamp 1
		.amdhsa_ieee_mode 1
		.amdhsa_fp16_overflow 0
		.amdhsa_workgroup_processor_mode 1
		.amdhsa_memory_ordered 1
		.amdhsa_forward_progress 0
		.amdhsa_shared_vgpr_count 0
		.amdhsa_exception_fp_ieee_invalid_op 0
		.amdhsa_exception_fp_denorm_src 0
		.amdhsa_exception_fp_ieee_div_zero 0
		.amdhsa_exception_fp_ieee_overflow 0
		.amdhsa_exception_fp_ieee_underflow 0
		.amdhsa_exception_fp_ieee_inexact 0
		.amdhsa_exception_int_div_zero 0
	.end_amdhsa_kernel
	.section	.text._ZN4vllm3moe10topkGatingILi4ELi8ELi4ELi16ELi32EjfLNS0_11ScoringFuncE1EEEvPKT5_PKbPfiPT4_PiiiibPKf,"axG",@progbits,_ZN4vllm3moe10topkGatingILi4ELi8ELi4ELi16ELi32EjfLNS0_11ScoringFuncE1EEEvPKT5_PKbPfiPT4_PiiiibPKf,comdat
.Lfunc_end216:
	.size	_ZN4vllm3moe10topkGatingILi4ELi8ELi4ELi16ELi32EjfLNS0_11ScoringFuncE1EEEvPKT5_PKbPfiPT4_PiiiibPKf, .Lfunc_end216-_ZN4vllm3moe10topkGatingILi4ELi8ELi4ELi16ELi32EjfLNS0_11ScoringFuncE1EEEvPKT5_PKbPfiPT4_PiiiibPKf
                                        ; -- End function
	.section	.AMDGPU.csdata,"",@progbits
; Kernel info:
; codeLenInByte = 1864
; NumSgprs: 20
; NumVgprs: 26
; ScratchSize: 0
; MemoryBound: 0
; FloatMode: 240
; IeeeMode: 1
; LDSByteSize: 0 bytes/workgroup (compile time only)
; SGPRBlocks: 2
; VGPRBlocks: 3
; NumSGPRsForWavesPerEU: 20
; NumVGPRsForWavesPerEU: 26
; Occupancy: 16
; WaveLimiterHint : 0
; COMPUTE_PGM_RSRC2:SCRATCH_EN: 0
; COMPUTE_PGM_RSRC2:USER_SGPR: 15
; COMPUTE_PGM_RSRC2:TRAP_HANDLER: 0
; COMPUTE_PGM_RSRC2:TGID_X_EN: 1
; COMPUTE_PGM_RSRC2:TGID_Y_EN: 0
; COMPUTE_PGM_RSRC2:TGID_Z_EN: 0
; COMPUTE_PGM_RSRC2:TIDIG_COMP_CNT: 1
	.section	.text._ZN4vllm3moe10topkGatingILi4ELi16ELi4ELi16ELi64EjfLNS0_11ScoringFuncE1EEEvPKT5_PKbPfiPT4_PiiiibPKf,"axG",@progbits,_ZN4vllm3moe10topkGatingILi4ELi16ELi4ELi16ELi64EjfLNS0_11ScoringFuncE1EEEvPKT5_PKbPfiPT4_PiiiibPKf,comdat
	.protected	_ZN4vllm3moe10topkGatingILi4ELi16ELi4ELi16ELi64EjfLNS0_11ScoringFuncE1EEEvPKT5_PKbPfiPT4_PiiiibPKf ; -- Begin function _ZN4vllm3moe10topkGatingILi4ELi16ELi4ELi16ELi64EjfLNS0_11ScoringFuncE1EEEvPKT5_PKbPfiPT4_PiiiibPKf
	.globl	_ZN4vllm3moe10topkGatingILi4ELi16ELi4ELi16ELi64EjfLNS0_11ScoringFuncE1EEEvPKT5_PKbPfiPT4_PiiiibPKf
	.p2align	8
	.type	_ZN4vllm3moe10topkGatingILi4ELi16ELi4ELi16ELi64EjfLNS0_11ScoringFuncE1EEEvPKT5_PKbPfiPT4_PiiiibPKf,@function
_ZN4vllm3moe10topkGatingILi4ELi16ELi4ELi16ELi64EjfLNS0_11ScoringFuncE1EEEvPKT5_PKbPfiPT4_PiiiibPKf: ; @_ZN4vllm3moe10topkGatingILi4ELi16ELi4ELi16ELi64EjfLNS0_11ScoringFuncE1EEEvPKT5_PKbPfiPT4_PiiiibPKf
; %bb.0:
	s_load_b32 s14, s[0:1], 0x18
	v_bfe_u32 v1, v0, 10, 10
	v_and_b32_e32 v0, 0x3ff, v0
	s_lshl_b32 s2, s15, 6
	s_delay_alu instid0(VALU_DEP_2) | instskip(NEXT) | instid1(VALU_DEP_2)
	v_lshlrev_b32_e32 v1, 4, v1
	v_lshrrev_b32_e32 v2, 2, v0
	s_delay_alu instid0(VALU_DEP_1) | instskip(SKIP_2) | instid1(VALU_DEP_1)
	v_add3_u32 v8, s2, v1, v2
	s_mov_b32 s2, exec_lo
	s_waitcnt lgkmcnt(0)
	v_cmpx_gt_i32_e64 s14, v8
	s_cbranch_execz .LBB217_29
; %bb.1:
	s_clause 0x1
	s_load_b128 s[4:7], s[0:1], 0x0
	s_load_b64 s[12:13], s[0:1], 0x10
	s_mov_b32 s8, -1
	s_mov_b32 s15, -1
	s_waitcnt lgkmcnt(0)
	s_cmp_eq_u64 s[6:7], 0
	s_cbranch_scc1 .LBB217_3
; %bb.2:
	v_ashrrev_i32_e32 v2, 31, v8
	v_add_co_u32 v1, vcc_lo, s6, v8
	s_delay_alu instid0(VALU_DEP_2) | instskip(SKIP_3) | instid1(VALU_DEP_1)
	v_add_co_ci_u32_e32 v2, vcc_lo, s7, v2, vcc_lo
	global_load_u8 v1, v[1:2], off
	s_waitcnt vmcnt(0)
	v_and_b32_e32 v1, 1, v1
	v_cmp_eq_u32_e32 vcc_lo, 1, v1
	s_xor_b32 s2, vcc_lo, -1
	s_delay_alu instid0(SALU_CYCLE_1)
	s_or_not1_b32 s15, s2, exec_lo
.LBB217_3:
	v_lshlrev_b32_e32 v1, 4, v8
	v_and_b32_e32 v9, 3, v0
	s_load_b64 s[6:7], s[0:1], 0x40
	s_delay_alu instid0(VALU_DEP_2) | instskip(NEXT) | instid1(VALU_DEP_1)
	v_ashrrev_i32_e32 v2, 31, v1
	v_lshlrev_b64 v[0:1], 2, v[1:2]
	s_delay_alu instid0(VALU_DEP_3) | instskip(NEXT) | instid1(VALU_DEP_2)
	v_lshlrev_b32_e32 v2, 4, v9
	v_add_co_u32 v0, vcc_lo, s4, v0
	s_delay_alu instid0(VALU_DEP_3) | instskip(NEXT) | instid1(VALU_DEP_2)
	v_add_co_ci_u32_e32 v1, vcc_lo, s5, v1, vcc_lo
	v_add_co_u32 v0, vcc_lo, v0, v2
	s_delay_alu instid0(VALU_DEP_2)
	v_add_co_ci_u32_e32 v1, vcc_lo, 0, v1, vcc_lo
	s_waitcnt lgkmcnt(0)
	s_cmp_eq_u64 s[6:7], 0
	global_load_b128 v[0:3], v[0:1], off
	s_waitcnt vmcnt(0)
	v_dual_mul_f32 v3, 0xbfb8aa3b, v3 :: v_dual_mul_f32 v0, 0xbfb8aa3b, v0
	v_dual_mul_f32 v1, 0xbfb8aa3b, v1 :: v_dual_mul_f32 v2, 0xbfb8aa3b, v2
	s_delay_alu instid0(VALU_DEP_2) | instskip(NEXT) | instid1(VALU_DEP_2)
	v_exp_f32_e32 v3, v3
	v_exp_f32_e32 v0, v0
	s_delay_alu instid0(VALU_DEP_1) | instskip(NEXT) | instid1(VALU_DEP_1)
	v_exp_f32_e32 v1, v1
	v_exp_f32_e32 v2, v2
	s_waitcnt_depctr 0xfff
	v_dual_add_f32 v0, 1.0, v0 :: v_dual_add_f32 v1, 1.0, v1
	v_add_f32_e32 v2, 1.0, v2
	s_delay_alu instid0(VALU_DEP_2) | instskip(NEXT) | instid1(VALU_DEP_3)
	v_div_scale_f32 v4, null, v0, v0, 1.0
	v_div_scale_f32 v5, null, v1, v1, 1.0
	s_delay_alu instid0(VALU_DEP_3) | instskip(NEXT) | instid1(VALU_DEP_3)
	v_div_scale_f32 v6, null, v2, v2, 1.0
	v_rcp_f32_e32 v11, v4
	s_delay_alu instid0(VALU_DEP_2) | instskip(SKIP_1) | instid1(VALU_DEP_2)
	v_rcp_f32_e32 v12, v5
	v_div_scale_f32 v15, vcc_lo, 1.0, v0, 1.0
	v_rcp_f32_e32 v13, v6
	v_div_scale_f32 v16, s2, 1.0, v1, 1.0
	v_div_scale_f32 v17, s3, 1.0, v2, 1.0
	s_delay_alu instid0(TRANS32_DEP_3) | instskip(SKIP_4) | instid1(VALU_DEP_3)
	v_fma_f32 v10, -v4, v11, 1.0
	s_waitcnt_depctr 0xfff
	v_fma_f32 v18, -v5, v12, 1.0
	v_add_f32_e32 v3, 1.0, v3
	v_fma_f32 v19, -v6, v13, 1.0
	v_fmac_f32_e32 v12, v18, v12
	s_delay_alu instid0(VALU_DEP_3) | instskip(SKIP_1) | instid1(VALU_DEP_2)
	v_div_scale_f32 v7, null, v3, v3, 1.0
	v_div_scale_f32 v21, s4, 1.0, v3, 1.0
	v_rcp_f32_e32 v14, v7
	s_waitcnt_depctr 0xfff
	v_fma_f32 v20, -v7, v14, 1.0
	s_delay_alu instid0(VALU_DEP_1) | instskip(NEXT) | instid1(VALU_DEP_1)
	v_dual_fmac_f32 v11, v10, v11 :: v_dual_fmac_f32 v14, v20, v14
	v_mul_f32_e32 v18, v15, v11
	v_fmac_f32_e32 v13, v19, v13
	s_delay_alu instid0(VALU_DEP_3) | instskip(NEXT) | instid1(VALU_DEP_3)
	v_dual_mul_f32 v19, v16, v12 :: v_dual_mul_f32 v22, v21, v14
	v_fma_f32 v10, -v4, v18, v15
	s_delay_alu instid0(VALU_DEP_2) | instskip(NEXT) | instid1(VALU_DEP_4)
	v_fma_f32 v23, -v5, v19, v16
	v_mul_f32_e32 v20, v17, v13
	s_delay_alu instid0(VALU_DEP_4) | instskip(NEXT) | instid1(VALU_DEP_4)
	v_fma_f32 v25, -v7, v22, v21
	v_fmac_f32_e32 v18, v10, v11
	s_delay_alu instid0(VALU_DEP_4) | instskip(NEXT) | instid1(VALU_DEP_4)
	v_dual_fmac_f32 v19, v23, v12 :: v_dual_lshlrev_b32 v10, 2, v9
	v_fma_f32 v24, -v6, v20, v17
	s_delay_alu instid0(VALU_DEP_4) | instskip(NEXT) | instid1(VALU_DEP_4)
	v_fmac_f32_e32 v22, v25, v14
	v_fma_f32 v4, -v4, v18, v15
	s_delay_alu instid0(VALU_DEP_4) | instskip(NEXT) | instid1(VALU_DEP_4)
	v_fma_f32 v5, -v5, v19, v16
	v_fmac_f32_e32 v20, v24, v13
	s_delay_alu instid0(VALU_DEP_4) | instskip(NEXT) | instid1(VALU_DEP_4)
	v_fma_f32 v7, -v7, v22, v21
	v_div_fmas_f32 v4, v4, v11, v18
	s_mov_b32 vcc_lo, s2
	s_delay_alu instid0(VALU_DEP_3) | instskip(SKIP_1) | instid1(VALU_DEP_3)
	v_fma_f32 v6, -v6, v20, v17
	v_div_fmas_f32 v5, v5, v12, v19
	v_div_fixup_f32 v0, v4, v0, 1.0
	s_mov_b32 vcc_lo, s3
	s_delay_alu instid0(VALU_DEP_3)
	v_div_fmas_f32 v6, v6, v13, v20
	s_mov_b32 vcc_lo, s4
	v_div_fixup_f32 v1, v5, v1, 1.0
	v_div_fmas_f32 v4, v7, v14, v22
	v_cmp_class_f32_e64 vcc_lo, v0, 0x1f8
	v_div_fixup_f32 v2, v6, v2, 1.0
	s_delay_alu instid0(VALU_DEP_3)
	v_div_fixup_f32 v3, v4, v3, 1.0
	v_cndmask_b32_e32 v0, 0, v0, vcc_lo
	v_cmp_class_f32_e64 vcc_lo, v1, 0x1f8
	v_cndmask_b32_e32 v1, 0, v1, vcc_lo
	v_cmp_class_f32_e64 vcc_lo, v2, 0x1f8
	;; [unrolled: 2-line block ×3, first 2 shown]
	v_cndmask_b32_e32 v3, 0, v3, vcc_lo
	s_cbranch_scc1 .LBB217_23
; %bb.4:
	v_lshlrev_b32_e32 v4, 2, v10
	global_load_b128 v[4:7], v4, s[6:7]
	s_waitcnt vmcnt(0)
	v_dual_add_f32 v5, v5, v1 :: v_dual_add_f32 v4, v4, v0
	v_dual_add_f32 v7, v7, v3 :: v_dual_add_f32 v6, v6, v2
	s_cbranch_execnz .LBB217_6
.LBB217_5:
	v_dual_mov_b32 v7, v3 :: v_dual_mov_b32 v6, v2
	v_dual_mov_b32 v5, v1 :: v_dual_mov_b32 v4, v0
.LBB217_6:
	s_load_b128 s[4:7], s[0:1], 0x30
	v_cmp_eq_u32_e64 s2, 0, v9
	s_waitcnt lgkmcnt(0)
	s_bitcmp1_b32 s7, 0
	s_mov_b32 s7, 0
	s_cselect_b32 vcc_lo, -1, 0
	s_cmp_gt_i32 s4, 0
	s_cselect_b32 s3, -1, 0
	s_cmp_lt_i32 s4, 1
	s_cbranch_scc1 .LBB217_24
; %bb.7:
	v_mbcnt_lo_u32_b32 v11, -1, 0
	s_load_b128 s[8:11], s[0:1], 0x20
	s_delay_alu instid0(VALU_DEP_1) | instskip(SKIP_2) | instid1(VALU_DEP_3)
	v_dual_mov_b32 v15, v8 :: v_dual_and_b32 v12, 28, v11
	v_xor_b32_e32 v13, 2, v11
	v_xor_b32_e32 v14, 1, v11
	v_add_nc_u32_e32 v12, 4, v12
	s_delay_alu instid0(VALU_DEP_1) | instskip(NEXT) | instid1(VALU_DEP_1)
	v_cmp_lt_i32_e64 s0, v13, v12
	v_cndmask_b32_e64 v13, v11, v13, s0
	s_delay_alu instid0(VALU_DEP_4) | instskip(SKIP_1) | instid1(VALU_DEP_3)
	v_cmp_lt_i32_e64 s0, v14, v12
	v_mul_lo_u32 v12, v8, s4
	v_lshlrev_b32_e32 v13, 2, v13
	s_delay_alu instid0(VALU_DEP_3) | instskip(NEXT) | instid1(VALU_DEP_1)
	v_cndmask_b32_e64 v14, v11, v14, s0
	v_dual_mov_b32 v11, 0 :: v_dual_lshlrev_b32 v14, 2, v14
	s_branch .LBB217_10
.LBB217_8:                              ;   in Loop: Header=BB217_10 Depth=1
	s_or_b32 exec_lo, exec_lo, s1
.LBB217_9:                              ;   in Loop: Header=BB217_10 Depth=1
	v_add_nc_u32_e32 v15, s14, v15
	s_cmp_eq_u32 s4, s7
	s_cbranch_scc1 .LBB217_25
.LBB217_10:                             ; =>This Inner Loop Header: Depth=1
	v_cmp_gt_f32_e64 s0, v5, v4
	s_mov_b32 s17, exec_lo
	s_delay_alu instid0(VALU_DEP_1) | instskip(SKIP_2) | instid1(VALU_DEP_3)
	v_cndmask_b32_e64 v17, v4, v5, s0
	v_cndmask_b32_e64 v16, 0, 1, s0
	;; [unrolled: 1-line block ×3, first 2 shown]
	v_cmp_gt_f32_e64 s1, v6, v17
	s_delay_alu instid0(VALU_DEP_1) | instskip(NEXT) | instid1(VALU_DEP_4)
	v_cndmask_b32_e64 v17, v17, v6, s1
	v_cndmask_b32_e64 v16, v16, 2, s1
	s_waitcnt lgkmcnt(0)
	v_cndmask_b32_e64 v19, v18, v2, s1
	s_delay_alu instid0(VALU_DEP_3) | instskip(NEXT) | instid1(VALU_DEP_1)
	v_cmp_gt_f32_e64 s0, v7, v17
	v_cndmask_b32_e64 v16, v16, 3, s0
	v_cndmask_b32_e64 v18, v17, v7, s0
	s_delay_alu instid0(VALU_DEP_4) | instskip(NEXT) | instid1(VALU_DEP_3)
	v_cndmask_b32_e64 v17, v19, v3, s0
	v_or_b32_e32 v16, v10, v16
	ds_bpermute_b32 v19, v13, v18
	ds_bpermute_b32 v21, v13, v17
	;; [unrolled: 1-line block ×3, first 2 shown]
	s_waitcnt lgkmcnt(0)
	v_cmp_lt_f32_e64 s16, v18, v19
	v_cmpx_nlt_f32_e32 v18, v19
; %bb.11:                               ;   in Loop: Header=BB217_10 Depth=1
	v_cmp_eq_f32_e64 s0, v18, v19
	v_cmp_lt_i32_e64 s1, v20, v16
	s_delay_alu instid0(VALU_DEP_1) | instskip(SKIP_2) | instid1(SALU_CYCLE_1)
	s_and_b32 s0, s0, s1
	s_and_not1_b32 s1, s16, exec_lo
	s_and_b32 s0, s0, exec_lo
	s_or_b32 s16, s1, s0
; %bb.12:                               ;   in Loop: Header=BB217_10 Depth=1
	s_or_b32 exec_lo, exec_lo, s17
	s_and_saveexec_b32 s0, s16
; %bb.13:                               ;   in Loop: Header=BB217_10 Depth=1
	v_dual_mov_b32 v17, v21 :: v_dual_mov_b32 v18, v19
	v_mov_b32_e32 v16, v20
; %bb.14:                               ;   in Loop: Header=BB217_10 Depth=1
	s_or_b32 exec_lo, exec_lo, s0
	ds_bpermute_b32 v21, v14, v18
	ds_bpermute_b32 v19, v14, v17
	;; [unrolled: 1-line block ×3, first 2 shown]
	s_mov_b32 s17, exec_lo
	s_waitcnt lgkmcnt(2)
	v_cmp_lt_f32_e64 s16, v18, v21
	v_cmpx_nlt_f32_e32 v18, v21
	s_cbranch_execnz .LBB217_18
; %bb.15:                               ;   in Loop: Header=BB217_10 Depth=1
	s_or_b32 exec_lo, exec_lo, s17
	s_delay_alu instid0(VALU_DEP_2)
	s_and_saveexec_b32 s0, s16
	s_cbranch_execnz .LBB217_19
.LBB217_16:                             ;   in Loop: Header=BB217_10 Depth=1
	s_or_b32 exec_lo, exec_lo, s0
	s_and_saveexec_b32 s16, s2
	s_cbranch_execnz .LBB217_20
.LBB217_17:                             ;   in Loop: Header=BB217_10 Depth=1
	s_or_b32 exec_lo, exec_lo, s16
	s_add_i32 s7, s7, 1
	s_delay_alu instid0(SALU_CYCLE_1)
	s_cmp_ge_i32 s7, s4
	s_cbranch_scc1 .LBB217_9
	s_branch .LBB217_21
.LBB217_18:                             ;   in Loop: Header=BB217_10 Depth=1
	v_cmp_eq_f32_e64 s0, v18, v21
	s_waitcnt lgkmcnt(0)
	v_cmp_lt_i32_e64 s1, v20, v16
	s_delay_alu instid0(VALU_DEP_1) | instskip(SKIP_2) | instid1(SALU_CYCLE_1)
	s_and_b32 s0, s0, s1
	s_and_not1_b32 s1, s16, exec_lo
	s_and_b32 s0, s0, exec_lo
	s_or_b32 s16, s1, s0
	s_or_b32 exec_lo, exec_lo, s17
	s_and_saveexec_b32 s0, s16
	s_cbranch_execz .LBB217_16
.LBB217_19:                             ;   in Loop: Header=BB217_10 Depth=1
	s_waitcnt lgkmcnt(0)
	v_dual_mov_b32 v16, v20 :: v_dual_mov_b32 v17, v19
	s_or_b32 exec_lo, exec_lo, s0
	s_and_saveexec_b32 s16, s2
	s_cbranch_execz .LBB217_17
.LBB217_20:                             ;   in Loop: Header=BB217_10 Depth=1
	s_delay_alu instid0(VALU_DEP_1)
	v_dual_add_f32 v25, v11, v17 :: v_dual_add_nc_u32 v18, s7, v12
	v_cmp_le_i32_e64 s0, s5, v16
	v_cmp_gt_i32_e64 s1, s6, v16
	s_waitcnt lgkmcnt(0)
	v_subrev_nc_u32_e32 v20, s5, v16
	v_ashrrev_i32_e32 v19, 31, v18
	v_cndmask_b32_e32 v11, v11, v25, vcc_lo
	s_and_b32 s0, s0, s1
	s_delay_alu instid0(SALU_CYCLE_1) | instskip(NEXT) | instid1(VALU_DEP_2)
	s_and_b32 s0, s15, s0
	v_lshlrev_b64 v[18:19], 2, v[18:19]
	v_cndmask_b32_e64 v24, 16, v20, s0
	s_delay_alu instid0(VALU_DEP_2) | instskip(NEXT) | instid1(VALU_DEP_1)
	v_add_co_u32 v20, s0, s12, v18
	v_add_co_ci_u32_e64 v21, s0, s13, v19, s0
	v_add_co_u32 v22, s0, s8, v18
	s_delay_alu instid0(VALU_DEP_1) | instskip(SKIP_1) | instid1(VALU_DEP_1)
	v_add_co_ci_u32_e64 v23, s0, s9, v19, s0
	v_add_co_u32 v18, s0, s10, v18
	v_add_co_ci_u32_e64 v19, s0, s11, v19, s0
	global_store_b32 v[20:21], v17, off
	global_store_b32 v[22:23], v24, off
	;; [unrolled: 1-line block ×3, first 2 shown]
	s_or_b32 exec_lo, exec_lo, s16
	s_add_i32 s7, s7, 1
	s_delay_alu instid0(SALU_CYCLE_1)
	s_cmp_ge_i32 s7, s4
	s_cbranch_scc1 .LBB217_9
.LBB217_21:                             ;   in Loop: Header=BB217_10 Depth=1
	v_ashrrev_i32_e32 v18, 31, v16
	s_mov_b32 s1, exec_lo
	s_delay_alu instid0(VALU_DEP_1) | instskip(NEXT) | instid1(VALU_DEP_1)
	v_lshrrev_b32_e32 v17, 30, v18
	v_add_nc_u32_e32 v17, v16, v17
	s_delay_alu instid0(VALU_DEP_1) | instskip(SKIP_1) | instid1(VALU_DEP_1)
	v_ashrrev_i32_e32 v17, 2, v17
	s_waitcnt lgkmcnt(1)
	v_lshrrev_b32_e32 v19, 30, v17
	s_delay_alu instid0(VALU_DEP_1) | instskip(NEXT) | instid1(VALU_DEP_1)
	v_add_nc_u32_e32 v19, v17, v19
	v_and_b32_e32 v19, -4, v19
	s_delay_alu instid0(VALU_DEP_1) | instskip(NEXT) | instid1(VALU_DEP_1)
	v_sub_nc_u32_e32 v19, v17, v19
	v_cmpx_eq_u32_e64 v9, v19
	s_cbranch_execz .LBB217_8
; %bb.22:                               ;   in Loop: Header=BB217_10 Depth=1
	v_lshrrev_b32_e32 v18, 28, v18
	v_lshlrev_b32_e32 v17, 2, v17
	s_delay_alu instid0(VALU_DEP_2) | instskip(NEXT) | instid1(VALU_DEP_2)
	v_add_nc_u32_e32 v18, v16, v18
	v_sub_nc_u32_e32 v16, v16, v17
	s_delay_alu instid0(VALU_DEP_2) | instskip(NEXT) | instid1(VALU_DEP_1)
	v_ashrrev_i32_e32 v17, 4, v18
	v_lshl_add_u32 v16, v17, 2, v16
	s_delay_alu instid0(VALU_DEP_1) | instskip(NEXT) | instid1(VALU_DEP_1)
	v_cmp_ne_u32_e64 s0, 3, v16
	v_cndmask_b32_e64 v7, 0xc61c4000, v7, s0
	v_cmp_ne_u32_e64 s0, 2, v16
	s_delay_alu instid0(VALU_DEP_1) | instskip(SKIP_1) | instid1(VALU_DEP_1)
	v_cndmask_b32_e64 v6, 0xc61c4000, v6, s0
	v_cmp_ne_u32_e64 s0, 1, v16
	v_cndmask_b32_e64 v5, 0xc61c4000, v5, s0
	v_cmp_ne_u32_e64 s0, 0, v16
	s_delay_alu instid0(VALU_DEP_1)
	v_cndmask_b32_e64 v4, 0xc61c4000, v4, s0
	s_branch .LBB217_8
.LBB217_23:
                                        ; implicit-def: $vgpr4_vgpr5_vgpr6_vgpr7
	s_and_not1_b32 vcc_lo, exec_lo, s8
	s_cbranch_vccz .LBB217_5
	s_branch .LBB217_6
.LBB217_24:
	v_mov_b32_e32 v11, 0
.LBB217_25:
	v_cmp_eq_u32_e64 s0, 0, v9
	s_delay_alu instid0(VALU_DEP_1) | instskip(NEXT) | instid1(SALU_CYCLE_1)
	s_and_b32 s0, s0, vcc_lo
	s_and_b32 exec_lo, exec_lo, s0
	s_cbranch_execz .LBB217_29
; %bb.26:
	s_and_not1_b32 vcc_lo, exec_lo, s3
	s_cbranch_vccnz .LBB217_29
; %bb.27:
	v_mul_lo_u32 v0, v8, s4
	v_cmp_lt_f32_e32 vcc_lo, 0, v11
	v_cndmask_b32_e32 v2, 1.0, v11, vcc_lo
	s_delay_alu instid0(VALU_DEP_3) | instskip(NEXT) | instid1(VALU_DEP_1)
	v_ashrrev_i32_e32 v1, 31, v0
	v_lshlrev_b64 v[0:1], 2, v[0:1]
	s_delay_alu instid0(VALU_DEP_1) | instskip(NEXT) | instid1(VALU_DEP_2)
	v_add_co_u32 v0, vcc_lo, s12, v0
	v_add_co_ci_u32_e32 v1, vcc_lo, s13, v1, vcc_lo
	.p2align	6
.LBB217_28:                             ; =>This Inner Loop Header: Depth=1
	global_load_b32 v3, v[0:1], off
	s_add_i32 s4, s4, -1
	s_delay_alu instid0(SALU_CYCLE_1) | instskip(SKIP_3) | instid1(VALU_DEP_2)
	s_cmp_lg_u32 s4, 0
	s_waitcnt vmcnt(0)
	v_div_scale_f32 v4, null, v2, v2, v3
	v_div_scale_f32 v7, vcc_lo, v3, v2, v3
	v_rcp_f32_e32 v5, v4
	s_waitcnt_depctr 0xfff
	v_fma_f32 v6, -v4, v5, 1.0
	s_delay_alu instid0(VALU_DEP_1) | instskip(NEXT) | instid1(VALU_DEP_1)
	v_fmac_f32_e32 v5, v6, v5
	v_mul_f32_e32 v6, v7, v5
	s_delay_alu instid0(VALU_DEP_1) | instskip(NEXT) | instid1(VALU_DEP_1)
	v_fma_f32 v8, -v4, v6, v7
	v_fmac_f32_e32 v6, v8, v5
	s_delay_alu instid0(VALU_DEP_1) | instskip(NEXT) | instid1(VALU_DEP_1)
	v_fma_f32 v4, -v4, v6, v7
	v_div_fmas_f32 v4, v4, v5, v6
	s_delay_alu instid0(VALU_DEP_1)
	v_div_fixup_f32 v3, v4, v2, v3
	global_store_b32 v[0:1], v3, off
	v_add_co_u32 v0, vcc_lo, v0, 4
	v_add_co_ci_u32_e32 v1, vcc_lo, 0, v1, vcc_lo
	s_cbranch_scc1 .LBB217_28
.LBB217_29:
	s_nop 0
	s_sendmsg sendmsg(MSG_DEALLOC_VGPRS)
	s_endpgm
	.section	.rodata,"a",@progbits
	.p2align	6, 0x0
	.amdhsa_kernel _ZN4vllm3moe10topkGatingILi4ELi16ELi4ELi16ELi64EjfLNS0_11ScoringFuncE1EEEvPKT5_PKbPfiPT4_PiiiibPKf
		.amdhsa_group_segment_fixed_size 0
		.amdhsa_private_segment_fixed_size 0
		.amdhsa_kernarg_size 72
		.amdhsa_user_sgpr_count 15
		.amdhsa_user_sgpr_dispatch_ptr 0
		.amdhsa_user_sgpr_queue_ptr 0
		.amdhsa_user_sgpr_kernarg_segment_ptr 1
		.amdhsa_user_sgpr_dispatch_id 0
		.amdhsa_user_sgpr_private_segment_size 0
		.amdhsa_wavefront_size32 1
		.amdhsa_uses_dynamic_stack 0
		.amdhsa_enable_private_segment 0
		.amdhsa_system_sgpr_workgroup_id_x 1
		.amdhsa_system_sgpr_workgroup_id_y 0
		.amdhsa_system_sgpr_workgroup_id_z 0
		.amdhsa_system_sgpr_workgroup_info 0
		.amdhsa_system_vgpr_workitem_id 1
		.amdhsa_next_free_vgpr 26
		.amdhsa_next_free_sgpr 18
		.amdhsa_reserve_vcc 1
		.amdhsa_float_round_mode_32 0
		.amdhsa_float_round_mode_16_64 0
		.amdhsa_float_denorm_mode_32 3
		.amdhsa_float_denorm_mode_16_64 3
		.amdhsa_dx10_clamp 1
		.amdhsa_ieee_mode 1
		.amdhsa_fp16_overflow 0
		.amdhsa_workgroup_processor_mode 1
		.amdhsa_memory_ordered 1
		.amdhsa_forward_progress 0
		.amdhsa_shared_vgpr_count 0
		.amdhsa_exception_fp_ieee_invalid_op 0
		.amdhsa_exception_fp_denorm_src 0
		.amdhsa_exception_fp_ieee_div_zero 0
		.amdhsa_exception_fp_ieee_overflow 0
		.amdhsa_exception_fp_ieee_underflow 0
		.amdhsa_exception_fp_ieee_inexact 0
		.amdhsa_exception_int_div_zero 0
	.end_amdhsa_kernel
	.section	.text._ZN4vllm3moe10topkGatingILi4ELi16ELi4ELi16ELi64EjfLNS0_11ScoringFuncE1EEEvPKT5_PKbPfiPT4_PiiiibPKf,"axG",@progbits,_ZN4vllm3moe10topkGatingILi4ELi16ELi4ELi16ELi64EjfLNS0_11ScoringFuncE1EEEvPKT5_PKbPfiPT4_PiiiibPKf,comdat
.Lfunc_end217:
	.size	_ZN4vllm3moe10topkGatingILi4ELi16ELi4ELi16ELi64EjfLNS0_11ScoringFuncE1EEEvPKT5_PKbPfiPT4_PiiiibPKf, .Lfunc_end217-_ZN4vllm3moe10topkGatingILi4ELi16ELi4ELi16ELi64EjfLNS0_11ScoringFuncE1EEEvPKT5_PKbPfiPT4_PiiiibPKf
                                        ; -- End function
	.section	.AMDGPU.csdata,"",@progbits
; Kernel info:
; codeLenInByte = 2012
; NumSgprs: 20
; NumVgprs: 26
; ScratchSize: 0
; MemoryBound: 0
; FloatMode: 240
; IeeeMode: 1
; LDSByteSize: 0 bytes/workgroup (compile time only)
; SGPRBlocks: 2
; VGPRBlocks: 3
; NumSGPRsForWavesPerEU: 20
; NumVGPRsForWavesPerEU: 26
; Occupancy: 16
; WaveLimiterHint : 0
; COMPUTE_PGM_RSRC2:SCRATCH_EN: 0
; COMPUTE_PGM_RSRC2:USER_SGPR: 15
; COMPUTE_PGM_RSRC2:TRAP_HANDLER: 0
; COMPUTE_PGM_RSRC2:TGID_X_EN: 1
; COMPUTE_PGM_RSRC2:TGID_Y_EN: 0
; COMPUTE_PGM_RSRC2:TGID_Z_EN: 0
; COMPUTE_PGM_RSRC2:TIDIG_COMP_CNT: 1
	.section	.text._ZN4vllm3moe10topkGatingILi4ELi16ELi4ELi16ELi32EjfLNS0_11ScoringFuncE1EEEvPKT5_PKbPfiPT4_PiiiibPKf,"axG",@progbits,_ZN4vllm3moe10topkGatingILi4ELi16ELi4ELi16ELi32EjfLNS0_11ScoringFuncE1EEEvPKT5_PKbPfiPT4_PiiiibPKf,comdat
	.protected	_ZN4vllm3moe10topkGatingILi4ELi16ELi4ELi16ELi32EjfLNS0_11ScoringFuncE1EEEvPKT5_PKbPfiPT4_PiiiibPKf ; -- Begin function _ZN4vllm3moe10topkGatingILi4ELi16ELi4ELi16ELi32EjfLNS0_11ScoringFuncE1EEEvPKT5_PKbPfiPT4_PiiiibPKf
	.globl	_ZN4vllm3moe10topkGatingILi4ELi16ELi4ELi16ELi32EjfLNS0_11ScoringFuncE1EEEvPKT5_PKbPfiPT4_PiiiibPKf
	.p2align	8
	.type	_ZN4vllm3moe10topkGatingILi4ELi16ELi4ELi16ELi32EjfLNS0_11ScoringFuncE1EEEvPKT5_PKbPfiPT4_PiiiibPKf,@function
_ZN4vllm3moe10topkGatingILi4ELi16ELi4ELi16ELi32EjfLNS0_11ScoringFuncE1EEEvPKT5_PKbPfiPT4_PiiiibPKf: ; @_ZN4vllm3moe10topkGatingILi4ELi16ELi4ELi16ELi32EjfLNS0_11ScoringFuncE1EEEvPKT5_PKbPfiPT4_PiiiibPKf
; %bb.0:
	s_load_b32 s14, s[0:1], 0x18
	v_bfe_u32 v1, v0, 10, 10
	v_and_b32_e32 v0, 0x3ff, v0
	s_lshl_b32 s2, s15, 5
	s_delay_alu instid0(VALU_DEP_2) | instskip(NEXT) | instid1(VALU_DEP_2)
	v_lshlrev_b32_e32 v1, 3, v1
	v_lshrrev_b32_e32 v2, 2, v0
	s_delay_alu instid0(VALU_DEP_1) | instskip(SKIP_2) | instid1(VALU_DEP_1)
	v_add3_u32 v8, s2, v1, v2
	s_mov_b32 s2, exec_lo
	s_waitcnt lgkmcnt(0)
	v_cmpx_gt_i32_e64 s14, v8
	s_cbranch_execz .LBB218_29
; %bb.1:
	s_clause 0x1
	s_load_b128 s[4:7], s[0:1], 0x0
	s_load_b64 s[12:13], s[0:1], 0x10
	s_mov_b32 s8, -1
	s_mov_b32 s15, -1
	s_waitcnt lgkmcnt(0)
	s_cmp_eq_u64 s[6:7], 0
	s_cbranch_scc1 .LBB218_3
; %bb.2:
	v_ashrrev_i32_e32 v2, 31, v8
	v_add_co_u32 v1, vcc_lo, s6, v8
	s_delay_alu instid0(VALU_DEP_2) | instskip(SKIP_3) | instid1(VALU_DEP_1)
	v_add_co_ci_u32_e32 v2, vcc_lo, s7, v2, vcc_lo
	global_load_u8 v1, v[1:2], off
	s_waitcnt vmcnt(0)
	v_and_b32_e32 v1, 1, v1
	v_cmp_eq_u32_e32 vcc_lo, 1, v1
	s_xor_b32 s2, vcc_lo, -1
	s_delay_alu instid0(SALU_CYCLE_1)
	s_or_not1_b32 s15, s2, exec_lo
.LBB218_3:
	v_lshlrev_b32_e32 v1, 4, v8
	v_and_b32_e32 v9, 3, v0
	s_load_b64 s[6:7], s[0:1], 0x40
	s_delay_alu instid0(VALU_DEP_2) | instskip(NEXT) | instid1(VALU_DEP_1)
	v_ashrrev_i32_e32 v2, 31, v1
	v_lshlrev_b64 v[0:1], 2, v[1:2]
	s_delay_alu instid0(VALU_DEP_3) | instskip(NEXT) | instid1(VALU_DEP_2)
	v_lshlrev_b32_e32 v2, 4, v9
	v_add_co_u32 v0, vcc_lo, s4, v0
	s_delay_alu instid0(VALU_DEP_3) | instskip(NEXT) | instid1(VALU_DEP_2)
	v_add_co_ci_u32_e32 v1, vcc_lo, s5, v1, vcc_lo
	v_add_co_u32 v0, vcc_lo, v0, v2
	s_delay_alu instid0(VALU_DEP_2)
	v_add_co_ci_u32_e32 v1, vcc_lo, 0, v1, vcc_lo
	s_waitcnt lgkmcnt(0)
	s_cmp_eq_u64 s[6:7], 0
	global_load_b128 v[0:3], v[0:1], off
	s_waitcnt vmcnt(0)
	v_dual_mul_f32 v3, 0xbfb8aa3b, v3 :: v_dual_mul_f32 v0, 0xbfb8aa3b, v0
	v_dual_mul_f32 v1, 0xbfb8aa3b, v1 :: v_dual_mul_f32 v2, 0xbfb8aa3b, v2
	s_delay_alu instid0(VALU_DEP_2) | instskip(NEXT) | instid1(VALU_DEP_2)
	v_exp_f32_e32 v3, v3
	v_exp_f32_e32 v0, v0
	s_delay_alu instid0(VALU_DEP_1) | instskip(NEXT) | instid1(VALU_DEP_1)
	v_exp_f32_e32 v1, v1
	v_exp_f32_e32 v2, v2
	s_waitcnt_depctr 0xfff
	v_dual_add_f32 v0, 1.0, v0 :: v_dual_add_f32 v1, 1.0, v1
	v_add_f32_e32 v2, 1.0, v2
	s_delay_alu instid0(VALU_DEP_2) | instskip(NEXT) | instid1(VALU_DEP_3)
	v_div_scale_f32 v4, null, v0, v0, 1.0
	v_div_scale_f32 v5, null, v1, v1, 1.0
	s_delay_alu instid0(VALU_DEP_3) | instskip(NEXT) | instid1(VALU_DEP_3)
	v_div_scale_f32 v6, null, v2, v2, 1.0
	v_rcp_f32_e32 v11, v4
	s_delay_alu instid0(VALU_DEP_2) | instskip(SKIP_1) | instid1(VALU_DEP_2)
	v_rcp_f32_e32 v12, v5
	v_div_scale_f32 v15, vcc_lo, 1.0, v0, 1.0
	v_rcp_f32_e32 v13, v6
	v_div_scale_f32 v16, s2, 1.0, v1, 1.0
	v_div_scale_f32 v17, s3, 1.0, v2, 1.0
	s_delay_alu instid0(TRANS32_DEP_3) | instskip(SKIP_4) | instid1(VALU_DEP_3)
	v_fma_f32 v10, -v4, v11, 1.0
	s_waitcnt_depctr 0xfff
	v_fma_f32 v18, -v5, v12, 1.0
	v_add_f32_e32 v3, 1.0, v3
	v_fma_f32 v19, -v6, v13, 1.0
	v_fmac_f32_e32 v12, v18, v12
	s_delay_alu instid0(VALU_DEP_3) | instskip(SKIP_1) | instid1(VALU_DEP_2)
	v_div_scale_f32 v7, null, v3, v3, 1.0
	v_div_scale_f32 v21, s4, 1.0, v3, 1.0
	v_rcp_f32_e32 v14, v7
	s_waitcnt_depctr 0xfff
	v_fma_f32 v20, -v7, v14, 1.0
	s_delay_alu instid0(VALU_DEP_1) | instskip(NEXT) | instid1(VALU_DEP_1)
	v_dual_fmac_f32 v11, v10, v11 :: v_dual_fmac_f32 v14, v20, v14
	v_mul_f32_e32 v18, v15, v11
	v_fmac_f32_e32 v13, v19, v13
	s_delay_alu instid0(VALU_DEP_3) | instskip(NEXT) | instid1(VALU_DEP_3)
	v_dual_mul_f32 v19, v16, v12 :: v_dual_mul_f32 v22, v21, v14
	v_fma_f32 v10, -v4, v18, v15
	s_delay_alu instid0(VALU_DEP_2) | instskip(NEXT) | instid1(VALU_DEP_4)
	v_fma_f32 v23, -v5, v19, v16
	v_mul_f32_e32 v20, v17, v13
	s_delay_alu instid0(VALU_DEP_4) | instskip(NEXT) | instid1(VALU_DEP_4)
	v_fma_f32 v25, -v7, v22, v21
	v_fmac_f32_e32 v18, v10, v11
	s_delay_alu instid0(VALU_DEP_4) | instskip(NEXT) | instid1(VALU_DEP_4)
	v_dual_fmac_f32 v19, v23, v12 :: v_dual_lshlrev_b32 v10, 2, v9
	v_fma_f32 v24, -v6, v20, v17
	s_delay_alu instid0(VALU_DEP_4) | instskip(NEXT) | instid1(VALU_DEP_4)
	v_fmac_f32_e32 v22, v25, v14
	v_fma_f32 v4, -v4, v18, v15
	s_delay_alu instid0(VALU_DEP_4) | instskip(NEXT) | instid1(VALU_DEP_4)
	v_fma_f32 v5, -v5, v19, v16
	v_fmac_f32_e32 v20, v24, v13
	s_delay_alu instid0(VALU_DEP_4) | instskip(NEXT) | instid1(VALU_DEP_4)
	v_fma_f32 v7, -v7, v22, v21
	v_div_fmas_f32 v4, v4, v11, v18
	s_mov_b32 vcc_lo, s2
	s_delay_alu instid0(VALU_DEP_3) | instskip(SKIP_1) | instid1(VALU_DEP_3)
	v_fma_f32 v6, -v6, v20, v17
	v_div_fmas_f32 v5, v5, v12, v19
	v_div_fixup_f32 v0, v4, v0, 1.0
	s_mov_b32 vcc_lo, s3
	s_delay_alu instid0(VALU_DEP_3)
	v_div_fmas_f32 v6, v6, v13, v20
	s_mov_b32 vcc_lo, s4
	v_div_fixup_f32 v1, v5, v1, 1.0
	v_div_fmas_f32 v4, v7, v14, v22
	v_cmp_class_f32_e64 vcc_lo, v0, 0x1f8
	v_div_fixup_f32 v2, v6, v2, 1.0
	s_delay_alu instid0(VALU_DEP_3)
	v_div_fixup_f32 v3, v4, v3, 1.0
	v_cndmask_b32_e32 v0, 0, v0, vcc_lo
	v_cmp_class_f32_e64 vcc_lo, v1, 0x1f8
	v_cndmask_b32_e32 v1, 0, v1, vcc_lo
	v_cmp_class_f32_e64 vcc_lo, v2, 0x1f8
	v_cndmask_b32_e32 v2, 0, v2, vcc_lo
	v_cmp_class_f32_e64 vcc_lo, v3, 0x1f8
	v_cndmask_b32_e32 v3, 0, v3, vcc_lo
	s_cbranch_scc1 .LBB218_23
; %bb.4:
	v_lshlrev_b32_e32 v4, 2, v10
	global_load_b128 v[4:7], v4, s[6:7]
	s_waitcnt vmcnt(0)
	v_dual_add_f32 v5, v5, v1 :: v_dual_add_f32 v4, v4, v0
	v_dual_add_f32 v7, v7, v3 :: v_dual_add_f32 v6, v6, v2
	s_cbranch_execnz .LBB218_6
.LBB218_5:
	v_dual_mov_b32 v7, v3 :: v_dual_mov_b32 v6, v2
	v_dual_mov_b32 v5, v1 :: v_dual_mov_b32 v4, v0
.LBB218_6:
	s_load_b128 s[4:7], s[0:1], 0x30
	v_cmp_eq_u32_e64 s2, 0, v9
	s_waitcnt lgkmcnt(0)
	s_bitcmp1_b32 s7, 0
	s_mov_b32 s7, 0
	s_cselect_b32 vcc_lo, -1, 0
	s_cmp_gt_i32 s4, 0
	s_cselect_b32 s3, -1, 0
	s_cmp_lt_i32 s4, 1
	s_cbranch_scc1 .LBB218_24
; %bb.7:
	v_mbcnt_lo_u32_b32 v11, -1, 0
	s_load_b128 s[8:11], s[0:1], 0x20
	s_delay_alu instid0(VALU_DEP_1) | instskip(SKIP_2) | instid1(VALU_DEP_3)
	v_dual_mov_b32 v15, v8 :: v_dual_and_b32 v12, 28, v11
	v_xor_b32_e32 v13, 2, v11
	v_xor_b32_e32 v14, 1, v11
	v_add_nc_u32_e32 v12, 4, v12
	s_delay_alu instid0(VALU_DEP_1) | instskip(NEXT) | instid1(VALU_DEP_1)
	v_cmp_lt_i32_e64 s0, v13, v12
	v_cndmask_b32_e64 v13, v11, v13, s0
	s_delay_alu instid0(VALU_DEP_4) | instskip(SKIP_1) | instid1(VALU_DEP_3)
	v_cmp_lt_i32_e64 s0, v14, v12
	v_mul_lo_u32 v12, v8, s4
	v_lshlrev_b32_e32 v13, 2, v13
	s_delay_alu instid0(VALU_DEP_3) | instskip(NEXT) | instid1(VALU_DEP_1)
	v_cndmask_b32_e64 v14, v11, v14, s0
	v_dual_mov_b32 v11, 0 :: v_dual_lshlrev_b32 v14, 2, v14
	s_branch .LBB218_10
.LBB218_8:                              ;   in Loop: Header=BB218_10 Depth=1
	s_or_b32 exec_lo, exec_lo, s1
.LBB218_9:                              ;   in Loop: Header=BB218_10 Depth=1
	v_add_nc_u32_e32 v15, s14, v15
	s_cmp_eq_u32 s4, s7
	s_cbranch_scc1 .LBB218_25
.LBB218_10:                             ; =>This Inner Loop Header: Depth=1
	v_cmp_gt_f32_e64 s0, v5, v4
	s_mov_b32 s17, exec_lo
	s_delay_alu instid0(VALU_DEP_1) | instskip(SKIP_2) | instid1(VALU_DEP_3)
	v_cndmask_b32_e64 v17, v4, v5, s0
	v_cndmask_b32_e64 v16, 0, 1, s0
	;; [unrolled: 1-line block ×3, first 2 shown]
	v_cmp_gt_f32_e64 s1, v6, v17
	s_delay_alu instid0(VALU_DEP_1) | instskip(NEXT) | instid1(VALU_DEP_4)
	v_cndmask_b32_e64 v17, v17, v6, s1
	v_cndmask_b32_e64 v16, v16, 2, s1
	s_waitcnt lgkmcnt(0)
	v_cndmask_b32_e64 v19, v18, v2, s1
	s_delay_alu instid0(VALU_DEP_3) | instskip(NEXT) | instid1(VALU_DEP_1)
	v_cmp_gt_f32_e64 s0, v7, v17
	v_cndmask_b32_e64 v16, v16, 3, s0
	v_cndmask_b32_e64 v18, v17, v7, s0
	s_delay_alu instid0(VALU_DEP_4) | instskip(NEXT) | instid1(VALU_DEP_3)
	v_cndmask_b32_e64 v17, v19, v3, s0
	v_or_b32_e32 v16, v10, v16
	ds_bpermute_b32 v19, v13, v18
	ds_bpermute_b32 v21, v13, v17
	ds_bpermute_b32 v20, v13, v16
	s_waitcnt lgkmcnt(0)
	v_cmp_lt_f32_e64 s16, v18, v19
	v_cmpx_nlt_f32_e32 v18, v19
; %bb.11:                               ;   in Loop: Header=BB218_10 Depth=1
	v_cmp_eq_f32_e64 s0, v18, v19
	v_cmp_lt_i32_e64 s1, v20, v16
	s_delay_alu instid0(VALU_DEP_1) | instskip(SKIP_2) | instid1(SALU_CYCLE_1)
	s_and_b32 s0, s0, s1
	s_and_not1_b32 s1, s16, exec_lo
	s_and_b32 s0, s0, exec_lo
	s_or_b32 s16, s1, s0
; %bb.12:                               ;   in Loop: Header=BB218_10 Depth=1
	s_or_b32 exec_lo, exec_lo, s17
	s_and_saveexec_b32 s0, s16
; %bb.13:                               ;   in Loop: Header=BB218_10 Depth=1
	v_dual_mov_b32 v17, v21 :: v_dual_mov_b32 v18, v19
	v_mov_b32_e32 v16, v20
; %bb.14:                               ;   in Loop: Header=BB218_10 Depth=1
	s_or_b32 exec_lo, exec_lo, s0
	ds_bpermute_b32 v21, v14, v18
	ds_bpermute_b32 v19, v14, v17
	;; [unrolled: 1-line block ×3, first 2 shown]
	s_mov_b32 s17, exec_lo
	s_waitcnt lgkmcnt(2)
	v_cmp_lt_f32_e64 s16, v18, v21
	v_cmpx_nlt_f32_e32 v18, v21
	s_cbranch_execnz .LBB218_18
; %bb.15:                               ;   in Loop: Header=BB218_10 Depth=1
	s_or_b32 exec_lo, exec_lo, s17
	s_delay_alu instid0(VALU_DEP_2)
	s_and_saveexec_b32 s0, s16
	s_cbranch_execnz .LBB218_19
.LBB218_16:                             ;   in Loop: Header=BB218_10 Depth=1
	s_or_b32 exec_lo, exec_lo, s0
	s_and_saveexec_b32 s16, s2
	s_cbranch_execnz .LBB218_20
.LBB218_17:                             ;   in Loop: Header=BB218_10 Depth=1
	s_or_b32 exec_lo, exec_lo, s16
	s_add_i32 s7, s7, 1
	s_delay_alu instid0(SALU_CYCLE_1)
	s_cmp_ge_i32 s7, s4
	s_cbranch_scc1 .LBB218_9
	s_branch .LBB218_21
.LBB218_18:                             ;   in Loop: Header=BB218_10 Depth=1
	v_cmp_eq_f32_e64 s0, v18, v21
	s_waitcnt lgkmcnt(0)
	v_cmp_lt_i32_e64 s1, v20, v16
	s_delay_alu instid0(VALU_DEP_1) | instskip(SKIP_2) | instid1(SALU_CYCLE_1)
	s_and_b32 s0, s0, s1
	s_and_not1_b32 s1, s16, exec_lo
	s_and_b32 s0, s0, exec_lo
	s_or_b32 s16, s1, s0
	s_or_b32 exec_lo, exec_lo, s17
	s_and_saveexec_b32 s0, s16
	s_cbranch_execz .LBB218_16
.LBB218_19:                             ;   in Loop: Header=BB218_10 Depth=1
	s_waitcnt lgkmcnt(0)
	v_dual_mov_b32 v16, v20 :: v_dual_mov_b32 v17, v19
	s_or_b32 exec_lo, exec_lo, s0
	s_and_saveexec_b32 s16, s2
	s_cbranch_execz .LBB218_17
.LBB218_20:                             ;   in Loop: Header=BB218_10 Depth=1
	s_delay_alu instid0(VALU_DEP_1)
	v_dual_add_f32 v25, v11, v17 :: v_dual_add_nc_u32 v18, s7, v12
	v_cmp_le_i32_e64 s0, s5, v16
	v_cmp_gt_i32_e64 s1, s6, v16
	s_waitcnt lgkmcnt(0)
	v_subrev_nc_u32_e32 v20, s5, v16
	v_ashrrev_i32_e32 v19, 31, v18
	v_cndmask_b32_e32 v11, v11, v25, vcc_lo
	s_and_b32 s0, s0, s1
	s_delay_alu instid0(SALU_CYCLE_1) | instskip(NEXT) | instid1(VALU_DEP_2)
	s_and_b32 s0, s15, s0
	v_lshlrev_b64 v[18:19], 2, v[18:19]
	v_cndmask_b32_e64 v24, 16, v20, s0
	s_delay_alu instid0(VALU_DEP_2) | instskip(NEXT) | instid1(VALU_DEP_1)
	v_add_co_u32 v20, s0, s12, v18
	v_add_co_ci_u32_e64 v21, s0, s13, v19, s0
	v_add_co_u32 v22, s0, s8, v18
	s_delay_alu instid0(VALU_DEP_1) | instskip(SKIP_1) | instid1(VALU_DEP_1)
	v_add_co_ci_u32_e64 v23, s0, s9, v19, s0
	v_add_co_u32 v18, s0, s10, v18
	v_add_co_ci_u32_e64 v19, s0, s11, v19, s0
	global_store_b32 v[20:21], v17, off
	global_store_b32 v[22:23], v24, off
	;; [unrolled: 1-line block ×3, first 2 shown]
	s_or_b32 exec_lo, exec_lo, s16
	s_add_i32 s7, s7, 1
	s_delay_alu instid0(SALU_CYCLE_1)
	s_cmp_ge_i32 s7, s4
	s_cbranch_scc1 .LBB218_9
.LBB218_21:                             ;   in Loop: Header=BB218_10 Depth=1
	v_ashrrev_i32_e32 v18, 31, v16
	s_mov_b32 s1, exec_lo
	s_delay_alu instid0(VALU_DEP_1) | instskip(NEXT) | instid1(VALU_DEP_1)
	v_lshrrev_b32_e32 v17, 30, v18
	v_add_nc_u32_e32 v17, v16, v17
	s_delay_alu instid0(VALU_DEP_1) | instskip(SKIP_1) | instid1(VALU_DEP_1)
	v_ashrrev_i32_e32 v17, 2, v17
	s_waitcnt lgkmcnt(1)
	v_lshrrev_b32_e32 v19, 30, v17
	s_delay_alu instid0(VALU_DEP_1) | instskip(NEXT) | instid1(VALU_DEP_1)
	v_add_nc_u32_e32 v19, v17, v19
	v_and_b32_e32 v19, -4, v19
	s_delay_alu instid0(VALU_DEP_1) | instskip(NEXT) | instid1(VALU_DEP_1)
	v_sub_nc_u32_e32 v19, v17, v19
	v_cmpx_eq_u32_e64 v9, v19
	s_cbranch_execz .LBB218_8
; %bb.22:                               ;   in Loop: Header=BB218_10 Depth=1
	v_lshrrev_b32_e32 v18, 28, v18
	v_lshlrev_b32_e32 v17, 2, v17
	s_delay_alu instid0(VALU_DEP_2) | instskip(NEXT) | instid1(VALU_DEP_2)
	v_add_nc_u32_e32 v18, v16, v18
	v_sub_nc_u32_e32 v16, v16, v17
	s_delay_alu instid0(VALU_DEP_2) | instskip(NEXT) | instid1(VALU_DEP_1)
	v_ashrrev_i32_e32 v17, 4, v18
	v_lshl_add_u32 v16, v17, 2, v16
	s_delay_alu instid0(VALU_DEP_1) | instskip(NEXT) | instid1(VALU_DEP_1)
	v_cmp_ne_u32_e64 s0, 3, v16
	v_cndmask_b32_e64 v7, 0xc61c4000, v7, s0
	v_cmp_ne_u32_e64 s0, 2, v16
	s_delay_alu instid0(VALU_DEP_1) | instskip(SKIP_1) | instid1(VALU_DEP_1)
	v_cndmask_b32_e64 v6, 0xc61c4000, v6, s0
	v_cmp_ne_u32_e64 s0, 1, v16
	v_cndmask_b32_e64 v5, 0xc61c4000, v5, s0
	v_cmp_ne_u32_e64 s0, 0, v16
	s_delay_alu instid0(VALU_DEP_1)
	v_cndmask_b32_e64 v4, 0xc61c4000, v4, s0
	s_branch .LBB218_8
.LBB218_23:
                                        ; implicit-def: $vgpr4_vgpr5_vgpr6_vgpr7
	s_and_not1_b32 vcc_lo, exec_lo, s8
	s_cbranch_vccz .LBB218_5
	s_branch .LBB218_6
.LBB218_24:
	v_mov_b32_e32 v11, 0
.LBB218_25:
	v_cmp_eq_u32_e64 s0, 0, v9
	s_delay_alu instid0(VALU_DEP_1) | instskip(NEXT) | instid1(SALU_CYCLE_1)
	s_and_b32 s0, s0, vcc_lo
	s_and_b32 exec_lo, exec_lo, s0
	s_cbranch_execz .LBB218_29
; %bb.26:
	s_and_not1_b32 vcc_lo, exec_lo, s3
	s_cbranch_vccnz .LBB218_29
; %bb.27:
	v_mul_lo_u32 v0, v8, s4
	v_cmp_lt_f32_e32 vcc_lo, 0, v11
	v_cndmask_b32_e32 v2, 1.0, v11, vcc_lo
	s_delay_alu instid0(VALU_DEP_3) | instskip(NEXT) | instid1(VALU_DEP_1)
	v_ashrrev_i32_e32 v1, 31, v0
	v_lshlrev_b64 v[0:1], 2, v[0:1]
	s_delay_alu instid0(VALU_DEP_1) | instskip(NEXT) | instid1(VALU_DEP_2)
	v_add_co_u32 v0, vcc_lo, s12, v0
	v_add_co_ci_u32_e32 v1, vcc_lo, s13, v1, vcc_lo
	.p2align	6
.LBB218_28:                             ; =>This Inner Loop Header: Depth=1
	global_load_b32 v3, v[0:1], off
	s_add_i32 s4, s4, -1
	s_delay_alu instid0(SALU_CYCLE_1) | instskip(SKIP_3) | instid1(VALU_DEP_2)
	s_cmp_lg_u32 s4, 0
	s_waitcnt vmcnt(0)
	v_div_scale_f32 v4, null, v2, v2, v3
	v_div_scale_f32 v7, vcc_lo, v3, v2, v3
	v_rcp_f32_e32 v5, v4
	s_waitcnt_depctr 0xfff
	v_fma_f32 v6, -v4, v5, 1.0
	s_delay_alu instid0(VALU_DEP_1) | instskip(NEXT) | instid1(VALU_DEP_1)
	v_fmac_f32_e32 v5, v6, v5
	v_mul_f32_e32 v6, v7, v5
	s_delay_alu instid0(VALU_DEP_1) | instskip(NEXT) | instid1(VALU_DEP_1)
	v_fma_f32 v8, -v4, v6, v7
	v_fmac_f32_e32 v6, v8, v5
	s_delay_alu instid0(VALU_DEP_1) | instskip(NEXT) | instid1(VALU_DEP_1)
	v_fma_f32 v4, -v4, v6, v7
	v_div_fmas_f32 v4, v4, v5, v6
	s_delay_alu instid0(VALU_DEP_1)
	v_div_fixup_f32 v3, v4, v2, v3
	global_store_b32 v[0:1], v3, off
	v_add_co_u32 v0, vcc_lo, v0, 4
	v_add_co_ci_u32_e32 v1, vcc_lo, 0, v1, vcc_lo
	s_cbranch_scc1 .LBB218_28
.LBB218_29:
	s_nop 0
	s_sendmsg sendmsg(MSG_DEALLOC_VGPRS)
	s_endpgm
	.section	.rodata,"a",@progbits
	.p2align	6, 0x0
	.amdhsa_kernel _ZN4vllm3moe10topkGatingILi4ELi16ELi4ELi16ELi32EjfLNS0_11ScoringFuncE1EEEvPKT5_PKbPfiPT4_PiiiibPKf
		.amdhsa_group_segment_fixed_size 0
		.amdhsa_private_segment_fixed_size 0
		.amdhsa_kernarg_size 72
		.amdhsa_user_sgpr_count 15
		.amdhsa_user_sgpr_dispatch_ptr 0
		.amdhsa_user_sgpr_queue_ptr 0
		.amdhsa_user_sgpr_kernarg_segment_ptr 1
		.amdhsa_user_sgpr_dispatch_id 0
		.amdhsa_user_sgpr_private_segment_size 0
		.amdhsa_wavefront_size32 1
		.amdhsa_uses_dynamic_stack 0
		.amdhsa_enable_private_segment 0
		.amdhsa_system_sgpr_workgroup_id_x 1
		.amdhsa_system_sgpr_workgroup_id_y 0
		.amdhsa_system_sgpr_workgroup_id_z 0
		.amdhsa_system_sgpr_workgroup_info 0
		.amdhsa_system_vgpr_workitem_id 1
		.amdhsa_next_free_vgpr 26
		.amdhsa_next_free_sgpr 18
		.amdhsa_reserve_vcc 1
		.amdhsa_float_round_mode_32 0
		.amdhsa_float_round_mode_16_64 0
		.amdhsa_float_denorm_mode_32 3
		.amdhsa_float_denorm_mode_16_64 3
		.amdhsa_dx10_clamp 1
		.amdhsa_ieee_mode 1
		.amdhsa_fp16_overflow 0
		.amdhsa_workgroup_processor_mode 1
		.amdhsa_memory_ordered 1
		.amdhsa_forward_progress 0
		.amdhsa_shared_vgpr_count 0
		.amdhsa_exception_fp_ieee_invalid_op 0
		.amdhsa_exception_fp_denorm_src 0
		.amdhsa_exception_fp_ieee_div_zero 0
		.amdhsa_exception_fp_ieee_overflow 0
		.amdhsa_exception_fp_ieee_underflow 0
		.amdhsa_exception_fp_ieee_inexact 0
		.amdhsa_exception_int_div_zero 0
	.end_amdhsa_kernel
	.section	.text._ZN4vllm3moe10topkGatingILi4ELi16ELi4ELi16ELi32EjfLNS0_11ScoringFuncE1EEEvPKT5_PKbPfiPT4_PiiiibPKf,"axG",@progbits,_ZN4vllm3moe10topkGatingILi4ELi16ELi4ELi16ELi32EjfLNS0_11ScoringFuncE1EEEvPKT5_PKbPfiPT4_PiiiibPKf,comdat
.Lfunc_end218:
	.size	_ZN4vllm3moe10topkGatingILi4ELi16ELi4ELi16ELi32EjfLNS0_11ScoringFuncE1EEEvPKT5_PKbPfiPT4_PiiiibPKf, .Lfunc_end218-_ZN4vllm3moe10topkGatingILi4ELi16ELi4ELi16ELi32EjfLNS0_11ScoringFuncE1EEEvPKT5_PKbPfiPT4_PiiiibPKf
                                        ; -- End function
	.section	.AMDGPU.csdata,"",@progbits
; Kernel info:
; codeLenInByte = 2012
; NumSgprs: 20
; NumVgprs: 26
; ScratchSize: 0
; MemoryBound: 0
; FloatMode: 240
; IeeeMode: 1
; LDSByteSize: 0 bytes/workgroup (compile time only)
; SGPRBlocks: 2
; VGPRBlocks: 3
; NumSGPRsForWavesPerEU: 20
; NumVGPRsForWavesPerEU: 26
; Occupancy: 16
; WaveLimiterHint : 0
; COMPUTE_PGM_RSRC2:SCRATCH_EN: 0
; COMPUTE_PGM_RSRC2:USER_SGPR: 15
; COMPUTE_PGM_RSRC2:TRAP_HANDLER: 0
; COMPUTE_PGM_RSRC2:TGID_X_EN: 1
; COMPUTE_PGM_RSRC2:TGID_Y_EN: 0
; COMPUTE_PGM_RSRC2:TGID_Z_EN: 0
; COMPUTE_PGM_RSRC2:TIDIG_COMP_CNT: 1
	.section	.text._ZN4vllm3moe10topkGatingILi4ELi32ELi4ELi16ELi64EjfLNS0_11ScoringFuncE1EEEvPKT5_PKbPfiPT4_PiiiibPKf,"axG",@progbits,_ZN4vllm3moe10topkGatingILi4ELi32ELi4ELi16ELi64EjfLNS0_11ScoringFuncE1EEEvPKT5_PKbPfiPT4_PiiiibPKf,comdat
	.protected	_ZN4vllm3moe10topkGatingILi4ELi32ELi4ELi16ELi64EjfLNS0_11ScoringFuncE1EEEvPKT5_PKbPfiPT4_PiiiibPKf ; -- Begin function _ZN4vllm3moe10topkGatingILi4ELi32ELi4ELi16ELi64EjfLNS0_11ScoringFuncE1EEEvPKT5_PKbPfiPT4_PiiiibPKf
	.globl	_ZN4vllm3moe10topkGatingILi4ELi32ELi4ELi16ELi64EjfLNS0_11ScoringFuncE1EEEvPKT5_PKbPfiPT4_PiiiibPKf
	.p2align	8
	.type	_ZN4vllm3moe10topkGatingILi4ELi32ELi4ELi16ELi64EjfLNS0_11ScoringFuncE1EEEvPKT5_PKbPfiPT4_PiiiibPKf,@function
_ZN4vllm3moe10topkGatingILi4ELi32ELi4ELi16ELi64EjfLNS0_11ScoringFuncE1EEEvPKT5_PKbPfiPT4_PiiiibPKf: ; @_ZN4vllm3moe10topkGatingILi4ELi32ELi4ELi16ELi64EjfLNS0_11ScoringFuncE1EEEvPKT5_PKbPfiPT4_PiiiibPKf
; %bb.0:
	s_load_b32 s14, s[0:1], 0x18
	v_bfe_u32 v1, v0, 10, 10
	v_and_b32_e32 v0, 0x3ff, v0
	s_lshl_b32 s2, s15, 5
	s_delay_alu instid0(VALU_DEP_2) | instskip(NEXT) | instid1(VALU_DEP_2)
	v_lshlrev_b32_e32 v1, 3, v1
	v_lshrrev_b32_e32 v2, 3, v0
	s_delay_alu instid0(VALU_DEP_1) | instskip(SKIP_2) | instid1(VALU_DEP_1)
	v_add3_u32 v8, s2, v1, v2
	s_mov_b32 s2, exec_lo
	s_waitcnt lgkmcnt(0)
	v_cmpx_gt_i32_e64 s14, v8
	s_cbranch_execz .LBB219_33
; %bb.1:
	s_clause 0x1
	s_load_b128 s[4:7], s[0:1], 0x0
	s_load_b64 s[12:13], s[0:1], 0x10
	s_mov_b32 s8, -1
	s_mov_b32 s15, -1
	s_waitcnt lgkmcnt(0)
	s_cmp_eq_u64 s[6:7], 0
	s_cbranch_scc1 .LBB219_3
; %bb.2:
	v_ashrrev_i32_e32 v2, 31, v8
	v_add_co_u32 v1, vcc_lo, s6, v8
	s_delay_alu instid0(VALU_DEP_2) | instskip(SKIP_3) | instid1(VALU_DEP_1)
	v_add_co_ci_u32_e32 v2, vcc_lo, s7, v2, vcc_lo
	global_load_u8 v1, v[1:2], off
	s_waitcnt vmcnt(0)
	v_and_b32_e32 v1, 1, v1
	v_cmp_eq_u32_e32 vcc_lo, 1, v1
	s_xor_b32 s2, vcc_lo, -1
	s_delay_alu instid0(SALU_CYCLE_1)
	s_or_not1_b32 s15, s2, exec_lo
.LBB219_3:
	v_lshlrev_b32_e32 v1, 5, v8
	v_and_b32_e32 v9, 7, v0
	s_load_b64 s[6:7], s[0:1], 0x40
	s_delay_alu instid0(VALU_DEP_2) | instskip(NEXT) | instid1(VALU_DEP_1)
	v_ashrrev_i32_e32 v2, 31, v1
	v_lshlrev_b64 v[0:1], 2, v[1:2]
	s_delay_alu instid0(VALU_DEP_3) | instskip(NEXT) | instid1(VALU_DEP_2)
	v_lshlrev_b32_e32 v2, 4, v9
	v_add_co_u32 v0, vcc_lo, s4, v0
	s_delay_alu instid0(VALU_DEP_3) | instskip(NEXT) | instid1(VALU_DEP_2)
	v_add_co_ci_u32_e32 v1, vcc_lo, s5, v1, vcc_lo
	v_add_co_u32 v0, vcc_lo, v0, v2
	s_delay_alu instid0(VALU_DEP_2)
	v_add_co_ci_u32_e32 v1, vcc_lo, 0, v1, vcc_lo
	s_waitcnt lgkmcnt(0)
	s_cmp_eq_u64 s[6:7], 0
	global_load_b128 v[0:3], v[0:1], off
	s_waitcnt vmcnt(0)
	v_dual_mul_f32 v3, 0xbfb8aa3b, v3 :: v_dual_mul_f32 v0, 0xbfb8aa3b, v0
	v_dual_mul_f32 v1, 0xbfb8aa3b, v1 :: v_dual_mul_f32 v2, 0xbfb8aa3b, v2
	s_delay_alu instid0(VALU_DEP_2) | instskip(NEXT) | instid1(VALU_DEP_2)
	v_exp_f32_e32 v3, v3
	v_exp_f32_e32 v0, v0
	s_delay_alu instid0(VALU_DEP_1) | instskip(NEXT) | instid1(VALU_DEP_1)
	v_exp_f32_e32 v1, v1
	v_exp_f32_e32 v2, v2
	s_waitcnt_depctr 0xfff
	v_dual_add_f32 v0, 1.0, v0 :: v_dual_add_f32 v1, 1.0, v1
	v_add_f32_e32 v2, 1.0, v2
	s_delay_alu instid0(VALU_DEP_2) | instskip(NEXT) | instid1(VALU_DEP_3)
	v_div_scale_f32 v4, null, v0, v0, 1.0
	v_div_scale_f32 v5, null, v1, v1, 1.0
	s_delay_alu instid0(VALU_DEP_3) | instskip(NEXT) | instid1(VALU_DEP_3)
	v_div_scale_f32 v6, null, v2, v2, 1.0
	v_rcp_f32_e32 v11, v4
	s_delay_alu instid0(VALU_DEP_2) | instskip(SKIP_1) | instid1(VALU_DEP_2)
	v_rcp_f32_e32 v12, v5
	v_div_scale_f32 v15, vcc_lo, 1.0, v0, 1.0
	v_rcp_f32_e32 v13, v6
	v_div_scale_f32 v16, s2, 1.0, v1, 1.0
	v_div_scale_f32 v17, s3, 1.0, v2, 1.0
	s_delay_alu instid0(TRANS32_DEP_3) | instskip(SKIP_4) | instid1(VALU_DEP_3)
	v_fma_f32 v10, -v4, v11, 1.0
	s_waitcnt_depctr 0xfff
	v_fma_f32 v18, -v5, v12, 1.0
	v_add_f32_e32 v3, 1.0, v3
	v_fma_f32 v19, -v6, v13, 1.0
	v_fmac_f32_e32 v12, v18, v12
	s_delay_alu instid0(VALU_DEP_3) | instskip(SKIP_1) | instid1(VALU_DEP_2)
	v_div_scale_f32 v7, null, v3, v3, 1.0
	v_div_scale_f32 v21, s4, 1.0, v3, 1.0
	v_rcp_f32_e32 v14, v7
	s_waitcnt_depctr 0xfff
	v_fma_f32 v20, -v7, v14, 1.0
	s_delay_alu instid0(VALU_DEP_1) | instskip(NEXT) | instid1(VALU_DEP_1)
	v_dual_fmac_f32 v11, v10, v11 :: v_dual_fmac_f32 v14, v20, v14
	v_mul_f32_e32 v18, v15, v11
	v_fmac_f32_e32 v13, v19, v13
	s_delay_alu instid0(VALU_DEP_3) | instskip(NEXT) | instid1(VALU_DEP_3)
	v_dual_mul_f32 v19, v16, v12 :: v_dual_mul_f32 v22, v21, v14
	v_fma_f32 v10, -v4, v18, v15
	s_delay_alu instid0(VALU_DEP_2) | instskip(NEXT) | instid1(VALU_DEP_4)
	v_fma_f32 v23, -v5, v19, v16
	v_mul_f32_e32 v20, v17, v13
	s_delay_alu instid0(VALU_DEP_4) | instskip(NEXT) | instid1(VALU_DEP_4)
	v_fma_f32 v25, -v7, v22, v21
	v_fmac_f32_e32 v18, v10, v11
	s_delay_alu instid0(VALU_DEP_4) | instskip(NEXT) | instid1(VALU_DEP_4)
	v_dual_fmac_f32 v19, v23, v12 :: v_dual_lshlrev_b32 v10, 2, v9
	v_fma_f32 v24, -v6, v20, v17
	s_delay_alu instid0(VALU_DEP_4) | instskip(NEXT) | instid1(VALU_DEP_4)
	v_fmac_f32_e32 v22, v25, v14
	v_fma_f32 v4, -v4, v18, v15
	s_delay_alu instid0(VALU_DEP_4) | instskip(NEXT) | instid1(VALU_DEP_4)
	v_fma_f32 v5, -v5, v19, v16
	v_fmac_f32_e32 v20, v24, v13
	s_delay_alu instid0(VALU_DEP_4) | instskip(NEXT) | instid1(VALU_DEP_4)
	v_fma_f32 v7, -v7, v22, v21
	v_div_fmas_f32 v4, v4, v11, v18
	s_mov_b32 vcc_lo, s2
	s_delay_alu instid0(VALU_DEP_3) | instskip(SKIP_1) | instid1(VALU_DEP_3)
	v_fma_f32 v6, -v6, v20, v17
	v_div_fmas_f32 v5, v5, v12, v19
	v_div_fixup_f32 v0, v4, v0, 1.0
	s_mov_b32 vcc_lo, s3
	s_delay_alu instid0(VALU_DEP_3)
	v_div_fmas_f32 v6, v6, v13, v20
	s_mov_b32 vcc_lo, s4
	v_div_fixup_f32 v1, v5, v1, 1.0
	v_div_fmas_f32 v4, v7, v14, v22
	v_cmp_class_f32_e64 vcc_lo, v0, 0x1f8
	v_div_fixup_f32 v2, v6, v2, 1.0
	s_delay_alu instid0(VALU_DEP_3)
	v_div_fixup_f32 v3, v4, v3, 1.0
	v_cndmask_b32_e32 v0, 0, v0, vcc_lo
	v_cmp_class_f32_e64 vcc_lo, v1, 0x1f8
	v_cndmask_b32_e32 v1, 0, v1, vcc_lo
	v_cmp_class_f32_e64 vcc_lo, v2, 0x1f8
	;; [unrolled: 2-line block ×3, first 2 shown]
	v_cndmask_b32_e32 v3, 0, v3, vcc_lo
	s_cbranch_scc1 .LBB219_27
; %bb.4:
	v_lshlrev_b32_e32 v4, 2, v10
	global_load_b128 v[4:7], v4, s[6:7]
	s_waitcnt vmcnt(0)
	v_dual_add_f32 v5, v5, v1 :: v_dual_add_f32 v4, v4, v0
	v_dual_add_f32 v7, v7, v3 :: v_dual_add_f32 v6, v6, v2
	s_cbranch_execnz .LBB219_6
.LBB219_5:
	v_dual_mov_b32 v7, v3 :: v_dual_mov_b32 v6, v2
	v_dual_mov_b32 v5, v1 :: v_dual_mov_b32 v4, v0
.LBB219_6:
	s_load_b128 s[4:7], s[0:1], 0x30
	v_cmp_eq_u32_e64 s2, 0, v9
	s_waitcnt lgkmcnt(0)
	s_bitcmp1_b32 s7, 0
	s_mov_b32 s7, 0
	s_cselect_b32 vcc_lo, -1, 0
	s_cmp_gt_i32 s4, 0
	s_cselect_b32 s3, -1, 0
	s_cmp_lt_i32 s4, 1
	s_cbranch_scc1 .LBB219_28
; %bb.7:
	v_mbcnt_lo_u32_b32 v11, -1, 0
	s_load_b128 s[8:11], s[0:1], 0x20
	v_mov_b32_e32 v16, v8
	s_delay_alu instid0(VALU_DEP_2) | instskip(SKIP_3) | instid1(VALU_DEP_4)
	v_and_b32_e32 v12, 24, v11
	v_xor_b32_e32 v13, 4, v11
	v_xor_b32_e32 v14, 2, v11
	;; [unrolled: 1-line block ×3, first 2 shown]
	v_add_nc_u32_e32 v12, 8, v12
	s_delay_alu instid0(VALU_DEP_1) | instskip(NEXT) | instid1(VALU_DEP_1)
	v_cmp_lt_i32_e64 s0, v13, v12
	v_cndmask_b32_e64 v13, v11, v13, s0
	v_cmp_lt_i32_e64 s0, v14, v12
	s_delay_alu instid0(VALU_DEP_2) | instskip(NEXT) | instid1(VALU_DEP_2)
	v_lshlrev_b32_e32 v13, 2, v13
	v_cndmask_b32_e64 v14, v11, v14, s0
	v_cmp_lt_i32_e64 s0, v15, v12
	v_mul_lo_u32 v12, v8, s4
	s_delay_alu instid0(VALU_DEP_3) | instskip(NEXT) | instid1(VALU_DEP_3)
	v_lshlrev_b32_e32 v14, 2, v14
	v_cndmask_b32_e64 v15, v11, v15, s0
	v_mov_b32_e32 v11, 0
	s_delay_alu instid0(VALU_DEP_2)
	v_lshlrev_b32_e32 v15, 2, v15
	s_branch .LBB219_10
.LBB219_8:                              ;   in Loop: Header=BB219_10 Depth=1
	s_or_b32 exec_lo, exec_lo, s1
.LBB219_9:                              ;   in Loop: Header=BB219_10 Depth=1
	v_add_nc_u32_e32 v16, s14, v16
	s_cmp_eq_u32 s4, s7
	s_cbranch_scc1 .LBB219_29
.LBB219_10:                             ; =>This Inner Loop Header: Depth=1
	v_cmp_gt_f32_e64 s0, v5, v4
	s_mov_b32 s17, exec_lo
	s_delay_alu instid0(VALU_DEP_1) | instskip(SKIP_2) | instid1(VALU_DEP_3)
	v_cndmask_b32_e64 v18, v4, v5, s0
	v_cndmask_b32_e64 v17, 0, 1, s0
	;; [unrolled: 1-line block ×3, first 2 shown]
	v_cmp_gt_f32_e64 s1, v6, v18
	s_delay_alu instid0(VALU_DEP_1) | instskip(NEXT) | instid1(VALU_DEP_4)
	v_cndmask_b32_e64 v18, v18, v6, s1
	v_cndmask_b32_e64 v17, v17, 2, s1
	s_waitcnt lgkmcnt(0)
	v_cndmask_b32_e64 v20, v19, v2, s1
	s_delay_alu instid0(VALU_DEP_3) | instskip(NEXT) | instid1(VALU_DEP_1)
	v_cmp_gt_f32_e64 s0, v7, v18
	v_cndmask_b32_e64 v17, v17, 3, s0
	v_cndmask_b32_e64 v19, v18, v7, s0
	s_delay_alu instid0(VALU_DEP_4) | instskip(NEXT) | instid1(VALU_DEP_3)
	v_cndmask_b32_e64 v18, v20, v3, s0
	v_or_b32_e32 v17, v10, v17
	ds_bpermute_b32 v20, v13, v19
	ds_bpermute_b32 v22, v13, v18
	;; [unrolled: 1-line block ×3, first 2 shown]
	s_waitcnt lgkmcnt(0)
	v_cmp_lt_f32_e64 s16, v19, v20
	v_cmpx_nlt_f32_e32 v19, v20
; %bb.11:                               ;   in Loop: Header=BB219_10 Depth=1
	v_cmp_eq_f32_e64 s0, v19, v20
	v_cmp_lt_i32_e64 s1, v21, v17
	s_delay_alu instid0(VALU_DEP_1) | instskip(SKIP_2) | instid1(SALU_CYCLE_1)
	s_and_b32 s0, s0, s1
	s_and_not1_b32 s1, s16, exec_lo
	s_and_b32 s0, s0, exec_lo
	s_or_b32 s16, s1, s0
; %bb.12:                               ;   in Loop: Header=BB219_10 Depth=1
	s_or_b32 exec_lo, exec_lo, s17
	s_and_saveexec_b32 s0, s16
; %bb.13:                               ;   in Loop: Header=BB219_10 Depth=1
	v_dual_mov_b32 v18, v22 :: v_dual_mov_b32 v19, v20
	v_mov_b32_e32 v17, v21
; %bb.14:                               ;   in Loop: Header=BB219_10 Depth=1
	s_or_b32 exec_lo, exec_lo, s0
	ds_bpermute_b32 v20, v14, v19
	ds_bpermute_b32 v22, v14, v18
	;; [unrolled: 1-line block ×3, first 2 shown]
	s_mov_b32 s17, exec_lo
	s_waitcnt lgkmcnt(2)
	v_cmp_lt_f32_e64 s16, v19, v20
	v_cmpx_nlt_f32_e32 v19, v20
	s_cbranch_execz .LBB219_16
; %bb.15:                               ;   in Loop: Header=BB219_10 Depth=1
	v_cmp_eq_f32_e64 s0, v19, v20
	s_waitcnt lgkmcnt(0)
	v_cmp_lt_i32_e64 s1, v21, v17
	s_delay_alu instid0(VALU_DEP_1) | instskip(SKIP_2) | instid1(SALU_CYCLE_1)
	s_and_b32 s0, s0, s1
	s_and_not1_b32 s1, s16, exec_lo
	s_and_b32 s0, s0, exec_lo
	s_or_b32 s16, s1, s0
.LBB219_16:                             ;   in Loop: Header=BB219_10 Depth=1
	s_or_b32 exec_lo, exec_lo, s17
	s_delay_alu instid0(VALU_DEP_2)
	s_and_saveexec_b32 s0, s16
	s_cbranch_execz .LBB219_18
; %bb.17:                               ;   in Loop: Header=BB219_10 Depth=1
	s_waitcnt lgkmcnt(1)
	v_dual_mov_b32 v18, v22 :: v_dual_mov_b32 v19, v20
	s_waitcnt lgkmcnt(0)
	v_mov_b32_e32 v17, v21
.LBB219_18:                             ;   in Loop: Header=BB219_10 Depth=1
	s_or_b32 exec_lo, exec_lo, s0
	s_waitcnt lgkmcnt(1)
	ds_bpermute_b32 v22, v15, v19
	ds_bpermute_b32 v20, v15, v18
	s_waitcnt lgkmcnt(2)
	ds_bpermute_b32 v21, v15, v17
	s_mov_b32 s17, exec_lo
	s_waitcnt lgkmcnt(2)
	v_cmp_lt_f32_e64 s16, v19, v22
	v_cmpx_nlt_f32_e32 v19, v22
	s_cbranch_execnz .LBB219_22
; %bb.19:                               ;   in Loop: Header=BB219_10 Depth=1
	s_or_b32 exec_lo, exec_lo, s17
	s_delay_alu instid0(VALU_DEP_2)
	s_and_saveexec_b32 s0, s16
	s_cbranch_execnz .LBB219_23
.LBB219_20:                             ;   in Loop: Header=BB219_10 Depth=1
	s_or_b32 exec_lo, exec_lo, s0
	s_and_saveexec_b32 s16, s2
	s_cbranch_execnz .LBB219_24
.LBB219_21:                             ;   in Loop: Header=BB219_10 Depth=1
	s_or_b32 exec_lo, exec_lo, s16
	s_add_i32 s7, s7, 1
	s_delay_alu instid0(SALU_CYCLE_1)
	s_cmp_ge_i32 s7, s4
	s_cbranch_scc1 .LBB219_9
	s_branch .LBB219_25
.LBB219_22:                             ;   in Loop: Header=BB219_10 Depth=1
	v_cmp_eq_f32_e64 s0, v19, v22
	s_waitcnt lgkmcnt(0)
	v_cmp_lt_i32_e64 s1, v21, v17
	s_delay_alu instid0(VALU_DEP_1) | instskip(SKIP_2) | instid1(SALU_CYCLE_1)
	s_and_b32 s0, s0, s1
	s_and_not1_b32 s1, s16, exec_lo
	s_and_b32 s0, s0, exec_lo
	s_or_b32 s16, s1, s0
	s_or_b32 exec_lo, exec_lo, s17
	s_and_saveexec_b32 s0, s16
	s_cbranch_execz .LBB219_20
.LBB219_23:                             ;   in Loop: Header=BB219_10 Depth=1
	s_waitcnt lgkmcnt(0)
	v_dual_mov_b32 v17, v21 :: v_dual_mov_b32 v18, v20
	s_or_b32 exec_lo, exec_lo, s0
	s_and_saveexec_b32 s16, s2
	s_cbranch_execz .LBB219_21
.LBB219_24:                             ;   in Loop: Header=BB219_10 Depth=1
	s_delay_alu instid0(VALU_DEP_1)
	v_dual_add_f32 v26, v11, v18 :: v_dual_add_nc_u32 v19, s7, v12
	v_cmp_le_i32_e64 s0, s5, v17
	v_cmp_gt_i32_e64 s1, s6, v17
	s_waitcnt lgkmcnt(0)
	v_subrev_nc_u32_e32 v21, s5, v17
	v_ashrrev_i32_e32 v20, 31, v19
	v_cndmask_b32_e32 v11, v11, v26, vcc_lo
	s_and_b32 s0, s0, s1
	s_delay_alu instid0(SALU_CYCLE_1) | instskip(NEXT) | instid1(VALU_DEP_2)
	s_and_b32 s0, s15, s0
	v_lshlrev_b64 v[19:20], 2, v[19:20]
	v_cndmask_b32_e64 v25, 32, v21, s0
	s_delay_alu instid0(VALU_DEP_2) | instskip(NEXT) | instid1(VALU_DEP_1)
	v_add_co_u32 v21, s0, s12, v19
	v_add_co_ci_u32_e64 v22, s0, s13, v20, s0
	v_add_co_u32 v23, s0, s8, v19
	s_delay_alu instid0(VALU_DEP_1) | instskip(SKIP_1) | instid1(VALU_DEP_1)
	v_add_co_ci_u32_e64 v24, s0, s9, v20, s0
	v_add_co_u32 v19, s0, s10, v19
	v_add_co_ci_u32_e64 v20, s0, s11, v20, s0
	global_store_b32 v[21:22], v18, off
	global_store_b32 v[23:24], v25, off
	;; [unrolled: 1-line block ×3, first 2 shown]
	s_or_b32 exec_lo, exec_lo, s16
	s_add_i32 s7, s7, 1
	s_delay_alu instid0(SALU_CYCLE_1)
	s_cmp_ge_i32 s7, s4
	s_cbranch_scc1 .LBB219_9
.LBB219_25:                             ;   in Loop: Header=BB219_10 Depth=1
	v_ashrrev_i32_e32 v19, 31, v17
	s_mov_b32 s1, exec_lo
	s_delay_alu instid0(VALU_DEP_1) | instskip(NEXT) | instid1(VALU_DEP_1)
	v_lshrrev_b32_e32 v18, 30, v19
	v_add_nc_u32_e32 v18, v17, v18
	s_delay_alu instid0(VALU_DEP_1) | instskip(SKIP_1) | instid1(VALU_DEP_1)
	v_ashrrev_i32_e32 v18, 2, v18
	s_waitcnt lgkmcnt(1)
	v_lshrrev_b32_e32 v20, 29, v18
	s_delay_alu instid0(VALU_DEP_1) | instskip(NEXT) | instid1(VALU_DEP_1)
	v_add_nc_u32_e32 v20, v18, v20
	v_and_b32_e32 v20, -8, v20
	s_delay_alu instid0(VALU_DEP_1) | instskip(NEXT) | instid1(VALU_DEP_1)
	v_sub_nc_u32_e32 v20, v18, v20
	v_cmpx_eq_u32_e64 v9, v20
	s_cbranch_execz .LBB219_8
; %bb.26:                               ;   in Loop: Header=BB219_10 Depth=1
	v_lshrrev_b32_e32 v19, 27, v19
	v_lshlrev_b32_e32 v18, 2, v18
	s_delay_alu instid0(VALU_DEP_2) | instskip(NEXT) | instid1(VALU_DEP_2)
	v_add_nc_u32_e32 v19, v17, v19
	v_sub_nc_u32_e32 v17, v17, v18
	s_delay_alu instid0(VALU_DEP_2) | instskip(NEXT) | instid1(VALU_DEP_1)
	v_ashrrev_i32_e32 v18, 5, v19
	v_lshl_add_u32 v17, v18, 2, v17
	s_delay_alu instid0(VALU_DEP_1) | instskip(NEXT) | instid1(VALU_DEP_1)
	v_cmp_ne_u32_e64 s0, 3, v17
	v_cndmask_b32_e64 v7, 0xc61c4000, v7, s0
	v_cmp_ne_u32_e64 s0, 2, v17
	s_delay_alu instid0(VALU_DEP_1) | instskip(SKIP_1) | instid1(VALU_DEP_1)
	v_cndmask_b32_e64 v6, 0xc61c4000, v6, s0
	v_cmp_ne_u32_e64 s0, 1, v17
	v_cndmask_b32_e64 v5, 0xc61c4000, v5, s0
	v_cmp_ne_u32_e64 s0, 0, v17
	s_delay_alu instid0(VALU_DEP_1)
	v_cndmask_b32_e64 v4, 0xc61c4000, v4, s0
	s_branch .LBB219_8
.LBB219_27:
                                        ; implicit-def: $vgpr4_vgpr5_vgpr6_vgpr7
	s_and_not1_b32 vcc_lo, exec_lo, s8
	s_cbranch_vccz .LBB219_5
	s_branch .LBB219_6
.LBB219_28:
	v_mov_b32_e32 v11, 0
.LBB219_29:
	v_cmp_eq_u32_e64 s0, 0, v9
	s_delay_alu instid0(VALU_DEP_1) | instskip(NEXT) | instid1(SALU_CYCLE_1)
	s_and_b32 s0, s0, vcc_lo
	s_and_b32 exec_lo, exec_lo, s0
	s_cbranch_execz .LBB219_33
; %bb.30:
	s_and_not1_b32 vcc_lo, exec_lo, s3
	s_cbranch_vccnz .LBB219_33
; %bb.31:
	v_mul_lo_u32 v0, v8, s4
	v_cmp_lt_f32_e32 vcc_lo, 0, v11
	v_cndmask_b32_e32 v2, 1.0, v11, vcc_lo
	s_delay_alu instid0(VALU_DEP_3) | instskip(NEXT) | instid1(VALU_DEP_1)
	v_ashrrev_i32_e32 v1, 31, v0
	v_lshlrev_b64 v[0:1], 2, v[0:1]
	s_delay_alu instid0(VALU_DEP_1) | instskip(NEXT) | instid1(VALU_DEP_2)
	v_add_co_u32 v0, vcc_lo, s12, v0
	v_add_co_ci_u32_e32 v1, vcc_lo, s13, v1, vcc_lo
	.p2align	6
.LBB219_32:                             ; =>This Inner Loop Header: Depth=1
	global_load_b32 v3, v[0:1], off
	s_add_i32 s4, s4, -1
	s_delay_alu instid0(SALU_CYCLE_1) | instskip(SKIP_3) | instid1(VALU_DEP_2)
	s_cmp_lg_u32 s4, 0
	s_waitcnt vmcnt(0)
	v_div_scale_f32 v4, null, v2, v2, v3
	v_div_scale_f32 v7, vcc_lo, v3, v2, v3
	v_rcp_f32_e32 v5, v4
	s_waitcnt_depctr 0xfff
	v_fma_f32 v6, -v4, v5, 1.0
	s_delay_alu instid0(VALU_DEP_1) | instskip(NEXT) | instid1(VALU_DEP_1)
	v_fmac_f32_e32 v5, v6, v5
	v_mul_f32_e32 v6, v7, v5
	s_delay_alu instid0(VALU_DEP_1) | instskip(NEXT) | instid1(VALU_DEP_1)
	v_fma_f32 v8, -v4, v6, v7
	v_fmac_f32_e32 v6, v8, v5
	s_delay_alu instid0(VALU_DEP_1) | instskip(NEXT) | instid1(VALU_DEP_1)
	v_fma_f32 v4, -v4, v6, v7
	v_div_fmas_f32 v4, v4, v5, v6
	s_delay_alu instid0(VALU_DEP_1)
	v_div_fixup_f32 v3, v4, v2, v3
	global_store_b32 v[0:1], v3, off
	v_add_co_u32 v0, vcc_lo, v0, 4
	v_add_co_ci_u32_e32 v1, vcc_lo, 0, v1, vcc_lo
	s_cbranch_scc1 .LBB219_32
.LBB219_33:
	s_nop 0
	s_sendmsg sendmsg(MSG_DEALLOC_VGPRS)
	s_endpgm
	.section	.rodata,"a",@progbits
	.p2align	6, 0x0
	.amdhsa_kernel _ZN4vllm3moe10topkGatingILi4ELi32ELi4ELi16ELi64EjfLNS0_11ScoringFuncE1EEEvPKT5_PKbPfiPT4_PiiiibPKf
		.amdhsa_group_segment_fixed_size 0
		.amdhsa_private_segment_fixed_size 0
		.amdhsa_kernarg_size 72
		.amdhsa_user_sgpr_count 15
		.amdhsa_user_sgpr_dispatch_ptr 0
		.amdhsa_user_sgpr_queue_ptr 0
		.amdhsa_user_sgpr_kernarg_segment_ptr 1
		.amdhsa_user_sgpr_dispatch_id 0
		.amdhsa_user_sgpr_private_segment_size 0
		.amdhsa_wavefront_size32 1
		.amdhsa_uses_dynamic_stack 0
		.amdhsa_enable_private_segment 0
		.amdhsa_system_sgpr_workgroup_id_x 1
		.amdhsa_system_sgpr_workgroup_id_y 0
		.amdhsa_system_sgpr_workgroup_id_z 0
		.amdhsa_system_sgpr_workgroup_info 0
		.amdhsa_system_vgpr_workitem_id 1
		.amdhsa_next_free_vgpr 27
		.amdhsa_next_free_sgpr 18
		.amdhsa_reserve_vcc 1
		.amdhsa_float_round_mode_32 0
		.amdhsa_float_round_mode_16_64 0
		.amdhsa_float_denorm_mode_32 3
		.amdhsa_float_denorm_mode_16_64 3
		.amdhsa_dx10_clamp 1
		.amdhsa_ieee_mode 1
		.amdhsa_fp16_overflow 0
		.amdhsa_workgroup_processor_mode 1
		.amdhsa_memory_ordered 1
		.amdhsa_forward_progress 0
		.amdhsa_shared_vgpr_count 0
		.amdhsa_exception_fp_ieee_invalid_op 0
		.amdhsa_exception_fp_denorm_src 0
		.amdhsa_exception_fp_ieee_div_zero 0
		.amdhsa_exception_fp_ieee_overflow 0
		.amdhsa_exception_fp_ieee_underflow 0
		.amdhsa_exception_fp_ieee_inexact 0
		.amdhsa_exception_int_div_zero 0
	.end_amdhsa_kernel
	.section	.text._ZN4vllm3moe10topkGatingILi4ELi32ELi4ELi16ELi64EjfLNS0_11ScoringFuncE1EEEvPKT5_PKbPfiPT4_PiiiibPKf,"axG",@progbits,_ZN4vllm3moe10topkGatingILi4ELi32ELi4ELi16ELi64EjfLNS0_11ScoringFuncE1EEEvPKT5_PKbPfiPT4_PiiiibPKf,comdat
.Lfunc_end219:
	.size	_ZN4vllm3moe10topkGatingILi4ELi32ELi4ELi16ELi64EjfLNS0_11ScoringFuncE1EEEvPKT5_PKbPfiPT4_PiiiibPKf, .Lfunc_end219-_ZN4vllm3moe10topkGatingILi4ELi32ELi4ELi16ELi64EjfLNS0_11ScoringFuncE1EEEvPKT5_PKbPfiPT4_PiiiibPKf
                                        ; -- End function
	.section	.AMDGPU.csdata,"",@progbits
; Kernel info:
; codeLenInByte = 2176
; NumSgprs: 20
; NumVgprs: 27
; ScratchSize: 0
; MemoryBound: 0
; FloatMode: 240
; IeeeMode: 1
; LDSByteSize: 0 bytes/workgroup (compile time only)
; SGPRBlocks: 2
; VGPRBlocks: 3
; NumSGPRsForWavesPerEU: 20
; NumVGPRsForWavesPerEU: 27
; Occupancy: 16
; WaveLimiterHint : 0
; COMPUTE_PGM_RSRC2:SCRATCH_EN: 0
; COMPUTE_PGM_RSRC2:USER_SGPR: 15
; COMPUTE_PGM_RSRC2:TRAP_HANDLER: 0
; COMPUTE_PGM_RSRC2:TGID_X_EN: 1
; COMPUTE_PGM_RSRC2:TGID_Y_EN: 0
; COMPUTE_PGM_RSRC2:TGID_Z_EN: 0
; COMPUTE_PGM_RSRC2:TIDIG_COMP_CNT: 1
	.section	.text._ZN4vllm3moe10topkGatingILi4ELi32ELi4ELi16ELi32EjfLNS0_11ScoringFuncE1EEEvPKT5_PKbPfiPT4_PiiiibPKf,"axG",@progbits,_ZN4vllm3moe10topkGatingILi4ELi32ELi4ELi16ELi32EjfLNS0_11ScoringFuncE1EEEvPKT5_PKbPfiPT4_PiiiibPKf,comdat
	.protected	_ZN4vllm3moe10topkGatingILi4ELi32ELi4ELi16ELi32EjfLNS0_11ScoringFuncE1EEEvPKT5_PKbPfiPT4_PiiiibPKf ; -- Begin function _ZN4vllm3moe10topkGatingILi4ELi32ELi4ELi16ELi32EjfLNS0_11ScoringFuncE1EEEvPKT5_PKbPfiPT4_PiiiibPKf
	.globl	_ZN4vllm3moe10topkGatingILi4ELi32ELi4ELi16ELi32EjfLNS0_11ScoringFuncE1EEEvPKT5_PKbPfiPT4_PiiiibPKf
	.p2align	8
	.type	_ZN4vllm3moe10topkGatingILi4ELi32ELi4ELi16ELi32EjfLNS0_11ScoringFuncE1EEEvPKT5_PKbPfiPT4_PiiiibPKf,@function
_ZN4vllm3moe10topkGatingILi4ELi32ELi4ELi16ELi32EjfLNS0_11ScoringFuncE1EEEvPKT5_PKbPfiPT4_PiiiibPKf: ; @_ZN4vllm3moe10topkGatingILi4ELi32ELi4ELi16ELi32EjfLNS0_11ScoringFuncE1EEEvPKT5_PKbPfiPT4_PiiiibPKf
; %bb.0:
	s_load_b32 s14, s[0:1], 0x18
	v_bfe_u32 v1, v0, 10, 10
	v_and_b32_e32 v0, 0x3ff, v0
	s_lshl_b32 s2, s15, 4
	s_delay_alu instid0(VALU_DEP_2) | instskip(NEXT) | instid1(VALU_DEP_2)
	v_lshlrev_b32_e32 v1, 2, v1
	v_lshrrev_b32_e32 v2, 3, v0
	s_delay_alu instid0(VALU_DEP_1) | instskip(SKIP_2) | instid1(VALU_DEP_1)
	v_add3_u32 v8, s2, v1, v2
	s_mov_b32 s2, exec_lo
	s_waitcnt lgkmcnt(0)
	v_cmpx_gt_i32_e64 s14, v8
	s_cbranch_execz .LBB220_33
; %bb.1:
	s_clause 0x1
	s_load_b128 s[4:7], s[0:1], 0x0
	s_load_b64 s[12:13], s[0:1], 0x10
	s_mov_b32 s8, -1
	s_mov_b32 s15, -1
	s_waitcnt lgkmcnt(0)
	s_cmp_eq_u64 s[6:7], 0
	s_cbranch_scc1 .LBB220_3
; %bb.2:
	v_ashrrev_i32_e32 v2, 31, v8
	v_add_co_u32 v1, vcc_lo, s6, v8
	s_delay_alu instid0(VALU_DEP_2) | instskip(SKIP_3) | instid1(VALU_DEP_1)
	v_add_co_ci_u32_e32 v2, vcc_lo, s7, v2, vcc_lo
	global_load_u8 v1, v[1:2], off
	s_waitcnt vmcnt(0)
	v_and_b32_e32 v1, 1, v1
	v_cmp_eq_u32_e32 vcc_lo, 1, v1
	s_xor_b32 s2, vcc_lo, -1
	s_delay_alu instid0(SALU_CYCLE_1)
	s_or_not1_b32 s15, s2, exec_lo
.LBB220_3:
	v_lshlrev_b32_e32 v1, 5, v8
	v_and_b32_e32 v9, 7, v0
	s_load_b64 s[6:7], s[0:1], 0x40
	s_delay_alu instid0(VALU_DEP_2) | instskip(NEXT) | instid1(VALU_DEP_1)
	v_ashrrev_i32_e32 v2, 31, v1
	v_lshlrev_b64 v[0:1], 2, v[1:2]
	s_delay_alu instid0(VALU_DEP_3) | instskip(NEXT) | instid1(VALU_DEP_2)
	v_lshlrev_b32_e32 v2, 4, v9
	v_add_co_u32 v0, vcc_lo, s4, v0
	s_delay_alu instid0(VALU_DEP_3) | instskip(NEXT) | instid1(VALU_DEP_2)
	v_add_co_ci_u32_e32 v1, vcc_lo, s5, v1, vcc_lo
	v_add_co_u32 v0, vcc_lo, v0, v2
	s_delay_alu instid0(VALU_DEP_2)
	v_add_co_ci_u32_e32 v1, vcc_lo, 0, v1, vcc_lo
	s_waitcnt lgkmcnt(0)
	s_cmp_eq_u64 s[6:7], 0
	global_load_b128 v[0:3], v[0:1], off
	s_waitcnt vmcnt(0)
	v_dual_mul_f32 v3, 0xbfb8aa3b, v3 :: v_dual_mul_f32 v0, 0xbfb8aa3b, v0
	v_dual_mul_f32 v1, 0xbfb8aa3b, v1 :: v_dual_mul_f32 v2, 0xbfb8aa3b, v2
	s_delay_alu instid0(VALU_DEP_2) | instskip(NEXT) | instid1(VALU_DEP_2)
	v_exp_f32_e32 v3, v3
	v_exp_f32_e32 v0, v0
	s_delay_alu instid0(VALU_DEP_1) | instskip(NEXT) | instid1(VALU_DEP_1)
	v_exp_f32_e32 v1, v1
	v_exp_f32_e32 v2, v2
	s_waitcnt_depctr 0xfff
	v_dual_add_f32 v0, 1.0, v0 :: v_dual_add_f32 v1, 1.0, v1
	v_add_f32_e32 v2, 1.0, v2
	s_delay_alu instid0(VALU_DEP_2) | instskip(NEXT) | instid1(VALU_DEP_3)
	v_div_scale_f32 v4, null, v0, v0, 1.0
	v_div_scale_f32 v5, null, v1, v1, 1.0
	s_delay_alu instid0(VALU_DEP_3) | instskip(NEXT) | instid1(VALU_DEP_3)
	v_div_scale_f32 v6, null, v2, v2, 1.0
	v_rcp_f32_e32 v11, v4
	s_delay_alu instid0(VALU_DEP_2) | instskip(SKIP_1) | instid1(VALU_DEP_2)
	v_rcp_f32_e32 v12, v5
	v_div_scale_f32 v15, vcc_lo, 1.0, v0, 1.0
	v_rcp_f32_e32 v13, v6
	v_div_scale_f32 v16, s2, 1.0, v1, 1.0
	v_div_scale_f32 v17, s3, 1.0, v2, 1.0
	s_delay_alu instid0(TRANS32_DEP_3) | instskip(SKIP_4) | instid1(VALU_DEP_3)
	v_fma_f32 v10, -v4, v11, 1.0
	s_waitcnt_depctr 0xfff
	v_fma_f32 v18, -v5, v12, 1.0
	v_add_f32_e32 v3, 1.0, v3
	v_fma_f32 v19, -v6, v13, 1.0
	v_fmac_f32_e32 v12, v18, v12
	s_delay_alu instid0(VALU_DEP_3) | instskip(SKIP_1) | instid1(VALU_DEP_2)
	v_div_scale_f32 v7, null, v3, v3, 1.0
	v_div_scale_f32 v21, s4, 1.0, v3, 1.0
	v_rcp_f32_e32 v14, v7
	s_waitcnt_depctr 0xfff
	v_fma_f32 v20, -v7, v14, 1.0
	s_delay_alu instid0(VALU_DEP_1) | instskip(NEXT) | instid1(VALU_DEP_1)
	v_dual_fmac_f32 v11, v10, v11 :: v_dual_fmac_f32 v14, v20, v14
	v_mul_f32_e32 v18, v15, v11
	v_fmac_f32_e32 v13, v19, v13
	s_delay_alu instid0(VALU_DEP_3) | instskip(NEXT) | instid1(VALU_DEP_3)
	v_dual_mul_f32 v19, v16, v12 :: v_dual_mul_f32 v22, v21, v14
	v_fma_f32 v10, -v4, v18, v15
	s_delay_alu instid0(VALU_DEP_2) | instskip(NEXT) | instid1(VALU_DEP_4)
	v_fma_f32 v23, -v5, v19, v16
	v_mul_f32_e32 v20, v17, v13
	s_delay_alu instid0(VALU_DEP_4) | instskip(NEXT) | instid1(VALU_DEP_4)
	v_fma_f32 v25, -v7, v22, v21
	v_fmac_f32_e32 v18, v10, v11
	s_delay_alu instid0(VALU_DEP_4) | instskip(NEXT) | instid1(VALU_DEP_4)
	v_dual_fmac_f32 v19, v23, v12 :: v_dual_lshlrev_b32 v10, 2, v9
	v_fma_f32 v24, -v6, v20, v17
	s_delay_alu instid0(VALU_DEP_4) | instskip(NEXT) | instid1(VALU_DEP_4)
	v_fmac_f32_e32 v22, v25, v14
	v_fma_f32 v4, -v4, v18, v15
	s_delay_alu instid0(VALU_DEP_4) | instskip(NEXT) | instid1(VALU_DEP_4)
	v_fma_f32 v5, -v5, v19, v16
	v_fmac_f32_e32 v20, v24, v13
	s_delay_alu instid0(VALU_DEP_4) | instskip(NEXT) | instid1(VALU_DEP_4)
	v_fma_f32 v7, -v7, v22, v21
	v_div_fmas_f32 v4, v4, v11, v18
	s_mov_b32 vcc_lo, s2
	s_delay_alu instid0(VALU_DEP_3) | instskip(SKIP_1) | instid1(VALU_DEP_3)
	v_fma_f32 v6, -v6, v20, v17
	v_div_fmas_f32 v5, v5, v12, v19
	v_div_fixup_f32 v0, v4, v0, 1.0
	s_mov_b32 vcc_lo, s3
	s_delay_alu instid0(VALU_DEP_3)
	v_div_fmas_f32 v6, v6, v13, v20
	s_mov_b32 vcc_lo, s4
	v_div_fixup_f32 v1, v5, v1, 1.0
	v_div_fmas_f32 v4, v7, v14, v22
	v_cmp_class_f32_e64 vcc_lo, v0, 0x1f8
	v_div_fixup_f32 v2, v6, v2, 1.0
	s_delay_alu instid0(VALU_DEP_3)
	v_div_fixup_f32 v3, v4, v3, 1.0
	v_cndmask_b32_e32 v0, 0, v0, vcc_lo
	v_cmp_class_f32_e64 vcc_lo, v1, 0x1f8
	v_cndmask_b32_e32 v1, 0, v1, vcc_lo
	v_cmp_class_f32_e64 vcc_lo, v2, 0x1f8
	;; [unrolled: 2-line block ×3, first 2 shown]
	v_cndmask_b32_e32 v3, 0, v3, vcc_lo
	s_cbranch_scc1 .LBB220_27
; %bb.4:
	v_lshlrev_b32_e32 v4, 2, v10
	global_load_b128 v[4:7], v4, s[6:7]
	s_waitcnt vmcnt(0)
	v_dual_add_f32 v5, v5, v1 :: v_dual_add_f32 v4, v4, v0
	v_dual_add_f32 v7, v7, v3 :: v_dual_add_f32 v6, v6, v2
	s_cbranch_execnz .LBB220_6
.LBB220_5:
	v_dual_mov_b32 v7, v3 :: v_dual_mov_b32 v6, v2
	v_dual_mov_b32 v5, v1 :: v_dual_mov_b32 v4, v0
.LBB220_6:
	s_load_b128 s[4:7], s[0:1], 0x30
	v_cmp_eq_u32_e64 s2, 0, v9
	s_waitcnt lgkmcnt(0)
	s_bitcmp1_b32 s7, 0
	s_mov_b32 s7, 0
	s_cselect_b32 vcc_lo, -1, 0
	s_cmp_gt_i32 s4, 0
	s_cselect_b32 s3, -1, 0
	s_cmp_lt_i32 s4, 1
	s_cbranch_scc1 .LBB220_28
; %bb.7:
	v_mbcnt_lo_u32_b32 v11, -1, 0
	s_load_b128 s[8:11], s[0:1], 0x20
	v_mov_b32_e32 v16, v8
	s_delay_alu instid0(VALU_DEP_2) | instskip(SKIP_3) | instid1(VALU_DEP_4)
	v_and_b32_e32 v12, 24, v11
	v_xor_b32_e32 v13, 4, v11
	v_xor_b32_e32 v14, 2, v11
	;; [unrolled: 1-line block ×3, first 2 shown]
	v_add_nc_u32_e32 v12, 8, v12
	s_delay_alu instid0(VALU_DEP_1) | instskip(NEXT) | instid1(VALU_DEP_1)
	v_cmp_lt_i32_e64 s0, v13, v12
	v_cndmask_b32_e64 v13, v11, v13, s0
	v_cmp_lt_i32_e64 s0, v14, v12
	s_delay_alu instid0(VALU_DEP_2) | instskip(NEXT) | instid1(VALU_DEP_2)
	v_lshlrev_b32_e32 v13, 2, v13
	v_cndmask_b32_e64 v14, v11, v14, s0
	v_cmp_lt_i32_e64 s0, v15, v12
	v_mul_lo_u32 v12, v8, s4
	s_delay_alu instid0(VALU_DEP_3) | instskip(NEXT) | instid1(VALU_DEP_3)
	v_lshlrev_b32_e32 v14, 2, v14
	v_cndmask_b32_e64 v15, v11, v15, s0
	v_mov_b32_e32 v11, 0
	s_delay_alu instid0(VALU_DEP_2)
	v_lshlrev_b32_e32 v15, 2, v15
	s_branch .LBB220_10
.LBB220_8:                              ;   in Loop: Header=BB220_10 Depth=1
	s_or_b32 exec_lo, exec_lo, s1
.LBB220_9:                              ;   in Loop: Header=BB220_10 Depth=1
	v_add_nc_u32_e32 v16, s14, v16
	s_cmp_eq_u32 s4, s7
	s_cbranch_scc1 .LBB220_29
.LBB220_10:                             ; =>This Inner Loop Header: Depth=1
	v_cmp_gt_f32_e64 s0, v5, v4
	s_mov_b32 s17, exec_lo
	s_delay_alu instid0(VALU_DEP_1) | instskip(SKIP_2) | instid1(VALU_DEP_3)
	v_cndmask_b32_e64 v18, v4, v5, s0
	v_cndmask_b32_e64 v17, 0, 1, s0
	;; [unrolled: 1-line block ×3, first 2 shown]
	v_cmp_gt_f32_e64 s1, v6, v18
	s_delay_alu instid0(VALU_DEP_1) | instskip(NEXT) | instid1(VALU_DEP_4)
	v_cndmask_b32_e64 v18, v18, v6, s1
	v_cndmask_b32_e64 v17, v17, 2, s1
	s_waitcnt lgkmcnt(0)
	v_cndmask_b32_e64 v20, v19, v2, s1
	s_delay_alu instid0(VALU_DEP_3) | instskip(NEXT) | instid1(VALU_DEP_1)
	v_cmp_gt_f32_e64 s0, v7, v18
	v_cndmask_b32_e64 v17, v17, 3, s0
	v_cndmask_b32_e64 v19, v18, v7, s0
	s_delay_alu instid0(VALU_DEP_4) | instskip(NEXT) | instid1(VALU_DEP_3)
	v_cndmask_b32_e64 v18, v20, v3, s0
	v_or_b32_e32 v17, v10, v17
	ds_bpermute_b32 v20, v13, v19
	ds_bpermute_b32 v22, v13, v18
	;; [unrolled: 1-line block ×3, first 2 shown]
	s_waitcnt lgkmcnt(0)
	v_cmp_lt_f32_e64 s16, v19, v20
	v_cmpx_nlt_f32_e32 v19, v20
; %bb.11:                               ;   in Loop: Header=BB220_10 Depth=1
	v_cmp_eq_f32_e64 s0, v19, v20
	v_cmp_lt_i32_e64 s1, v21, v17
	s_delay_alu instid0(VALU_DEP_1) | instskip(SKIP_2) | instid1(SALU_CYCLE_1)
	s_and_b32 s0, s0, s1
	s_and_not1_b32 s1, s16, exec_lo
	s_and_b32 s0, s0, exec_lo
	s_or_b32 s16, s1, s0
; %bb.12:                               ;   in Loop: Header=BB220_10 Depth=1
	s_or_b32 exec_lo, exec_lo, s17
	s_and_saveexec_b32 s0, s16
; %bb.13:                               ;   in Loop: Header=BB220_10 Depth=1
	v_dual_mov_b32 v18, v22 :: v_dual_mov_b32 v19, v20
	v_mov_b32_e32 v17, v21
; %bb.14:                               ;   in Loop: Header=BB220_10 Depth=1
	s_or_b32 exec_lo, exec_lo, s0
	ds_bpermute_b32 v20, v14, v19
	ds_bpermute_b32 v22, v14, v18
	;; [unrolled: 1-line block ×3, first 2 shown]
	s_mov_b32 s17, exec_lo
	s_waitcnt lgkmcnt(2)
	v_cmp_lt_f32_e64 s16, v19, v20
	v_cmpx_nlt_f32_e32 v19, v20
	s_cbranch_execz .LBB220_16
; %bb.15:                               ;   in Loop: Header=BB220_10 Depth=1
	v_cmp_eq_f32_e64 s0, v19, v20
	s_waitcnt lgkmcnt(0)
	v_cmp_lt_i32_e64 s1, v21, v17
	s_delay_alu instid0(VALU_DEP_1) | instskip(SKIP_2) | instid1(SALU_CYCLE_1)
	s_and_b32 s0, s0, s1
	s_and_not1_b32 s1, s16, exec_lo
	s_and_b32 s0, s0, exec_lo
	s_or_b32 s16, s1, s0
.LBB220_16:                             ;   in Loop: Header=BB220_10 Depth=1
	s_or_b32 exec_lo, exec_lo, s17
	s_delay_alu instid0(VALU_DEP_2)
	s_and_saveexec_b32 s0, s16
	s_cbranch_execz .LBB220_18
; %bb.17:                               ;   in Loop: Header=BB220_10 Depth=1
	s_waitcnt lgkmcnt(1)
	v_dual_mov_b32 v18, v22 :: v_dual_mov_b32 v19, v20
	s_waitcnt lgkmcnt(0)
	v_mov_b32_e32 v17, v21
.LBB220_18:                             ;   in Loop: Header=BB220_10 Depth=1
	s_or_b32 exec_lo, exec_lo, s0
	s_waitcnt lgkmcnt(1)
	ds_bpermute_b32 v22, v15, v19
	ds_bpermute_b32 v20, v15, v18
	s_waitcnt lgkmcnt(2)
	ds_bpermute_b32 v21, v15, v17
	s_mov_b32 s17, exec_lo
	s_waitcnt lgkmcnt(2)
	v_cmp_lt_f32_e64 s16, v19, v22
	v_cmpx_nlt_f32_e32 v19, v22
	s_cbranch_execnz .LBB220_22
; %bb.19:                               ;   in Loop: Header=BB220_10 Depth=1
	s_or_b32 exec_lo, exec_lo, s17
	s_delay_alu instid0(VALU_DEP_2)
	s_and_saveexec_b32 s0, s16
	s_cbranch_execnz .LBB220_23
.LBB220_20:                             ;   in Loop: Header=BB220_10 Depth=1
	s_or_b32 exec_lo, exec_lo, s0
	s_and_saveexec_b32 s16, s2
	s_cbranch_execnz .LBB220_24
.LBB220_21:                             ;   in Loop: Header=BB220_10 Depth=1
	s_or_b32 exec_lo, exec_lo, s16
	s_add_i32 s7, s7, 1
	s_delay_alu instid0(SALU_CYCLE_1)
	s_cmp_ge_i32 s7, s4
	s_cbranch_scc1 .LBB220_9
	s_branch .LBB220_25
.LBB220_22:                             ;   in Loop: Header=BB220_10 Depth=1
	v_cmp_eq_f32_e64 s0, v19, v22
	s_waitcnt lgkmcnt(0)
	v_cmp_lt_i32_e64 s1, v21, v17
	s_delay_alu instid0(VALU_DEP_1) | instskip(SKIP_2) | instid1(SALU_CYCLE_1)
	s_and_b32 s0, s0, s1
	s_and_not1_b32 s1, s16, exec_lo
	s_and_b32 s0, s0, exec_lo
	s_or_b32 s16, s1, s0
	s_or_b32 exec_lo, exec_lo, s17
	s_and_saveexec_b32 s0, s16
	s_cbranch_execz .LBB220_20
.LBB220_23:                             ;   in Loop: Header=BB220_10 Depth=1
	s_waitcnt lgkmcnt(0)
	v_dual_mov_b32 v17, v21 :: v_dual_mov_b32 v18, v20
	s_or_b32 exec_lo, exec_lo, s0
	s_and_saveexec_b32 s16, s2
	s_cbranch_execz .LBB220_21
.LBB220_24:                             ;   in Loop: Header=BB220_10 Depth=1
	s_delay_alu instid0(VALU_DEP_1)
	v_dual_add_f32 v26, v11, v18 :: v_dual_add_nc_u32 v19, s7, v12
	v_cmp_le_i32_e64 s0, s5, v17
	v_cmp_gt_i32_e64 s1, s6, v17
	s_waitcnt lgkmcnt(0)
	v_subrev_nc_u32_e32 v21, s5, v17
	v_ashrrev_i32_e32 v20, 31, v19
	v_cndmask_b32_e32 v11, v11, v26, vcc_lo
	s_and_b32 s0, s0, s1
	s_delay_alu instid0(SALU_CYCLE_1) | instskip(NEXT) | instid1(VALU_DEP_2)
	s_and_b32 s0, s15, s0
	v_lshlrev_b64 v[19:20], 2, v[19:20]
	v_cndmask_b32_e64 v25, 32, v21, s0
	s_delay_alu instid0(VALU_DEP_2) | instskip(NEXT) | instid1(VALU_DEP_1)
	v_add_co_u32 v21, s0, s12, v19
	v_add_co_ci_u32_e64 v22, s0, s13, v20, s0
	v_add_co_u32 v23, s0, s8, v19
	s_delay_alu instid0(VALU_DEP_1) | instskip(SKIP_1) | instid1(VALU_DEP_1)
	v_add_co_ci_u32_e64 v24, s0, s9, v20, s0
	v_add_co_u32 v19, s0, s10, v19
	v_add_co_ci_u32_e64 v20, s0, s11, v20, s0
	global_store_b32 v[21:22], v18, off
	global_store_b32 v[23:24], v25, off
	;; [unrolled: 1-line block ×3, first 2 shown]
	s_or_b32 exec_lo, exec_lo, s16
	s_add_i32 s7, s7, 1
	s_delay_alu instid0(SALU_CYCLE_1)
	s_cmp_ge_i32 s7, s4
	s_cbranch_scc1 .LBB220_9
.LBB220_25:                             ;   in Loop: Header=BB220_10 Depth=1
	v_ashrrev_i32_e32 v19, 31, v17
	s_mov_b32 s1, exec_lo
	s_delay_alu instid0(VALU_DEP_1) | instskip(NEXT) | instid1(VALU_DEP_1)
	v_lshrrev_b32_e32 v18, 30, v19
	v_add_nc_u32_e32 v18, v17, v18
	s_delay_alu instid0(VALU_DEP_1) | instskip(SKIP_1) | instid1(VALU_DEP_1)
	v_ashrrev_i32_e32 v18, 2, v18
	s_waitcnt lgkmcnt(1)
	v_lshrrev_b32_e32 v20, 29, v18
	s_delay_alu instid0(VALU_DEP_1) | instskip(NEXT) | instid1(VALU_DEP_1)
	v_add_nc_u32_e32 v20, v18, v20
	v_and_b32_e32 v20, -8, v20
	s_delay_alu instid0(VALU_DEP_1) | instskip(NEXT) | instid1(VALU_DEP_1)
	v_sub_nc_u32_e32 v20, v18, v20
	v_cmpx_eq_u32_e64 v9, v20
	s_cbranch_execz .LBB220_8
; %bb.26:                               ;   in Loop: Header=BB220_10 Depth=1
	v_lshrrev_b32_e32 v19, 27, v19
	v_lshlrev_b32_e32 v18, 2, v18
	s_delay_alu instid0(VALU_DEP_2) | instskip(NEXT) | instid1(VALU_DEP_2)
	v_add_nc_u32_e32 v19, v17, v19
	v_sub_nc_u32_e32 v17, v17, v18
	s_delay_alu instid0(VALU_DEP_2) | instskip(NEXT) | instid1(VALU_DEP_1)
	v_ashrrev_i32_e32 v18, 5, v19
	v_lshl_add_u32 v17, v18, 2, v17
	s_delay_alu instid0(VALU_DEP_1) | instskip(NEXT) | instid1(VALU_DEP_1)
	v_cmp_ne_u32_e64 s0, 3, v17
	v_cndmask_b32_e64 v7, 0xc61c4000, v7, s0
	v_cmp_ne_u32_e64 s0, 2, v17
	s_delay_alu instid0(VALU_DEP_1) | instskip(SKIP_1) | instid1(VALU_DEP_1)
	v_cndmask_b32_e64 v6, 0xc61c4000, v6, s0
	v_cmp_ne_u32_e64 s0, 1, v17
	v_cndmask_b32_e64 v5, 0xc61c4000, v5, s0
	v_cmp_ne_u32_e64 s0, 0, v17
	s_delay_alu instid0(VALU_DEP_1)
	v_cndmask_b32_e64 v4, 0xc61c4000, v4, s0
	s_branch .LBB220_8
.LBB220_27:
                                        ; implicit-def: $vgpr4_vgpr5_vgpr6_vgpr7
	s_and_not1_b32 vcc_lo, exec_lo, s8
	s_cbranch_vccz .LBB220_5
	s_branch .LBB220_6
.LBB220_28:
	v_mov_b32_e32 v11, 0
.LBB220_29:
	v_cmp_eq_u32_e64 s0, 0, v9
	s_delay_alu instid0(VALU_DEP_1) | instskip(NEXT) | instid1(SALU_CYCLE_1)
	s_and_b32 s0, s0, vcc_lo
	s_and_b32 exec_lo, exec_lo, s0
	s_cbranch_execz .LBB220_33
; %bb.30:
	s_and_not1_b32 vcc_lo, exec_lo, s3
	s_cbranch_vccnz .LBB220_33
; %bb.31:
	v_mul_lo_u32 v0, v8, s4
	v_cmp_lt_f32_e32 vcc_lo, 0, v11
	v_cndmask_b32_e32 v2, 1.0, v11, vcc_lo
	s_delay_alu instid0(VALU_DEP_3) | instskip(NEXT) | instid1(VALU_DEP_1)
	v_ashrrev_i32_e32 v1, 31, v0
	v_lshlrev_b64 v[0:1], 2, v[0:1]
	s_delay_alu instid0(VALU_DEP_1) | instskip(NEXT) | instid1(VALU_DEP_2)
	v_add_co_u32 v0, vcc_lo, s12, v0
	v_add_co_ci_u32_e32 v1, vcc_lo, s13, v1, vcc_lo
	.p2align	6
.LBB220_32:                             ; =>This Inner Loop Header: Depth=1
	global_load_b32 v3, v[0:1], off
	s_add_i32 s4, s4, -1
	s_delay_alu instid0(SALU_CYCLE_1) | instskip(SKIP_3) | instid1(VALU_DEP_2)
	s_cmp_lg_u32 s4, 0
	s_waitcnt vmcnt(0)
	v_div_scale_f32 v4, null, v2, v2, v3
	v_div_scale_f32 v7, vcc_lo, v3, v2, v3
	v_rcp_f32_e32 v5, v4
	s_waitcnt_depctr 0xfff
	v_fma_f32 v6, -v4, v5, 1.0
	s_delay_alu instid0(VALU_DEP_1) | instskip(NEXT) | instid1(VALU_DEP_1)
	v_fmac_f32_e32 v5, v6, v5
	v_mul_f32_e32 v6, v7, v5
	s_delay_alu instid0(VALU_DEP_1) | instskip(NEXT) | instid1(VALU_DEP_1)
	v_fma_f32 v8, -v4, v6, v7
	v_fmac_f32_e32 v6, v8, v5
	s_delay_alu instid0(VALU_DEP_1) | instskip(NEXT) | instid1(VALU_DEP_1)
	v_fma_f32 v4, -v4, v6, v7
	v_div_fmas_f32 v4, v4, v5, v6
	s_delay_alu instid0(VALU_DEP_1)
	v_div_fixup_f32 v3, v4, v2, v3
	global_store_b32 v[0:1], v3, off
	v_add_co_u32 v0, vcc_lo, v0, 4
	v_add_co_ci_u32_e32 v1, vcc_lo, 0, v1, vcc_lo
	s_cbranch_scc1 .LBB220_32
.LBB220_33:
	s_nop 0
	s_sendmsg sendmsg(MSG_DEALLOC_VGPRS)
	s_endpgm
	.section	.rodata,"a",@progbits
	.p2align	6, 0x0
	.amdhsa_kernel _ZN4vllm3moe10topkGatingILi4ELi32ELi4ELi16ELi32EjfLNS0_11ScoringFuncE1EEEvPKT5_PKbPfiPT4_PiiiibPKf
		.amdhsa_group_segment_fixed_size 0
		.amdhsa_private_segment_fixed_size 0
		.amdhsa_kernarg_size 72
		.amdhsa_user_sgpr_count 15
		.amdhsa_user_sgpr_dispatch_ptr 0
		.amdhsa_user_sgpr_queue_ptr 0
		.amdhsa_user_sgpr_kernarg_segment_ptr 1
		.amdhsa_user_sgpr_dispatch_id 0
		.amdhsa_user_sgpr_private_segment_size 0
		.amdhsa_wavefront_size32 1
		.amdhsa_uses_dynamic_stack 0
		.amdhsa_enable_private_segment 0
		.amdhsa_system_sgpr_workgroup_id_x 1
		.amdhsa_system_sgpr_workgroup_id_y 0
		.amdhsa_system_sgpr_workgroup_id_z 0
		.amdhsa_system_sgpr_workgroup_info 0
		.amdhsa_system_vgpr_workitem_id 1
		.amdhsa_next_free_vgpr 27
		.amdhsa_next_free_sgpr 18
		.amdhsa_reserve_vcc 1
		.amdhsa_float_round_mode_32 0
		.amdhsa_float_round_mode_16_64 0
		.amdhsa_float_denorm_mode_32 3
		.amdhsa_float_denorm_mode_16_64 3
		.amdhsa_dx10_clamp 1
		.amdhsa_ieee_mode 1
		.amdhsa_fp16_overflow 0
		.amdhsa_workgroup_processor_mode 1
		.amdhsa_memory_ordered 1
		.amdhsa_forward_progress 0
		.amdhsa_shared_vgpr_count 0
		.amdhsa_exception_fp_ieee_invalid_op 0
		.amdhsa_exception_fp_denorm_src 0
		.amdhsa_exception_fp_ieee_div_zero 0
		.amdhsa_exception_fp_ieee_overflow 0
		.amdhsa_exception_fp_ieee_underflow 0
		.amdhsa_exception_fp_ieee_inexact 0
		.amdhsa_exception_int_div_zero 0
	.end_amdhsa_kernel
	.section	.text._ZN4vllm3moe10topkGatingILi4ELi32ELi4ELi16ELi32EjfLNS0_11ScoringFuncE1EEEvPKT5_PKbPfiPT4_PiiiibPKf,"axG",@progbits,_ZN4vllm3moe10topkGatingILi4ELi32ELi4ELi16ELi32EjfLNS0_11ScoringFuncE1EEEvPKT5_PKbPfiPT4_PiiiibPKf,comdat
.Lfunc_end220:
	.size	_ZN4vllm3moe10topkGatingILi4ELi32ELi4ELi16ELi32EjfLNS0_11ScoringFuncE1EEEvPKT5_PKbPfiPT4_PiiiibPKf, .Lfunc_end220-_ZN4vllm3moe10topkGatingILi4ELi32ELi4ELi16ELi32EjfLNS0_11ScoringFuncE1EEEvPKT5_PKbPfiPT4_PiiiibPKf
                                        ; -- End function
	.section	.AMDGPU.csdata,"",@progbits
; Kernel info:
; codeLenInByte = 2176
; NumSgprs: 20
; NumVgprs: 27
; ScratchSize: 0
; MemoryBound: 0
; FloatMode: 240
; IeeeMode: 1
; LDSByteSize: 0 bytes/workgroup (compile time only)
; SGPRBlocks: 2
; VGPRBlocks: 3
; NumSGPRsForWavesPerEU: 20
; NumVGPRsForWavesPerEU: 27
; Occupancy: 16
; WaveLimiterHint : 0
; COMPUTE_PGM_RSRC2:SCRATCH_EN: 0
; COMPUTE_PGM_RSRC2:USER_SGPR: 15
; COMPUTE_PGM_RSRC2:TRAP_HANDLER: 0
; COMPUTE_PGM_RSRC2:TGID_X_EN: 1
; COMPUTE_PGM_RSRC2:TGID_Y_EN: 0
; COMPUTE_PGM_RSRC2:TGID_Z_EN: 0
; COMPUTE_PGM_RSRC2:TIDIG_COMP_CNT: 1
	.section	.text._ZN4vllm3moe10topkGatingILi4ELi64ELi4ELi16ELi64EjfLNS0_11ScoringFuncE1EEEvPKT5_PKbPfiPT4_PiiiibPKf,"axG",@progbits,_ZN4vllm3moe10topkGatingILi4ELi64ELi4ELi16ELi64EjfLNS0_11ScoringFuncE1EEEvPKT5_PKbPfiPT4_PiiiibPKf,comdat
	.protected	_ZN4vllm3moe10topkGatingILi4ELi64ELi4ELi16ELi64EjfLNS0_11ScoringFuncE1EEEvPKT5_PKbPfiPT4_PiiiibPKf ; -- Begin function _ZN4vllm3moe10topkGatingILi4ELi64ELi4ELi16ELi64EjfLNS0_11ScoringFuncE1EEEvPKT5_PKbPfiPT4_PiiiibPKf
	.globl	_ZN4vllm3moe10topkGatingILi4ELi64ELi4ELi16ELi64EjfLNS0_11ScoringFuncE1EEEvPKT5_PKbPfiPT4_PiiiibPKf
	.p2align	8
	.type	_ZN4vllm3moe10topkGatingILi4ELi64ELi4ELi16ELi64EjfLNS0_11ScoringFuncE1EEEvPKT5_PKbPfiPT4_PiiiibPKf,@function
_ZN4vllm3moe10topkGatingILi4ELi64ELi4ELi16ELi64EjfLNS0_11ScoringFuncE1EEEvPKT5_PKbPfiPT4_PiiiibPKf: ; @_ZN4vllm3moe10topkGatingILi4ELi64ELi4ELi16ELi64EjfLNS0_11ScoringFuncE1EEEvPKT5_PKbPfiPT4_PiiiibPKf
; %bb.0:
	s_load_b32 s14, s[0:1], 0x18
	v_bfe_u32 v1, v0, 10, 10
	v_and_b32_e32 v0, 0x3ff, v0
	s_lshl_b32 s2, s15, 4
	s_delay_alu instid0(VALU_DEP_2) | instskip(NEXT) | instid1(VALU_DEP_2)
	v_lshlrev_b32_e32 v1, 2, v1
	v_lshrrev_b32_e32 v2, 4, v0
	s_delay_alu instid0(VALU_DEP_1) | instskip(SKIP_2) | instid1(VALU_DEP_1)
	v_add3_u32 v8, s2, v1, v2
	s_mov_b32 s2, exec_lo
	s_waitcnt lgkmcnt(0)
	v_cmpx_gt_i32_e64 s14, v8
	s_cbranch_execz .LBB221_37
; %bb.1:
	s_clause 0x1
	s_load_b128 s[4:7], s[0:1], 0x0
	s_load_b64 s[12:13], s[0:1], 0x10
	s_mov_b32 s8, -1
	s_mov_b32 s15, -1
	s_waitcnt lgkmcnt(0)
	s_cmp_eq_u64 s[6:7], 0
	s_cbranch_scc1 .LBB221_3
; %bb.2:
	v_ashrrev_i32_e32 v2, 31, v8
	v_add_co_u32 v1, vcc_lo, s6, v8
	s_delay_alu instid0(VALU_DEP_2) | instskip(SKIP_3) | instid1(VALU_DEP_1)
	v_add_co_ci_u32_e32 v2, vcc_lo, s7, v2, vcc_lo
	global_load_u8 v1, v[1:2], off
	s_waitcnt vmcnt(0)
	v_and_b32_e32 v1, 1, v1
	v_cmp_eq_u32_e32 vcc_lo, 1, v1
	s_xor_b32 s2, vcc_lo, -1
	s_delay_alu instid0(SALU_CYCLE_1)
	s_or_not1_b32 s15, s2, exec_lo
.LBB221_3:
	v_lshlrev_b32_e32 v1, 6, v8
	v_and_b32_e32 v9, 15, v0
	s_load_b64 s[6:7], s[0:1], 0x40
	s_delay_alu instid0(VALU_DEP_2) | instskip(NEXT) | instid1(VALU_DEP_1)
	v_ashrrev_i32_e32 v2, 31, v1
	v_lshlrev_b64 v[0:1], 2, v[1:2]
	s_delay_alu instid0(VALU_DEP_3) | instskip(NEXT) | instid1(VALU_DEP_2)
	v_lshlrev_b32_e32 v2, 4, v9
	v_add_co_u32 v0, vcc_lo, s4, v0
	s_delay_alu instid0(VALU_DEP_3) | instskip(NEXT) | instid1(VALU_DEP_2)
	v_add_co_ci_u32_e32 v1, vcc_lo, s5, v1, vcc_lo
	v_add_co_u32 v0, vcc_lo, v0, v2
	s_delay_alu instid0(VALU_DEP_2)
	v_add_co_ci_u32_e32 v1, vcc_lo, 0, v1, vcc_lo
	s_waitcnt lgkmcnt(0)
	s_cmp_eq_u64 s[6:7], 0
	global_load_b128 v[0:3], v[0:1], off
	s_waitcnt vmcnt(0)
	v_dual_mul_f32 v3, 0xbfb8aa3b, v3 :: v_dual_mul_f32 v0, 0xbfb8aa3b, v0
	v_dual_mul_f32 v1, 0xbfb8aa3b, v1 :: v_dual_mul_f32 v2, 0xbfb8aa3b, v2
	s_delay_alu instid0(VALU_DEP_2) | instskip(NEXT) | instid1(VALU_DEP_2)
	v_exp_f32_e32 v3, v3
	v_exp_f32_e32 v0, v0
	s_delay_alu instid0(VALU_DEP_1) | instskip(NEXT) | instid1(VALU_DEP_1)
	v_exp_f32_e32 v1, v1
	v_exp_f32_e32 v2, v2
	s_waitcnt_depctr 0xfff
	v_dual_add_f32 v0, 1.0, v0 :: v_dual_add_f32 v1, 1.0, v1
	v_add_f32_e32 v2, 1.0, v2
	s_delay_alu instid0(VALU_DEP_2) | instskip(NEXT) | instid1(VALU_DEP_3)
	v_div_scale_f32 v4, null, v0, v0, 1.0
	v_div_scale_f32 v5, null, v1, v1, 1.0
	s_delay_alu instid0(VALU_DEP_3) | instskip(NEXT) | instid1(VALU_DEP_3)
	v_div_scale_f32 v6, null, v2, v2, 1.0
	v_rcp_f32_e32 v11, v4
	s_delay_alu instid0(VALU_DEP_2) | instskip(SKIP_1) | instid1(VALU_DEP_2)
	v_rcp_f32_e32 v12, v5
	v_div_scale_f32 v15, vcc_lo, 1.0, v0, 1.0
	v_rcp_f32_e32 v13, v6
	v_div_scale_f32 v16, s2, 1.0, v1, 1.0
	v_div_scale_f32 v17, s3, 1.0, v2, 1.0
	s_delay_alu instid0(TRANS32_DEP_3) | instskip(SKIP_4) | instid1(VALU_DEP_3)
	v_fma_f32 v10, -v4, v11, 1.0
	s_waitcnt_depctr 0xfff
	v_fma_f32 v18, -v5, v12, 1.0
	v_add_f32_e32 v3, 1.0, v3
	v_fma_f32 v19, -v6, v13, 1.0
	v_fmac_f32_e32 v12, v18, v12
	s_delay_alu instid0(VALU_DEP_3) | instskip(SKIP_1) | instid1(VALU_DEP_2)
	v_div_scale_f32 v7, null, v3, v3, 1.0
	v_div_scale_f32 v21, s4, 1.0, v3, 1.0
	v_rcp_f32_e32 v14, v7
	s_waitcnt_depctr 0xfff
	v_fma_f32 v20, -v7, v14, 1.0
	s_delay_alu instid0(VALU_DEP_1) | instskip(NEXT) | instid1(VALU_DEP_1)
	v_dual_fmac_f32 v11, v10, v11 :: v_dual_fmac_f32 v14, v20, v14
	v_mul_f32_e32 v18, v15, v11
	v_fmac_f32_e32 v13, v19, v13
	s_delay_alu instid0(VALU_DEP_3) | instskip(NEXT) | instid1(VALU_DEP_3)
	v_dual_mul_f32 v19, v16, v12 :: v_dual_mul_f32 v22, v21, v14
	v_fma_f32 v10, -v4, v18, v15
	s_delay_alu instid0(VALU_DEP_2) | instskip(NEXT) | instid1(VALU_DEP_4)
	v_fma_f32 v23, -v5, v19, v16
	v_mul_f32_e32 v20, v17, v13
	s_delay_alu instid0(VALU_DEP_4) | instskip(NEXT) | instid1(VALU_DEP_4)
	v_fma_f32 v25, -v7, v22, v21
	v_fmac_f32_e32 v18, v10, v11
	s_delay_alu instid0(VALU_DEP_4) | instskip(NEXT) | instid1(VALU_DEP_4)
	v_dual_fmac_f32 v19, v23, v12 :: v_dual_lshlrev_b32 v10, 2, v9
	v_fma_f32 v24, -v6, v20, v17
	s_delay_alu instid0(VALU_DEP_4) | instskip(NEXT) | instid1(VALU_DEP_4)
	v_fmac_f32_e32 v22, v25, v14
	v_fma_f32 v4, -v4, v18, v15
	s_delay_alu instid0(VALU_DEP_4) | instskip(NEXT) | instid1(VALU_DEP_4)
	v_fma_f32 v5, -v5, v19, v16
	v_fmac_f32_e32 v20, v24, v13
	s_delay_alu instid0(VALU_DEP_4) | instskip(NEXT) | instid1(VALU_DEP_4)
	v_fma_f32 v7, -v7, v22, v21
	v_div_fmas_f32 v4, v4, v11, v18
	s_mov_b32 vcc_lo, s2
	s_delay_alu instid0(VALU_DEP_3) | instskip(SKIP_1) | instid1(VALU_DEP_3)
	v_fma_f32 v6, -v6, v20, v17
	v_div_fmas_f32 v5, v5, v12, v19
	v_div_fixup_f32 v0, v4, v0, 1.0
	s_mov_b32 vcc_lo, s3
	s_delay_alu instid0(VALU_DEP_3)
	v_div_fmas_f32 v6, v6, v13, v20
	s_mov_b32 vcc_lo, s4
	v_div_fixup_f32 v1, v5, v1, 1.0
	v_div_fmas_f32 v4, v7, v14, v22
	v_cmp_class_f32_e64 vcc_lo, v0, 0x1f8
	v_div_fixup_f32 v2, v6, v2, 1.0
	s_delay_alu instid0(VALU_DEP_3)
	v_div_fixup_f32 v3, v4, v3, 1.0
	v_cndmask_b32_e32 v0, 0, v0, vcc_lo
	v_cmp_class_f32_e64 vcc_lo, v1, 0x1f8
	v_cndmask_b32_e32 v1, 0, v1, vcc_lo
	v_cmp_class_f32_e64 vcc_lo, v2, 0x1f8
	;; [unrolled: 2-line block ×3, first 2 shown]
	v_cndmask_b32_e32 v3, 0, v3, vcc_lo
	s_cbranch_scc1 .LBB221_31
; %bb.4:
	v_lshlrev_b32_e32 v4, 2, v10
	global_load_b128 v[4:7], v4, s[6:7]
	s_waitcnt vmcnt(0)
	v_dual_add_f32 v5, v5, v1 :: v_dual_add_f32 v4, v4, v0
	v_dual_add_f32 v7, v7, v3 :: v_dual_add_f32 v6, v6, v2
	s_cbranch_execnz .LBB221_6
.LBB221_5:
	v_dual_mov_b32 v7, v3 :: v_dual_mov_b32 v6, v2
	v_dual_mov_b32 v5, v1 :: v_dual_mov_b32 v4, v0
.LBB221_6:
	s_load_b128 s[4:7], s[0:1], 0x30
	v_cmp_eq_u32_e64 s2, 0, v9
	s_waitcnt lgkmcnt(0)
	s_bitcmp1_b32 s7, 0
	s_mov_b32 s7, 0
	s_cselect_b32 vcc_lo, -1, 0
	s_cmp_gt_i32 s4, 0
	s_cselect_b32 s3, -1, 0
	s_cmp_lt_i32 s4, 1
	s_cbranch_scc1 .LBB221_32
; %bb.7:
	v_mbcnt_lo_u32_b32 v11, -1, 0
	s_load_b128 s[8:11], s[0:1], 0x20
	s_delay_alu instid0(VALU_DEP_1)
	v_dual_mov_b32 v17, v8 :: v_dual_and_b32 v12, 16, v11
	v_xor_b32_e32 v13, 8, v11
	v_xor_b32_e32 v14, 4, v11
	;; [unrolled: 1-line block ×4, first 2 shown]
	v_add_nc_u32_e32 v12, 16, v12
	s_delay_alu instid0(VALU_DEP_1) | instskip(NEXT) | instid1(VALU_DEP_1)
	v_cmp_lt_i32_e64 s0, v13, v12
	v_cndmask_b32_e64 v13, v11, v13, s0
	v_cmp_lt_i32_e64 s0, v14, v12
	s_delay_alu instid0(VALU_DEP_2) | instskip(NEXT) | instid1(VALU_DEP_2)
	v_lshlrev_b32_e32 v13, 2, v13
	v_cndmask_b32_e64 v14, v11, v14, s0
	v_cmp_lt_i32_e64 s0, v15, v12
	s_delay_alu instid0(VALU_DEP_2) | instskip(NEXT) | instid1(VALU_DEP_2)
	v_lshlrev_b32_e32 v14, 2, v14
	v_cndmask_b32_e64 v15, v11, v15, s0
	v_cmp_lt_i32_e64 s0, v16, v12
	v_mul_lo_u32 v12, v8, s4
	s_delay_alu instid0(VALU_DEP_3) | instskip(NEXT) | instid1(VALU_DEP_3)
	v_lshlrev_b32_e32 v15, 2, v15
	v_cndmask_b32_e64 v11, v11, v16, s0
	s_delay_alu instid0(VALU_DEP_1)
	v_dual_mov_b32 v11, 0 :: v_dual_lshlrev_b32 v16, 2, v11
	s_branch .LBB221_10
.LBB221_8:                              ;   in Loop: Header=BB221_10 Depth=1
	s_or_b32 exec_lo, exec_lo, s1
.LBB221_9:                              ;   in Loop: Header=BB221_10 Depth=1
	v_add_nc_u32_e32 v17, s14, v17
	s_cmp_eq_u32 s4, s7
	s_cbranch_scc1 .LBB221_33
.LBB221_10:                             ; =>This Inner Loop Header: Depth=1
	v_cmp_gt_f32_e64 s0, v5, v4
	s_mov_b32 s17, exec_lo
	s_delay_alu instid0(VALU_DEP_1) | instskip(SKIP_2) | instid1(VALU_DEP_3)
	v_cndmask_b32_e64 v19, v4, v5, s0
	v_cndmask_b32_e64 v18, 0, 1, s0
	v_cndmask_b32_e64 v20, v0, v1, s0
	v_cmp_gt_f32_e64 s1, v6, v19
	s_delay_alu instid0(VALU_DEP_1) | instskip(NEXT) | instid1(VALU_DEP_4)
	v_cndmask_b32_e64 v19, v19, v6, s1
	v_cndmask_b32_e64 v18, v18, 2, s1
	s_waitcnt lgkmcnt(0)
	v_cndmask_b32_e64 v21, v20, v2, s1
	s_delay_alu instid0(VALU_DEP_3) | instskip(NEXT) | instid1(VALU_DEP_1)
	v_cmp_gt_f32_e64 s0, v7, v19
	v_cndmask_b32_e64 v18, v18, 3, s0
	v_cndmask_b32_e64 v20, v19, v7, s0
	s_delay_alu instid0(VALU_DEP_4) | instskip(NEXT) | instid1(VALU_DEP_3)
	v_cndmask_b32_e64 v19, v21, v3, s0
	v_or_b32_e32 v18, v10, v18
	ds_bpermute_b32 v21, v13, v20
	ds_bpermute_b32 v23, v13, v19
	;; [unrolled: 1-line block ×3, first 2 shown]
	s_waitcnt lgkmcnt(0)
	v_cmp_lt_f32_e64 s16, v20, v21
	v_cmpx_nlt_f32_e32 v20, v21
; %bb.11:                               ;   in Loop: Header=BB221_10 Depth=1
	v_cmp_eq_f32_e64 s0, v20, v21
	v_cmp_lt_i32_e64 s1, v22, v18
	s_delay_alu instid0(VALU_DEP_1) | instskip(SKIP_2) | instid1(SALU_CYCLE_1)
	s_and_b32 s0, s0, s1
	s_and_not1_b32 s1, s16, exec_lo
	s_and_b32 s0, s0, exec_lo
	s_or_b32 s16, s1, s0
; %bb.12:                               ;   in Loop: Header=BB221_10 Depth=1
	s_or_b32 exec_lo, exec_lo, s17
	s_and_saveexec_b32 s0, s16
; %bb.13:                               ;   in Loop: Header=BB221_10 Depth=1
	v_dual_mov_b32 v19, v23 :: v_dual_mov_b32 v20, v21
	v_mov_b32_e32 v18, v22
; %bb.14:                               ;   in Loop: Header=BB221_10 Depth=1
	s_or_b32 exec_lo, exec_lo, s0
	ds_bpermute_b32 v21, v14, v20
	ds_bpermute_b32 v23, v14, v19
	;; [unrolled: 1-line block ×3, first 2 shown]
	s_mov_b32 s17, exec_lo
	s_waitcnt lgkmcnt(2)
	v_cmp_lt_f32_e64 s16, v20, v21
	v_cmpx_nlt_f32_e32 v20, v21
	s_cbranch_execz .LBB221_16
; %bb.15:                               ;   in Loop: Header=BB221_10 Depth=1
	v_cmp_eq_f32_e64 s0, v20, v21
	s_waitcnt lgkmcnt(0)
	v_cmp_lt_i32_e64 s1, v22, v18
	s_delay_alu instid0(VALU_DEP_1) | instskip(SKIP_2) | instid1(SALU_CYCLE_1)
	s_and_b32 s0, s0, s1
	s_and_not1_b32 s1, s16, exec_lo
	s_and_b32 s0, s0, exec_lo
	s_or_b32 s16, s1, s0
.LBB221_16:                             ;   in Loop: Header=BB221_10 Depth=1
	s_or_b32 exec_lo, exec_lo, s17
	s_delay_alu instid0(VALU_DEP_2)
	s_and_saveexec_b32 s0, s16
	s_cbranch_execz .LBB221_18
; %bb.17:                               ;   in Loop: Header=BB221_10 Depth=1
	s_waitcnt lgkmcnt(1)
	v_dual_mov_b32 v19, v23 :: v_dual_mov_b32 v20, v21
	s_waitcnt lgkmcnt(0)
	v_mov_b32_e32 v18, v22
.LBB221_18:                             ;   in Loop: Header=BB221_10 Depth=1
	s_or_b32 exec_lo, exec_lo, s0
	ds_bpermute_b32 v21, v15, v20
	s_waitcnt lgkmcnt(2)
	ds_bpermute_b32 v23, v15, v19
	s_waitcnt lgkmcnt(2)
	ds_bpermute_b32 v22, v15, v18
	s_mov_b32 s17, exec_lo
	s_waitcnt lgkmcnt(2)
	v_cmp_lt_f32_e64 s16, v20, v21
	v_cmpx_nlt_f32_e32 v20, v21
	s_cbranch_execz .LBB221_20
; %bb.19:                               ;   in Loop: Header=BB221_10 Depth=1
	v_cmp_eq_f32_e64 s0, v20, v21
	s_waitcnt lgkmcnt(0)
	v_cmp_lt_i32_e64 s1, v22, v18
	s_delay_alu instid0(VALU_DEP_1) | instskip(SKIP_2) | instid1(SALU_CYCLE_1)
	s_and_b32 s0, s0, s1
	s_and_not1_b32 s1, s16, exec_lo
	s_and_b32 s0, s0, exec_lo
	s_or_b32 s16, s1, s0
.LBB221_20:                             ;   in Loop: Header=BB221_10 Depth=1
	s_or_b32 exec_lo, exec_lo, s17
	s_delay_alu instid0(VALU_DEP_2)
	s_and_saveexec_b32 s0, s16
	s_cbranch_execz .LBB221_22
; %bb.21:                               ;   in Loop: Header=BB221_10 Depth=1
	s_waitcnt lgkmcnt(1)
	v_dual_mov_b32 v19, v23 :: v_dual_mov_b32 v20, v21
	s_waitcnt lgkmcnt(0)
	v_mov_b32_e32 v18, v22
.LBB221_22:                             ;   in Loop: Header=BB221_10 Depth=1
	s_or_b32 exec_lo, exec_lo, s0
	s_waitcnt lgkmcnt(1)
	ds_bpermute_b32 v23, v16, v20
	ds_bpermute_b32 v21, v16, v19
	s_waitcnt lgkmcnt(2)
	ds_bpermute_b32 v22, v16, v18
	s_mov_b32 s17, exec_lo
	s_waitcnt lgkmcnt(2)
	v_cmp_lt_f32_e64 s16, v20, v23
	v_cmpx_nlt_f32_e32 v20, v23
	s_cbranch_execnz .LBB221_26
; %bb.23:                               ;   in Loop: Header=BB221_10 Depth=1
	s_or_b32 exec_lo, exec_lo, s17
	s_delay_alu instid0(VALU_DEP_2)
	s_and_saveexec_b32 s0, s16
	s_cbranch_execnz .LBB221_27
.LBB221_24:                             ;   in Loop: Header=BB221_10 Depth=1
	s_or_b32 exec_lo, exec_lo, s0
	s_and_saveexec_b32 s16, s2
	s_cbranch_execnz .LBB221_28
.LBB221_25:                             ;   in Loop: Header=BB221_10 Depth=1
	s_or_b32 exec_lo, exec_lo, s16
	s_add_i32 s7, s7, 1
	s_delay_alu instid0(SALU_CYCLE_1)
	s_cmp_ge_i32 s7, s4
	s_cbranch_scc1 .LBB221_9
	s_branch .LBB221_29
.LBB221_26:                             ;   in Loop: Header=BB221_10 Depth=1
	v_cmp_eq_f32_e64 s0, v20, v23
	s_waitcnt lgkmcnt(0)
	v_cmp_lt_i32_e64 s1, v22, v18
	s_delay_alu instid0(VALU_DEP_1) | instskip(SKIP_2) | instid1(SALU_CYCLE_1)
	s_and_b32 s0, s0, s1
	s_and_not1_b32 s1, s16, exec_lo
	s_and_b32 s0, s0, exec_lo
	s_or_b32 s16, s1, s0
	s_or_b32 exec_lo, exec_lo, s17
	s_and_saveexec_b32 s0, s16
	s_cbranch_execz .LBB221_24
.LBB221_27:                             ;   in Loop: Header=BB221_10 Depth=1
	s_waitcnt lgkmcnt(0)
	v_dual_mov_b32 v18, v22 :: v_dual_mov_b32 v19, v21
	s_or_b32 exec_lo, exec_lo, s0
	s_and_saveexec_b32 s16, s2
	s_cbranch_execz .LBB221_25
.LBB221_28:                             ;   in Loop: Header=BB221_10 Depth=1
	s_delay_alu instid0(VALU_DEP_1)
	v_dual_add_f32 v27, v11, v19 :: v_dual_add_nc_u32 v20, s7, v12
	v_cmp_le_i32_e64 s0, s5, v18
	v_cmp_gt_i32_e64 s1, s6, v18
	s_waitcnt lgkmcnt(0)
	v_subrev_nc_u32_e32 v22, s5, v18
	v_ashrrev_i32_e32 v21, 31, v20
	v_cndmask_b32_e32 v11, v11, v27, vcc_lo
	s_and_b32 s0, s0, s1
	s_delay_alu instid0(SALU_CYCLE_1) | instskip(NEXT) | instid1(VALU_DEP_2)
	s_and_b32 s0, s15, s0
	v_lshlrev_b64 v[20:21], 2, v[20:21]
	v_cndmask_b32_e64 v26, 64, v22, s0
	s_delay_alu instid0(VALU_DEP_2) | instskip(NEXT) | instid1(VALU_DEP_1)
	v_add_co_u32 v22, s0, s12, v20
	v_add_co_ci_u32_e64 v23, s0, s13, v21, s0
	v_add_co_u32 v24, s0, s8, v20
	s_delay_alu instid0(VALU_DEP_1) | instskip(SKIP_1) | instid1(VALU_DEP_1)
	v_add_co_ci_u32_e64 v25, s0, s9, v21, s0
	v_add_co_u32 v20, s0, s10, v20
	v_add_co_ci_u32_e64 v21, s0, s11, v21, s0
	global_store_b32 v[22:23], v19, off
	global_store_b32 v[24:25], v26, off
	;; [unrolled: 1-line block ×3, first 2 shown]
	s_or_b32 exec_lo, exec_lo, s16
	s_add_i32 s7, s7, 1
	s_delay_alu instid0(SALU_CYCLE_1)
	s_cmp_ge_i32 s7, s4
	s_cbranch_scc1 .LBB221_9
.LBB221_29:                             ;   in Loop: Header=BB221_10 Depth=1
	v_ashrrev_i32_e32 v19, 31, v18
	s_mov_b32 s1, exec_lo
	s_delay_alu instid0(VALU_DEP_1) | instskip(NEXT) | instid1(VALU_DEP_1)
	v_lshrrev_b32_e32 v20, 30, v19
	v_add_nc_u32_e32 v20, v18, v20
	s_waitcnt lgkmcnt(1)
	s_delay_alu instid0(VALU_DEP_1) | instskip(SKIP_1) | instid1(VALU_DEP_2)
	v_ashrrev_i32_e32 v21, 31, v20
	v_ashrrev_i32_e32 v20, 2, v20
	v_lshrrev_b32_e32 v21, 28, v21
	s_delay_alu instid0(VALU_DEP_1) | instskip(NEXT) | instid1(VALU_DEP_1)
	v_add_nc_u32_e32 v21, v20, v21
	v_and_b32_e32 v21, -16, v21
	s_delay_alu instid0(VALU_DEP_1) | instskip(NEXT) | instid1(VALU_DEP_1)
	v_sub_nc_u32_e32 v21, v20, v21
	v_cmpx_eq_u32_e64 v9, v21
	s_cbranch_execz .LBB221_8
; %bb.30:                               ;   in Loop: Header=BB221_10 Depth=1
	v_lshrrev_b32_e32 v19, 26, v19
	v_lshlrev_b32_e32 v20, 2, v20
	s_delay_alu instid0(VALU_DEP_2) | instskip(NEXT) | instid1(VALU_DEP_2)
	v_add_nc_u32_e32 v19, v18, v19
	v_sub_nc_u32_e32 v18, v18, v20
	s_delay_alu instid0(VALU_DEP_2) | instskip(NEXT) | instid1(VALU_DEP_1)
	v_ashrrev_i32_e32 v19, 6, v19
	v_lshl_add_u32 v18, v19, 2, v18
	s_delay_alu instid0(VALU_DEP_1) | instskip(NEXT) | instid1(VALU_DEP_1)
	v_cmp_ne_u32_e64 s0, 3, v18
	v_cndmask_b32_e64 v7, 0xc61c4000, v7, s0
	v_cmp_ne_u32_e64 s0, 2, v18
	s_delay_alu instid0(VALU_DEP_1) | instskip(SKIP_1) | instid1(VALU_DEP_1)
	v_cndmask_b32_e64 v6, 0xc61c4000, v6, s0
	v_cmp_ne_u32_e64 s0, 1, v18
	v_cndmask_b32_e64 v5, 0xc61c4000, v5, s0
	v_cmp_ne_u32_e64 s0, 0, v18
	s_delay_alu instid0(VALU_DEP_1)
	v_cndmask_b32_e64 v4, 0xc61c4000, v4, s0
	s_branch .LBB221_8
.LBB221_31:
                                        ; implicit-def: $vgpr4_vgpr5_vgpr6_vgpr7
	s_and_not1_b32 vcc_lo, exec_lo, s8
	s_cbranch_vccz .LBB221_5
	s_branch .LBB221_6
.LBB221_32:
	v_mov_b32_e32 v11, 0
.LBB221_33:
	v_cmp_eq_u32_e64 s0, 0, v9
	s_delay_alu instid0(VALU_DEP_1) | instskip(NEXT) | instid1(SALU_CYCLE_1)
	s_and_b32 s0, s0, vcc_lo
	s_and_b32 exec_lo, exec_lo, s0
	s_cbranch_execz .LBB221_37
; %bb.34:
	s_and_not1_b32 vcc_lo, exec_lo, s3
	s_cbranch_vccnz .LBB221_37
; %bb.35:
	v_mul_lo_u32 v0, v8, s4
	v_cmp_lt_f32_e32 vcc_lo, 0, v11
	v_cndmask_b32_e32 v2, 1.0, v11, vcc_lo
	s_delay_alu instid0(VALU_DEP_3) | instskip(NEXT) | instid1(VALU_DEP_1)
	v_ashrrev_i32_e32 v1, 31, v0
	v_lshlrev_b64 v[0:1], 2, v[0:1]
	s_delay_alu instid0(VALU_DEP_1) | instskip(NEXT) | instid1(VALU_DEP_2)
	v_add_co_u32 v0, vcc_lo, s12, v0
	v_add_co_ci_u32_e32 v1, vcc_lo, s13, v1, vcc_lo
	.p2align	6
.LBB221_36:                             ; =>This Inner Loop Header: Depth=1
	global_load_b32 v3, v[0:1], off
	s_add_i32 s4, s4, -1
	s_delay_alu instid0(SALU_CYCLE_1) | instskip(SKIP_3) | instid1(VALU_DEP_2)
	s_cmp_lg_u32 s4, 0
	s_waitcnt vmcnt(0)
	v_div_scale_f32 v4, null, v2, v2, v3
	v_div_scale_f32 v7, vcc_lo, v3, v2, v3
	v_rcp_f32_e32 v5, v4
	s_waitcnt_depctr 0xfff
	v_fma_f32 v6, -v4, v5, 1.0
	s_delay_alu instid0(VALU_DEP_1) | instskip(NEXT) | instid1(VALU_DEP_1)
	v_fmac_f32_e32 v5, v6, v5
	v_mul_f32_e32 v6, v7, v5
	s_delay_alu instid0(VALU_DEP_1) | instskip(NEXT) | instid1(VALU_DEP_1)
	v_fma_f32 v8, -v4, v6, v7
	v_fmac_f32_e32 v6, v8, v5
	s_delay_alu instid0(VALU_DEP_1) | instskip(NEXT) | instid1(VALU_DEP_1)
	v_fma_f32 v4, -v4, v6, v7
	v_div_fmas_f32 v4, v4, v5, v6
	s_delay_alu instid0(VALU_DEP_1)
	v_div_fixup_f32 v3, v4, v2, v3
	global_store_b32 v[0:1], v3, off
	v_add_co_u32 v0, vcc_lo, v0, 4
	v_add_co_ci_u32_e32 v1, vcc_lo, 0, v1, vcc_lo
	s_cbranch_scc1 .LBB221_36
.LBB221_37:
	s_nop 0
	s_sendmsg sendmsg(MSG_DEALLOC_VGPRS)
	s_endpgm
	.section	.rodata,"a",@progbits
	.p2align	6, 0x0
	.amdhsa_kernel _ZN4vllm3moe10topkGatingILi4ELi64ELi4ELi16ELi64EjfLNS0_11ScoringFuncE1EEEvPKT5_PKbPfiPT4_PiiiibPKf
		.amdhsa_group_segment_fixed_size 0
		.amdhsa_private_segment_fixed_size 0
		.amdhsa_kernarg_size 72
		.amdhsa_user_sgpr_count 15
		.amdhsa_user_sgpr_dispatch_ptr 0
		.amdhsa_user_sgpr_queue_ptr 0
		.amdhsa_user_sgpr_kernarg_segment_ptr 1
		.amdhsa_user_sgpr_dispatch_id 0
		.amdhsa_user_sgpr_private_segment_size 0
		.amdhsa_wavefront_size32 1
		.amdhsa_uses_dynamic_stack 0
		.amdhsa_enable_private_segment 0
		.amdhsa_system_sgpr_workgroup_id_x 1
		.amdhsa_system_sgpr_workgroup_id_y 0
		.amdhsa_system_sgpr_workgroup_id_z 0
		.amdhsa_system_sgpr_workgroup_info 0
		.amdhsa_system_vgpr_workitem_id 1
		.amdhsa_next_free_vgpr 28
		.amdhsa_next_free_sgpr 18
		.amdhsa_reserve_vcc 1
		.amdhsa_float_round_mode_32 0
		.amdhsa_float_round_mode_16_64 0
		.amdhsa_float_denorm_mode_32 3
		.amdhsa_float_denorm_mode_16_64 3
		.amdhsa_dx10_clamp 1
		.amdhsa_ieee_mode 1
		.amdhsa_fp16_overflow 0
		.amdhsa_workgroup_processor_mode 1
		.amdhsa_memory_ordered 1
		.amdhsa_forward_progress 0
		.amdhsa_shared_vgpr_count 0
		.amdhsa_exception_fp_ieee_invalid_op 0
		.amdhsa_exception_fp_denorm_src 0
		.amdhsa_exception_fp_ieee_div_zero 0
		.amdhsa_exception_fp_ieee_overflow 0
		.amdhsa_exception_fp_ieee_underflow 0
		.amdhsa_exception_fp_ieee_inexact 0
		.amdhsa_exception_int_div_zero 0
	.end_amdhsa_kernel
	.section	.text._ZN4vllm3moe10topkGatingILi4ELi64ELi4ELi16ELi64EjfLNS0_11ScoringFuncE1EEEvPKT5_PKbPfiPT4_PiiiibPKf,"axG",@progbits,_ZN4vllm3moe10topkGatingILi4ELi64ELi4ELi16ELi64EjfLNS0_11ScoringFuncE1EEEvPKT5_PKbPfiPT4_PiiiibPKf,comdat
.Lfunc_end221:
	.size	_ZN4vllm3moe10topkGatingILi4ELi64ELi4ELi16ELi64EjfLNS0_11ScoringFuncE1EEEvPKT5_PKbPfiPT4_PiiiibPKf, .Lfunc_end221-_ZN4vllm3moe10topkGatingILi4ELi64ELi4ELi16ELi64EjfLNS0_11ScoringFuncE1EEEvPKT5_PKbPfiPT4_PiiiibPKf
                                        ; -- End function
	.section	.AMDGPU.csdata,"",@progbits
; Kernel info:
; codeLenInByte = 2344
; NumSgprs: 20
; NumVgprs: 28
; ScratchSize: 0
; MemoryBound: 0
; FloatMode: 240
; IeeeMode: 1
; LDSByteSize: 0 bytes/workgroup (compile time only)
; SGPRBlocks: 2
; VGPRBlocks: 3
; NumSGPRsForWavesPerEU: 20
; NumVGPRsForWavesPerEU: 28
; Occupancy: 16
; WaveLimiterHint : 0
; COMPUTE_PGM_RSRC2:SCRATCH_EN: 0
; COMPUTE_PGM_RSRC2:USER_SGPR: 15
; COMPUTE_PGM_RSRC2:TRAP_HANDLER: 0
; COMPUTE_PGM_RSRC2:TGID_X_EN: 1
; COMPUTE_PGM_RSRC2:TGID_Y_EN: 0
; COMPUTE_PGM_RSRC2:TGID_Z_EN: 0
; COMPUTE_PGM_RSRC2:TIDIG_COMP_CNT: 1
	.section	.text._ZN4vllm3moe10topkGatingILi4ELi64ELi4ELi16ELi32EjfLNS0_11ScoringFuncE1EEEvPKT5_PKbPfiPT4_PiiiibPKf,"axG",@progbits,_ZN4vllm3moe10topkGatingILi4ELi64ELi4ELi16ELi32EjfLNS0_11ScoringFuncE1EEEvPKT5_PKbPfiPT4_PiiiibPKf,comdat
	.protected	_ZN4vllm3moe10topkGatingILi4ELi64ELi4ELi16ELi32EjfLNS0_11ScoringFuncE1EEEvPKT5_PKbPfiPT4_PiiiibPKf ; -- Begin function _ZN4vllm3moe10topkGatingILi4ELi64ELi4ELi16ELi32EjfLNS0_11ScoringFuncE1EEEvPKT5_PKbPfiPT4_PiiiibPKf
	.globl	_ZN4vllm3moe10topkGatingILi4ELi64ELi4ELi16ELi32EjfLNS0_11ScoringFuncE1EEEvPKT5_PKbPfiPT4_PiiiibPKf
	.p2align	8
	.type	_ZN4vllm3moe10topkGatingILi4ELi64ELi4ELi16ELi32EjfLNS0_11ScoringFuncE1EEEvPKT5_PKbPfiPT4_PiiiibPKf,@function
_ZN4vllm3moe10topkGatingILi4ELi64ELi4ELi16ELi32EjfLNS0_11ScoringFuncE1EEEvPKT5_PKbPfiPT4_PiiiibPKf: ; @_ZN4vllm3moe10topkGatingILi4ELi64ELi4ELi16ELi32EjfLNS0_11ScoringFuncE1EEEvPKT5_PKbPfiPT4_PiiiibPKf
; %bb.0:
	s_load_b32 s14, s[0:1], 0x18
	v_bfe_u32 v1, v0, 10, 10
	v_and_b32_e32 v0, 0x3ff, v0
	s_lshl_b32 s2, s15, 3
	s_delay_alu instid0(VALU_DEP_2) | instskip(NEXT) | instid1(VALU_DEP_2)
	v_lshlrev_b32_e32 v1, 1, v1
	v_lshrrev_b32_e32 v2, 4, v0
	s_delay_alu instid0(VALU_DEP_1) | instskip(SKIP_2) | instid1(VALU_DEP_1)
	v_add3_u32 v8, s2, v1, v2
	s_mov_b32 s2, exec_lo
	s_waitcnt lgkmcnt(0)
	v_cmpx_gt_i32_e64 s14, v8
	s_cbranch_execz .LBB222_37
; %bb.1:
	s_clause 0x1
	s_load_b128 s[4:7], s[0:1], 0x0
	s_load_b64 s[12:13], s[0:1], 0x10
	s_mov_b32 s8, -1
	s_mov_b32 s15, -1
	s_waitcnt lgkmcnt(0)
	s_cmp_eq_u64 s[6:7], 0
	s_cbranch_scc1 .LBB222_3
; %bb.2:
	v_ashrrev_i32_e32 v2, 31, v8
	v_add_co_u32 v1, vcc_lo, s6, v8
	s_delay_alu instid0(VALU_DEP_2) | instskip(SKIP_3) | instid1(VALU_DEP_1)
	v_add_co_ci_u32_e32 v2, vcc_lo, s7, v2, vcc_lo
	global_load_u8 v1, v[1:2], off
	s_waitcnt vmcnt(0)
	v_and_b32_e32 v1, 1, v1
	v_cmp_eq_u32_e32 vcc_lo, 1, v1
	s_xor_b32 s2, vcc_lo, -1
	s_delay_alu instid0(SALU_CYCLE_1)
	s_or_not1_b32 s15, s2, exec_lo
.LBB222_3:
	v_lshlrev_b32_e32 v1, 6, v8
	v_and_b32_e32 v9, 15, v0
	s_load_b64 s[6:7], s[0:1], 0x40
	s_delay_alu instid0(VALU_DEP_2) | instskip(NEXT) | instid1(VALU_DEP_1)
	v_ashrrev_i32_e32 v2, 31, v1
	v_lshlrev_b64 v[0:1], 2, v[1:2]
	s_delay_alu instid0(VALU_DEP_3) | instskip(NEXT) | instid1(VALU_DEP_2)
	v_lshlrev_b32_e32 v2, 4, v9
	v_add_co_u32 v0, vcc_lo, s4, v0
	s_delay_alu instid0(VALU_DEP_3) | instskip(NEXT) | instid1(VALU_DEP_2)
	v_add_co_ci_u32_e32 v1, vcc_lo, s5, v1, vcc_lo
	v_add_co_u32 v0, vcc_lo, v0, v2
	s_delay_alu instid0(VALU_DEP_2)
	v_add_co_ci_u32_e32 v1, vcc_lo, 0, v1, vcc_lo
	s_waitcnt lgkmcnt(0)
	s_cmp_eq_u64 s[6:7], 0
	global_load_b128 v[0:3], v[0:1], off
	s_waitcnt vmcnt(0)
	v_dual_mul_f32 v3, 0xbfb8aa3b, v3 :: v_dual_mul_f32 v0, 0xbfb8aa3b, v0
	v_dual_mul_f32 v1, 0xbfb8aa3b, v1 :: v_dual_mul_f32 v2, 0xbfb8aa3b, v2
	s_delay_alu instid0(VALU_DEP_2) | instskip(NEXT) | instid1(VALU_DEP_2)
	v_exp_f32_e32 v3, v3
	v_exp_f32_e32 v0, v0
	s_delay_alu instid0(VALU_DEP_1) | instskip(NEXT) | instid1(VALU_DEP_1)
	v_exp_f32_e32 v1, v1
	v_exp_f32_e32 v2, v2
	s_waitcnt_depctr 0xfff
	v_dual_add_f32 v0, 1.0, v0 :: v_dual_add_f32 v1, 1.0, v1
	v_add_f32_e32 v2, 1.0, v2
	s_delay_alu instid0(VALU_DEP_2) | instskip(NEXT) | instid1(VALU_DEP_3)
	v_div_scale_f32 v4, null, v0, v0, 1.0
	v_div_scale_f32 v5, null, v1, v1, 1.0
	s_delay_alu instid0(VALU_DEP_3) | instskip(NEXT) | instid1(VALU_DEP_3)
	v_div_scale_f32 v6, null, v2, v2, 1.0
	v_rcp_f32_e32 v11, v4
	s_delay_alu instid0(VALU_DEP_2) | instskip(SKIP_1) | instid1(VALU_DEP_2)
	v_rcp_f32_e32 v12, v5
	v_div_scale_f32 v15, vcc_lo, 1.0, v0, 1.0
	v_rcp_f32_e32 v13, v6
	v_div_scale_f32 v16, s2, 1.0, v1, 1.0
	v_div_scale_f32 v17, s3, 1.0, v2, 1.0
	s_delay_alu instid0(TRANS32_DEP_3) | instskip(SKIP_4) | instid1(VALU_DEP_3)
	v_fma_f32 v10, -v4, v11, 1.0
	s_waitcnt_depctr 0xfff
	v_fma_f32 v18, -v5, v12, 1.0
	v_add_f32_e32 v3, 1.0, v3
	v_fma_f32 v19, -v6, v13, 1.0
	v_fmac_f32_e32 v12, v18, v12
	s_delay_alu instid0(VALU_DEP_3) | instskip(SKIP_1) | instid1(VALU_DEP_2)
	v_div_scale_f32 v7, null, v3, v3, 1.0
	v_div_scale_f32 v21, s4, 1.0, v3, 1.0
	v_rcp_f32_e32 v14, v7
	s_waitcnt_depctr 0xfff
	v_fma_f32 v20, -v7, v14, 1.0
	s_delay_alu instid0(VALU_DEP_1) | instskip(NEXT) | instid1(VALU_DEP_1)
	v_dual_fmac_f32 v11, v10, v11 :: v_dual_fmac_f32 v14, v20, v14
	v_mul_f32_e32 v18, v15, v11
	v_fmac_f32_e32 v13, v19, v13
	s_delay_alu instid0(VALU_DEP_3) | instskip(NEXT) | instid1(VALU_DEP_3)
	v_dual_mul_f32 v19, v16, v12 :: v_dual_mul_f32 v22, v21, v14
	v_fma_f32 v10, -v4, v18, v15
	s_delay_alu instid0(VALU_DEP_2) | instskip(NEXT) | instid1(VALU_DEP_4)
	v_fma_f32 v23, -v5, v19, v16
	v_mul_f32_e32 v20, v17, v13
	s_delay_alu instid0(VALU_DEP_4) | instskip(NEXT) | instid1(VALU_DEP_4)
	v_fma_f32 v25, -v7, v22, v21
	v_fmac_f32_e32 v18, v10, v11
	s_delay_alu instid0(VALU_DEP_4) | instskip(NEXT) | instid1(VALU_DEP_4)
	v_dual_fmac_f32 v19, v23, v12 :: v_dual_lshlrev_b32 v10, 2, v9
	v_fma_f32 v24, -v6, v20, v17
	s_delay_alu instid0(VALU_DEP_4) | instskip(NEXT) | instid1(VALU_DEP_4)
	v_fmac_f32_e32 v22, v25, v14
	v_fma_f32 v4, -v4, v18, v15
	s_delay_alu instid0(VALU_DEP_4) | instskip(NEXT) | instid1(VALU_DEP_4)
	v_fma_f32 v5, -v5, v19, v16
	v_fmac_f32_e32 v20, v24, v13
	s_delay_alu instid0(VALU_DEP_4) | instskip(NEXT) | instid1(VALU_DEP_4)
	v_fma_f32 v7, -v7, v22, v21
	v_div_fmas_f32 v4, v4, v11, v18
	s_mov_b32 vcc_lo, s2
	s_delay_alu instid0(VALU_DEP_3) | instskip(SKIP_1) | instid1(VALU_DEP_3)
	v_fma_f32 v6, -v6, v20, v17
	v_div_fmas_f32 v5, v5, v12, v19
	v_div_fixup_f32 v0, v4, v0, 1.0
	s_mov_b32 vcc_lo, s3
	s_delay_alu instid0(VALU_DEP_3)
	v_div_fmas_f32 v6, v6, v13, v20
	s_mov_b32 vcc_lo, s4
	v_div_fixup_f32 v1, v5, v1, 1.0
	v_div_fmas_f32 v4, v7, v14, v22
	v_cmp_class_f32_e64 vcc_lo, v0, 0x1f8
	v_div_fixup_f32 v2, v6, v2, 1.0
	s_delay_alu instid0(VALU_DEP_3)
	v_div_fixup_f32 v3, v4, v3, 1.0
	v_cndmask_b32_e32 v0, 0, v0, vcc_lo
	v_cmp_class_f32_e64 vcc_lo, v1, 0x1f8
	v_cndmask_b32_e32 v1, 0, v1, vcc_lo
	v_cmp_class_f32_e64 vcc_lo, v2, 0x1f8
	;; [unrolled: 2-line block ×3, first 2 shown]
	v_cndmask_b32_e32 v3, 0, v3, vcc_lo
	s_cbranch_scc1 .LBB222_31
; %bb.4:
	v_lshlrev_b32_e32 v4, 2, v10
	global_load_b128 v[4:7], v4, s[6:7]
	s_waitcnt vmcnt(0)
	v_dual_add_f32 v5, v5, v1 :: v_dual_add_f32 v4, v4, v0
	v_dual_add_f32 v7, v7, v3 :: v_dual_add_f32 v6, v6, v2
	s_cbranch_execnz .LBB222_6
.LBB222_5:
	v_dual_mov_b32 v7, v3 :: v_dual_mov_b32 v6, v2
	v_dual_mov_b32 v5, v1 :: v_dual_mov_b32 v4, v0
.LBB222_6:
	s_load_b128 s[4:7], s[0:1], 0x30
	v_cmp_eq_u32_e64 s2, 0, v9
	s_waitcnt lgkmcnt(0)
	s_bitcmp1_b32 s7, 0
	s_mov_b32 s7, 0
	s_cselect_b32 vcc_lo, -1, 0
	s_cmp_gt_i32 s4, 0
	s_cselect_b32 s3, -1, 0
	s_cmp_lt_i32 s4, 1
	s_cbranch_scc1 .LBB222_32
; %bb.7:
	v_mbcnt_lo_u32_b32 v11, -1, 0
	s_load_b128 s[8:11], s[0:1], 0x20
	s_delay_alu instid0(VALU_DEP_1)
	v_dual_mov_b32 v17, v8 :: v_dual_and_b32 v12, 16, v11
	v_xor_b32_e32 v13, 8, v11
	v_xor_b32_e32 v14, 4, v11
	v_xor_b32_e32 v15, 2, v11
	v_xor_b32_e32 v16, 1, v11
	v_add_nc_u32_e32 v12, 16, v12
	s_delay_alu instid0(VALU_DEP_1) | instskip(NEXT) | instid1(VALU_DEP_1)
	v_cmp_lt_i32_e64 s0, v13, v12
	v_cndmask_b32_e64 v13, v11, v13, s0
	v_cmp_lt_i32_e64 s0, v14, v12
	s_delay_alu instid0(VALU_DEP_2) | instskip(NEXT) | instid1(VALU_DEP_2)
	v_lshlrev_b32_e32 v13, 2, v13
	v_cndmask_b32_e64 v14, v11, v14, s0
	v_cmp_lt_i32_e64 s0, v15, v12
	s_delay_alu instid0(VALU_DEP_2) | instskip(NEXT) | instid1(VALU_DEP_2)
	v_lshlrev_b32_e32 v14, 2, v14
	v_cndmask_b32_e64 v15, v11, v15, s0
	v_cmp_lt_i32_e64 s0, v16, v12
	v_mul_lo_u32 v12, v8, s4
	s_delay_alu instid0(VALU_DEP_3) | instskip(NEXT) | instid1(VALU_DEP_3)
	v_lshlrev_b32_e32 v15, 2, v15
	v_cndmask_b32_e64 v11, v11, v16, s0
	s_delay_alu instid0(VALU_DEP_1)
	v_dual_mov_b32 v11, 0 :: v_dual_lshlrev_b32 v16, 2, v11
	s_branch .LBB222_10
.LBB222_8:                              ;   in Loop: Header=BB222_10 Depth=1
	s_or_b32 exec_lo, exec_lo, s1
.LBB222_9:                              ;   in Loop: Header=BB222_10 Depth=1
	v_add_nc_u32_e32 v17, s14, v17
	s_cmp_eq_u32 s4, s7
	s_cbranch_scc1 .LBB222_33
.LBB222_10:                             ; =>This Inner Loop Header: Depth=1
	v_cmp_gt_f32_e64 s0, v5, v4
	s_mov_b32 s17, exec_lo
	s_delay_alu instid0(VALU_DEP_1) | instskip(SKIP_2) | instid1(VALU_DEP_3)
	v_cndmask_b32_e64 v19, v4, v5, s0
	v_cndmask_b32_e64 v18, 0, 1, s0
	v_cndmask_b32_e64 v20, v0, v1, s0
	v_cmp_gt_f32_e64 s1, v6, v19
	s_delay_alu instid0(VALU_DEP_1) | instskip(NEXT) | instid1(VALU_DEP_4)
	v_cndmask_b32_e64 v19, v19, v6, s1
	v_cndmask_b32_e64 v18, v18, 2, s1
	s_waitcnt lgkmcnt(0)
	v_cndmask_b32_e64 v21, v20, v2, s1
	s_delay_alu instid0(VALU_DEP_3) | instskip(NEXT) | instid1(VALU_DEP_1)
	v_cmp_gt_f32_e64 s0, v7, v19
	v_cndmask_b32_e64 v18, v18, 3, s0
	v_cndmask_b32_e64 v20, v19, v7, s0
	s_delay_alu instid0(VALU_DEP_4) | instskip(NEXT) | instid1(VALU_DEP_3)
	v_cndmask_b32_e64 v19, v21, v3, s0
	v_or_b32_e32 v18, v10, v18
	ds_bpermute_b32 v21, v13, v20
	ds_bpermute_b32 v23, v13, v19
	;; [unrolled: 1-line block ×3, first 2 shown]
	s_waitcnt lgkmcnt(0)
	v_cmp_lt_f32_e64 s16, v20, v21
	v_cmpx_nlt_f32_e32 v20, v21
; %bb.11:                               ;   in Loop: Header=BB222_10 Depth=1
	v_cmp_eq_f32_e64 s0, v20, v21
	v_cmp_lt_i32_e64 s1, v22, v18
	s_delay_alu instid0(VALU_DEP_1) | instskip(SKIP_2) | instid1(SALU_CYCLE_1)
	s_and_b32 s0, s0, s1
	s_and_not1_b32 s1, s16, exec_lo
	s_and_b32 s0, s0, exec_lo
	s_or_b32 s16, s1, s0
; %bb.12:                               ;   in Loop: Header=BB222_10 Depth=1
	s_or_b32 exec_lo, exec_lo, s17
	s_and_saveexec_b32 s0, s16
; %bb.13:                               ;   in Loop: Header=BB222_10 Depth=1
	v_dual_mov_b32 v19, v23 :: v_dual_mov_b32 v20, v21
	v_mov_b32_e32 v18, v22
; %bb.14:                               ;   in Loop: Header=BB222_10 Depth=1
	s_or_b32 exec_lo, exec_lo, s0
	ds_bpermute_b32 v21, v14, v20
	ds_bpermute_b32 v23, v14, v19
	;; [unrolled: 1-line block ×3, first 2 shown]
	s_mov_b32 s17, exec_lo
	s_waitcnt lgkmcnt(2)
	v_cmp_lt_f32_e64 s16, v20, v21
	v_cmpx_nlt_f32_e32 v20, v21
	s_cbranch_execz .LBB222_16
; %bb.15:                               ;   in Loop: Header=BB222_10 Depth=1
	v_cmp_eq_f32_e64 s0, v20, v21
	s_waitcnt lgkmcnt(0)
	v_cmp_lt_i32_e64 s1, v22, v18
	s_delay_alu instid0(VALU_DEP_1) | instskip(SKIP_2) | instid1(SALU_CYCLE_1)
	s_and_b32 s0, s0, s1
	s_and_not1_b32 s1, s16, exec_lo
	s_and_b32 s0, s0, exec_lo
	s_or_b32 s16, s1, s0
.LBB222_16:                             ;   in Loop: Header=BB222_10 Depth=1
	s_or_b32 exec_lo, exec_lo, s17
	s_delay_alu instid0(VALU_DEP_2)
	s_and_saveexec_b32 s0, s16
	s_cbranch_execz .LBB222_18
; %bb.17:                               ;   in Loop: Header=BB222_10 Depth=1
	s_waitcnt lgkmcnt(1)
	v_dual_mov_b32 v19, v23 :: v_dual_mov_b32 v20, v21
	s_waitcnt lgkmcnt(0)
	v_mov_b32_e32 v18, v22
.LBB222_18:                             ;   in Loop: Header=BB222_10 Depth=1
	s_or_b32 exec_lo, exec_lo, s0
	ds_bpermute_b32 v21, v15, v20
	s_waitcnt lgkmcnt(2)
	ds_bpermute_b32 v23, v15, v19
	s_waitcnt lgkmcnt(2)
	ds_bpermute_b32 v22, v15, v18
	s_mov_b32 s17, exec_lo
	s_waitcnt lgkmcnt(2)
	v_cmp_lt_f32_e64 s16, v20, v21
	v_cmpx_nlt_f32_e32 v20, v21
	s_cbranch_execz .LBB222_20
; %bb.19:                               ;   in Loop: Header=BB222_10 Depth=1
	v_cmp_eq_f32_e64 s0, v20, v21
	s_waitcnt lgkmcnt(0)
	v_cmp_lt_i32_e64 s1, v22, v18
	s_delay_alu instid0(VALU_DEP_1) | instskip(SKIP_2) | instid1(SALU_CYCLE_1)
	s_and_b32 s0, s0, s1
	s_and_not1_b32 s1, s16, exec_lo
	s_and_b32 s0, s0, exec_lo
	s_or_b32 s16, s1, s0
.LBB222_20:                             ;   in Loop: Header=BB222_10 Depth=1
	s_or_b32 exec_lo, exec_lo, s17
	s_delay_alu instid0(VALU_DEP_2)
	s_and_saveexec_b32 s0, s16
	s_cbranch_execz .LBB222_22
; %bb.21:                               ;   in Loop: Header=BB222_10 Depth=1
	s_waitcnt lgkmcnt(1)
	v_dual_mov_b32 v19, v23 :: v_dual_mov_b32 v20, v21
	s_waitcnt lgkmcnt(0)
	v_mov_b32_e32 v18, v22
.LBB222_22:                             ;   in Loop: Header=BB222_10 Depth=1
	s_or_b32 exec_lo, exec_lo, s0
	s_waitcnt lgkmcnt(1)
	ds_bpermute_b32 v23, v16, v20
	ds_bpermute_b32 v21, v16, v19
	s_waitcnt lgkmcnt(2)
	ds_bpermute_b32 v22, v16, v18
	s_mov_b32 s17, exec_lo
	s_waitcnt lgkmcnt(2)
	v_cmp_lt_f32_e64 s16, v20, v23
	v_cmpx_nlt_f32_e32 v20, v23
	s_cbranch_execnz .LBB222_26
; %bb.23:                               ;   in Loop: Header=BB222_10 Depth=1
	s_or_b32 exec_lo, exec_lo, s17
	s_delay_alu instid0(VALU_DEP_2)
	s_and_saveexec_b32 s0, s16
	s_cbranch_execnz .LBB222_27
.LBB222_24:                             ;   in Loop: Header=BB222_10 Depth=1
	s_or_b32 exec_lo, exec_lo, s0
	s_and_saveexec_b32 s16, s2
	s_cbranch_execnz .LBB222_28
.LBB222_25:                             ;   in Loop: Header=BB222_10 Depth=1
	s_or_b32 exec_lo, exec_lo, s16
	s_add_i32 s7, s7, 1
	s_delay_alu instid0(SALU_CYCLE_1)
	s_cmp_ge_i32 s7, s4
	s_cbranch_scc1 .LBB222_9
	s_branch .LBB222_29
.LBB222_26:                             ;   in Loop: Header=BB222_10 Depth=1
	v_cmp_eq_f32_e64 s0, v20, v23
	s_waitcnt lgkmcnt(0)
	v_cmp_lt_i32_e64 s1, v22, v18
	s_delay_alu instid0(VALU_DEP_1) | instskip(SKIP_2) | instid1(SALU_CYCLE_1)
	s_and_b32 s0, s0, s1
	s_and_not1_b32 s1, s16, exec_lo
	s_and_b32 s0, s0, exec_lo
	s_or_b32 s16, s1, s0
	s_or_b32 exec_lo, exec_lo, s17
	s_and_saveexec_b32 s0, s16
	s_cbranch_execz .LBB222_24
.LBB222_27:                             ;   in Loop: Header=BB222_10 Depth=1
	s_waitcnt lgkmcnt(0)
	v_dual_mov_b32 v18, v22 :: v_dual_mov_b32 v19, v21
	s_or_b32 exec_lo, exec_lo, s0
	s_and_saveexec_b32 s16, s2
	s_cbranch_execz .LBB222_25
.LBB222_28:                             ;   in Loop: Header=BB222_10 Depth=1
	s_delay_alu instid0(VALU_DEP_1)
	v_dual_add_f32 v27, v11, v19 :: v_dual_add_nc_u32 v20, s7, v12
	v_cmp_le_i32_e64 s0, s5, v18
	v_cmp_gt_i32_e64 s1, s6, v18
	s_waitcnt lgkmcnt(0)
	v_subrev_nc_u32_e32 v22, s5, v18
	v_ashrrev_i32_e32 v21, 31, v20
	v_cndmask_b32_e32 v11, v11, v27, vcc_lo
	s_and_b32 s0, s0, s1
	s_delay_alu instid0(SALU_CYCLE_1) | instskip(NEXT) | instid1(VALU_DEP_2)
	s_and_b32 s0, s15, s0
	v_lshlrev_b64 v[20:21], 2, v[20:21]
	v_cndmask_b32_e64 v26, 64, v22, s0
	s_delay_alu instid0(VALU_DEP_2) | instskip(NEXT) | instid1(VALU_DEP_1)
	v_add_co_u32 v22, s0, s12, v20
	v_add_co_ci_u32_e64 v23, s0, s13, v21, s0
	v_add_co_u32 v24, s0, s8, v20
	s_delay_alu instid0(VALU_DEP_1) | instskip(SKIP_1) | instid1(VALU_DEP_1)
	v_add_co_ci_u32_e64 v25, s0, s9, v21, s0
	v_add_co_u32 v20, s0, s10, v20
	v_add_co_ci_u32_e64 v21, s0, s11, v21, s0
	global_store_b32 v[22:23], v19, off
	global_store_b32 v[24:25], v26, off
	;; [unrolled: 1-line block ×3, first 2 shown]
	s_or_b32 exec_lo, exec_lo, s16
	s_add_i32 s7, s7, 1
	s_delay_alu instid0(SALU_CYCLE_1)
	s_cmp_ge_i32 s7, s4
	s_cbranch_scc1 .LBB222_9
.LBB222_29:                             ;   in Loop: Header=BB222_10 Depth=1
	v_ashrrev_i32_e32 v19, 31, v18
	s_mov_b32 s1, exec_lo
	s_delay_alu instid0(VALU_DEP_1) | instskip(NEXT) | instid1(VALU_DEP_1)
	v_lshrrev_b32_e32 v20, 30, v19
	v_add_nc_u32_e32 v20, v18, v20
	s_waitcnt lgkmcnt(1)
	s_delay_alu instid0(VALU_DEP_1) | instskip(SKIP_1) | instid1(VALU_DEP_2)
	v_ashrrev_i32_e32 v21, 31, v20
	v_ashrrev_i32_e32 v20, 2, v20
	v_lshrrev_b32_e32 v21, 28, v21
	s_delay_alu instid0(VALU_DEP_1) | instskip(NEXT) | instid1(VALU_DEP_1)
	v_add_nc_u32_e32 v21, v20, v21
	v_and_b32_e32 v21, -16, v21
	s_delay_alu instid0(VALU_DEP_1) | instskip(NEXT) | instid1(VALU_DEP_1)
	v_sub_nc_u32_e32 v21, v20, v21
	v_cmpx_eq_u32_e64 v9, v21
	s_cbranch_execz .LBB222_8
; %bb.30:                               ;   in Loop: Header=BB222_10 Depth=1
	v_lshrrev_b32_e32 v19, 26, v19
	v_lshlrev_b32_e32 v20, 2, v20
	s_delay_alu instid0(VALU_DEP_2) | instskip(NEXT) | instid1(VALU_DEP_2)
	v_add_nc_u32_e32 v19, v18, v19
	v_sub_nc_u32_e32 v18, v18, v20
	s_delay_alu instid0(VALU_DEP_2) | instskip(NEXT) | instid1(VALU_DEP_1)
	v_ashrrev_i32_e32 v19, 6, v19
	v_lshl_add_u32 v18, v19, 2, v18
	s_delay_alu instid0(VALU_DEP_1) | instskip(NEXT) | instid1(VALU_DEP_1)
	v_cmp_ne_u32_e64 s0, 3, v18
	v_cndmask_b32_e64 v7, 0xc61c4000, v7, s0
	v_cmp_ne_u32_e64 s0, 2, v18
	s_delay_alu instid0(VALU_DEP_1) | instskip(SKIP_1) | instid1(VALU_DEP_1)
	v_cndmask_b32_e64 v6, 0xc61c4000, v6, s0
	v_cmp_ne_u32_e64 s0, 1, v18
	v_cndmask_b32_e64 v5, 0xc61c4000, v5, s0
	v_cmp_ne_u32_e64 s0, 0, v18
	s_delay_alu instid0(VALU_DEP_1)
	v_cndmask_b32_e64 v4, 0xc61c4000, v4, s0
	s_branch .LBB222_8
.LBB222_31:
                                        ; implicit-def: $vgpr4_vgpr5_vgpr6_vgpr7
	s_and_not1_b32 vcc_lo, exec_lo, s8
	s_cbranch_vccz .LBB222_5
	s_branch .LBB222_6
.LBB222_32:
	v_mov_b32_e32 v11, 0
.LBB222_33:
	v_cmp_eq_u32_e64 s0, 0, v9
	s_delay_alu instid0(VALU_DEP_1) | instskip(NEXT) | instid1(SALU_CYCLE_1)
	s_and_b32 s0, s0, vcc_lo
	s_and_b32 exec_lo, exec_lo, s0
	s_cbranch_execz .LBB222_37
; %bb.34:
	s_and_not1_b32 vcc_lo, exec_lo, s3
	s_cbranch_vccnz .LBB222_37
; %bb.35:
	v_mul_lo_u32 v0, v8, s4
	v_cmp_lt_f32_e32 vcc_lo, 0, v11
	v_cndmask_b32_e32 v2, 1.0, v11, vcc_lo
	s_delay_alu instid0(VALU_DEP_3) | instskip(NEXT) | instid1(VALU_DEP_1)
	v_ashrrev_i32_e32 v1, 31, v0
	v_lshlrev_b64 v[0:1], 2, v[0:1]
	s_delay_alu instid0(VALU_DEP_1) | instskip(NEXT) | instid1(VALU_DEP_2)
	v_add_co_u32 v0, vcc_lo, s12, v0
	v_add_co_ci_u32_e32 v1, vcc_lo, s13, v1, vcc_lo
	.p2align	6
.LBB222_36:                             ; =>This Inner Loop Header: Depth=1
	global_load_b32 v3, v[0:1], off
	s_add_i32 s4, s4, -1
	s_delay_alu instid0(SALU_CYCLE_1) | instskip(SKIP_3) | instid1(VALU_DEP_2)
	s_cmp_lg_u32 s4, 0
	s_waitcnt vmcnt(0)
	v_div_scale_f32 v4, null, v2, v2, v3
	v_div_scale_f32 v7, vcc_lo, v3, v2, v3
	v_rcp_f32_e32 v5, v4
	s_waitcnt_depctr 0xfff
	v_fma_f32 v6, -v4, v5, 1.0
	s_delay_alu instid0(VALU_DEP_1) | instskip(NEXT) | instid1(VALU_DEP_1)
	v_fmac_f32_e32 v5, v6, v5
	v_mul_f32_e32 v6, v7, v5
	s_delay_alu instid0(VALU_DEP_1) | instskip(NEXT) | instid1(VALU_DEP_1)
	v_fma_f32 v8, -v4, v6, v7
	v_fmac_f32_e32 v6, v8, v5
	s_delay_alu instid0(VALU_DEP_1) | instskip(NEXT) | instid1(VALU_DEP_1)
	v_fma_f32 v4, -v4, v6, v7
	v_div_fmas_f32 v4, v4, v5, v6
	s_delay_alu instid0(VALU_DEP_1)
	v_div_fixup_f32 v3, v4, v2, v3
	global_store_b32 v[0:1], v3, off
	v_add_co_u32 v0, vcc_lo, v0, 4
	v_add_co_ci_u32_e32 v1, vcc_lo, 0, v1, vcc_lo
	s_cbranch_scc1 .LBB222_36
.LBB222_37:
	s_nop 0
	s_sendmsg sendmsg(MSG_DEALLOC_VGPRS)
	s_endpgm
	.section	.rodata,"a",@progbits
	.p2align	6, 0x0
	.amdhsa_kernel _ZN4vllm3moe10topkGatingILi4ELi64ELi4ELi16ELi32EjfLNS0_11ScoringFuncE1EEEvPKT5_PKbPfiPT4_PiiiibPKf
		.amdhsa_group_segment_fixed_size 0
		.amdhsa_private_segment_fixed_size 0
		.amdhsa_kernarg_size 72
		.amdhsa_user_sgpr_count 15
		.amdhsa_user_sgpr_dispatch_ptr 0
		.amdhsa_user_sgpr_queue_ptr 0
		.amdhsa_user_sgpr_kernarg_segment_ptr 1
		.amdhsa_user_sgpr_dispatch_id 0
		.amdhsa_user_sgpr_private_segment_size 0
		.amdhsa_wavefront_size32 1
		.amdhsa_uses_dynamic_stack 0
		.amdhsa_enable_private_segment 0
		.amdhsa_system_sgpr_workgroup_id_x 1
		.amdhsa_system_sgpr_workgroup_id_y 0
		.amdhsa_system_sgpr_workgroup_id_z 0
		.amdhsa_system_sgpr_workgroup_info 0
		.amdhsa_system_vgpr_workitem_id 1
		.amdhsa_next_free_vgpr 28
		.amdhsa_next_free_sgpr 18
		.amdhsa_reserve_vcc 1
		.amdhsa_float_round_mode_32 0
		.amdhsa_float_round_mode_16_64 0
		.amdhsa_float_denorm_mode_32 3
		.amdhsa_float_denorm_mode_16_64 3
		.amdhsa_dx10_clamp 1
		.amdhsa_ieee_mode 1
		.amdhsa_fp16_overflow 0
		.amdhsa_workgroup_processor_mode 1
		.amdhsa_memory_ordered 1
		.amdhsa_forward_progress 0
		.amdhsa_shared_vgpr_count 0
		.amdhsa_exception_fp_ieee_invalid_op 0
		.amdhsa_exception_fp_denorm_src 0
		.amdhsa_exception_fp_ieee_div_zero 0
		.amdhsa_exception_fp_ieee_overflow 0
		.amdhsa_exception_fp_ieee_underflow 0
		.amdhsa_exception_fp_ieee_inexact 0
		.amdhsa_exception_int_div_zero 0
	.end_amdhsa_kernel
	.section	.text._ZN4vllm3moe10topkGatingILi4ELi64ELi4ELi16ELi32EjfLNS0_11ScoringFuncE1EEEvPKT5_PKbPfiPT4_PiiiibPKf,"axG",@progbits,_ZN4vllm3moe10topkGatingILi4ELi64ELi4ELi16ELi32EjfLNS0_11ScoringFuncE1EEEvPKT5_PKbPfiPT4_PiiiibPKf,comdat
.Lfunc_end222:
	.size	_ZN4vllm3moe10topkGatingILi4ELi64ELi4ELi16ELi32EjfLNS0_11ScoringFuncE1EEEvPKT5_PKbPfiPT4_PiiiibPKf, .Lfunc_end222-_ZN4vllm3moe10topkGatingILi4ELi64ELi4ELi16ELi32EjfLNS0_11ScoringFuncE1EEEvPKT5_PKbPfiPT4_PiiiibPKf
                                        ; -- End function
	.section	.AMDGPU.csdata,"",@progbits
; Kernel info:
; codeLenInByte = 2344
; NumSgprs: 20
; NumVgprs: 28
; ScratchSize: 0
; MemoryBound: 0
; FloatMode: 240
; IeeeMode: 1
; LDSByteSize: 0 bytes/workgroup (compile time only)
; SGPRBlocks: 2
; VGPRBlocks: 3
; NumSGPRsForWavesPerEU: 20
; NumVGPRsForWavesPerEU: 28
; Occupancy: 16
; WaveLimiterHint : 0
; COMPUTE_PGM_RSRC2:SCRATCH_EN: 0
; COMPUTE_PGM_RSRC2:USER_SGPR: 15
; COMPUTE_PGM_RSRC2:TRAP_HANDLER: 0
; COMPUTE_PGM_RSRC2:TGID_X_EN: 1
; COMPUTE_PGM_RSRC2:TGID_Y_EN: 0
; COMPUTE_PGM_RSRC2:TGID_Z_EN: 0
; COMPUTE_PGM_RSRC2:TIDIG_COMP_CNT: 1
	.section	.text._ZN4vllm3moe10topkGatingILi4ELi128ELi4ELi16ELi64EjfLNS0_11ScoringFuncE1EEEvPKT5_PKbPfiPT4_PiiiibPKf,"axG",@progbits,_ZN4vllm3moe10topkGatingILi4ELi128ELi4ELi16ELi64EjfLNS0_11ScoringFuncE1EEEvPKT5_PKbPfiPT4_PiiiibPKf,comdat
	.protected	_ZN4vllm3moe10topkGatingILi4ELi128ELi4ELi16ELi64EjfLNS0_11ScoringFuncE1EEEvPKT5_PKbPfiPT4_PiiiibPKf ; -- Begin function _ZN4vllm3moe10topkGatingILi4ELi128ELi4ELi16ELi64EjfLNS0_11ScoringFuncE1EEEvPKT5_PKbPfiPT4_PiiiibPKf
	.globl	_ZN4vllm3moe10topkGatingILi4ELi128ELi4ELi16ELi64EjfLNS0_11ScoringFuncE1EEEvPKT5_PKbPfiPT4_PiiiibPKf
	.p2align	8
	.type	_ZN4vllm3moe10topkGatingILi4ELi128ELi4ELi16ELi64EjfLNS0_11ScoringFuncE1EEEvPKT5_PKbPfiPT4_PiiiibPKf,@function
_ZN4vllm3moe10topkGatingILi4ELi128ELi4ELi16ELi64EjfLNS0_11ScoringFuncE1EEEvPKT5_PKbPfiPT4_PiiiibPKf: ; @_ZN4vllm3moe10topkGatingILi4ELi128ELi4ELi16ELi64EjfLNS0_11ScoringFuncE1EEEvPKT5_PKbPfiPT4_PiiiibPKf
; %bb.0:
	s_load_b32 s14, s[0:1], 0x18
	v_bfe_u32 v1, v0, 10, 10
	v_and_b32_e32 v0, 0x3ff, v0
	s_lshl_b32 s2, s15, 3
	s_delay_alu instid0(VALU_DEP_2) | instskip(NEXT) | instid1(VALU_DEP_2)
	v_lshlrev_b32_e32 v1, 1, v1
	v_lshrrev_b32_e32 v2, 5, v0
	s_delay_alu instid0(VALU_DEP_1) | instskip(SKIP_2) | instid1(VALU_DEP_1)
	v_add3_u32 v8, s2, v1, v2
	s_mov_b32 s2, exec_lo
	s_waitcnt lgkmcnt(0)
	v_cmpx_gt_i32_e64 s14, v8
	s_cbranch_execz .LBB223_41
; %bb.1:
	s_clause 0x1
	s_load_b128 s[4:7], s[0:1], 0x0
	s_load_b64 s[12:13], s[0:1], 0x10
	s_mov_b32 s8, -1
	s_mov_b32 s15, -1
	s_waitcnt lgkmcnt(0)
	s_cmp_eq_u64 s[6:7], 0
	s_cbranch_scc1 .LBB223_3
; %bb.2:
	v_ashrrev_i32_e32 v2, 31, v8
	v_add_co_u32 v1, vcc_lo, s6, v8
	s_delay_alu instid0(VALU_DEP_2) | instskip(SKIP_3) | instid1(VALU_DEP_1)
	v_add_co_ci_u32_e32 v2, vcc_lo, s7, v2, vcc_lo
	global_load_u8 v1, v[1:2], off
	s_waitcnt vmcnt(0)
	v_and_b32_e32 v1, 1, v1
	v_cmp_eq_u32_e32 vcc_lo, 1, v1
	s_xor_b32 s2, vcc_lo, -1
	s_delay_alu instid0(SALU_CYCLE_1)
	s_or_not1_b32 s15, s2, exec_lo
.LBB223_3:
	v_lshlrev_b32_e32 v1, 7, v8
	v_and_b32_e32 v9, 31, v0
	s_load_b64 s[6:7], s[0:1], 0x40
	s_delay_alu instid0(VALU_DEP_2) | instskip(NEXT) | instid1(VALU_DEP_1)
	v_ashrrev_i32_e32 v2, 31, v1
	v_lshlrev_b64 v[0:1], 2, v[1:2]
	s_delay_alu instid0(VALU_DEP_3) | instskip(NEXT) | instid1(VALU_DEP_2)
	v_lshlrev_b32_e32 v2, 4, v9
	v_add_co_u32 v0, vcc_lo, s4, v0
	s_delay_alu instid0(VALU_DEP_3) | instskip(NEXT) | instid1(VALU_DEP_2)
	v_add_co_ci_u32_e32 v1, vcc_lo, s5, v1, vcc_lo
	v_add_co_u32 v0, vcc_lo, v0, v2
	s_delay_alu instid0(VALU_DEP_2)
	v_add_co_ci_u32_e32 v1, vcc_lo, 0, v1, vcc_lo
	s_waitcnt lgkmcnt(0)
	s_cmp_eq_u64 s[6:7], 0
	global_load_b128 v[0:3], v[0:1], off
	s_waitcnt vmcnt(0)
	v_dual_mul_f32 v3, 0xbfb8aa3b, v3 :: v_dual_mul_f32 v0, 0xbfb8aa3b, v0
	v_dual_mul_f32 v1, 0xbfb8aa3b, v1 :: v_dual_mul_f32 v2, 0xbfb8aa3b, v2
	s_delay_alu instid0(VALU_DEP_2) | instskip(NEXT) | instid1(VALU_DEP_2)
	v_exp_f32_e32 v3, v3
	v_exp_f32_e32 v0, v0
	s_delay_alu instid0(VALU_DEP_1) | instskip(NEXT) | instid1(VALU_DEP_1)
	v_exp_f32_e32 v1, v1
	v_exp_f32_e32 v2, v2
	s_waitcnt_depctr 0xfff
	v_dual_add_f32 v0, 1.0, v0 :: v_dual_add_f32 v1, 1.0, v1
	v_add_f32_e32 v2, 1.0, v2
	s_delay_alu instid0(VALU_DEP_2) | instskip(NEXT) | instid1(VALU_DEP_3)
	v_div_scale_f32 v4, null, v0, v0, 1.0
	v_div_scale_f32 v5, null, v1, v1, 1.0
	s_delay_alu instid0(VALU_DEP_3) | instskip(NEXT) | instid1(VALU_DEP_3)
	v_div_scale_f32 v6, null, v2, v2, 1.0
	v_rcp_f32_e32 v11, v4
	s_delay_alu instid0(VALU_DEP_2) | instskip(SKIP_1) | instid1(VALU_DEP_2)
	v_rcp_f32_e32 v12, v5
	v_div_scale_f32 v15, vcc_lo, 1.0, v0, 1.0
	v_rcp_f32_e32 v13, v6
	v_div_scale_f32 v16, s2, 1.0, v1, 1.0
	v_div_scale_f32 v17, s3, 1.0, v2, 1.0
	s_delay_alu instid0(TRANS32_DEP_3) | instskip(SKIP_4) | instid1(VALU_DEP_3)
	v_fma_f32 v10, -v4, v11, 1.0
	s_waitcnt_depctr 0xfff
	v_fma_f32 v18, -v5, v12, 1.0
	v_add_f32_e32 v3, 1.0, v3
	v_fma_f32 v19, -v6, v13, 1.0
	v_fmac_f32_e32 v12, v18, v12
	s_delay_alu instid0(VALU_DEP_3) | instskip(SKIP_1) | instid1(VALU_DEP_2)
	v_div_scale_f32 v7, null, v3, v3, 1.0
	v_div_scale_f32 v21, s4, 1.0, v3, 1.0
	v_rcp_f32_e32 v14, v7
	s_waitcnt_depctr 0xfff
	v_fma_f32 v20, -v7, v14, 1.0
	s_delay_alu instid0(VALU_DEP_1) | instskip(NEXT) | instid1(VALU_DEP_1)
	v_dual_fmac_f32 v11, v10, v11 :: v_dual_fmac_f32 v14, v20, v14
	v_mul_f32_e32 v18, v15, v11
	v_fmac_f32_e32 v13, v19, v13
	s_delay_alu instid0(VALU_DEP_3) | instskip(NEXT) | instid1(VALU_DEP_3)
	v_dual_mul_f32 v19, v16, v12 :: v_dual_mul_f32 v22, v21, v14
	v_fma_f32 v10, -v4, v18, v15
	s_delay_alu instid0(VALU_DEP_2) | instskip(NEXT) | instid1(VALU_DEP_4)
	v_fma_f32 v23, -v5, v19, v16
	v_mul_f32_e32 v20, v17, v13
	s_delay_alu instid0(VALU_DEP_4) | instskip(NEXT) | instid1(VALU_DEP_4)
	v_fma_f32 v25, -v7, v22, v21
	v_fmac_f32_e32 v18, v10, v11
	s_delay_alu instid0(VALU_DEP_4) | instskip(NEXT) | instid1(VALU_DEP_4)
	v_dual_fmac_f32 v19, v23, v12 :: v_dual_lshlrev_b32 v10, 2, v9
	v_fma_f32 v24, -v6, v20, v17
	s_delay_alu instid0(VALU_DEP_4) | instskip(NEXT) | instid1(VALU_DEP_4)
	v_fmac_f32_e32 v22, v25, v14
	v_fma_f32 v4, -v4, v18, v15
	s_delay_alu instid0(VALU_DEP_4) | instskip(NEXT) | instid1(VALU_DEP_4)
	v_fma_f32 v5, -v5, v19, v16
	v_fmac_f32_e32 v20, v24, v13
	s_delay_alu instid0(VALU_DEP_4) | instskip(NEXT) | instid1(VALU_DEP_4)
	v_fma_f32 v7, -v7, v22, v21
	v_div_fmas_f32 v4, v4, v11, v18
	s_mov_b32 vcc_lo, s2
	s_delay_alu instid0(VALU_DEP_3) | instskip(SKIP_1) | instid1(VALU_DEP_3)
	v_fma_f32 v6, -v6, v20, v17
	v_div_fmas_f32 v5, v5, v12, v19
	v_div_fixup_f32 v0, v4, v0, 1.0
	s_mov_b32 vcc_lo, s3
	s_delay_alu instid0(VALU_DEP_3)
	v_div_fmas_f32 v6, v6, v13, v20
	s_mov_b32 vcc_lo, s4
	v_div_fixup_f32 v1, v5, v1, 1.0
	v_div_fmas_f32 v4, v7, v14, v22
	v_cmp_class_f32_e64 vcc_lo, v0, 0x1f8
	v_div_fixup_f32 v2, v6, v2, 1.0
	s_delay_alu instid0(VALU_DEP_3)
	v_div_fixup_f32 v3, v4, v3, 1.0
	v_cndmask_b32_e32 v0, 0, v0, vcc_lo
	v_cmp_class_f32_e64 vcc_lo, v1, 0x1f8
	v_cndmask_b32_e32 v1, 0, v1, vcc_lo
	v_cmp_class_f32_e64 vcc_lo, v2, 0x1f8
	;; [unrolled: 2-line block ×3, first 2 shown]
	v_cndmask_b32_e32 v3, 0, v3, vcc_lo
	s_cbranch_scc1 .LBB223_35
; %bb.4:
	v_lshlrev_b32_e32 v4, 2, v10
	global_load_b128 v[4:7], v4, s[6:7]
	s_waitcnt vmcnt(0)
	v_dual_add_f32 v5, v5, v1 :: v_dual_add_f32 v4, v4, v0
	v_dual_add_f32 v7, v7, v3 :: v_dual_add_f32 v6, v6, v2
	s_cbranch_execnz .LBB223_6
.LBB223_5:
	v_dual_mov_b32 v7, v3 :: v_dual_mov_b32 v6, v2
	v_dual_mov_b32 v5, v1 :: v_dual_mov_b32 v4, v0
.LBB223_6:
	s_load_b128 s[4:7], s[0:1], 0x30
	v_cmp_eq_u32_e64 s2, 0, v9
	s_waitcnt lgkmcnt(0)
	s_bitcmp1_b32 s7, 0
	s_mov_b32 s7, 0
	s_cselect_b32 vcc_lo, -1, 0
	s_cmp_gt_i32 s4, 0
	s_cselect_b32 s3, -1, 0
	s_cmp_lt_i32 s4, 1
	s_cbranch_scc1 .LBB223_36
; %bb.7:
	v_mbcnt_lo_u32_b32 v12, -1, 0
	s_load_b128 s[8:11], s[0:1], 0x20
	v_mul_lo_u32 v11, v8, s4
	v_mov_b32_e32 v18, v8
	s_delay_alu instid0(VALU_DEP_3)
	v_xor_b32_e32 v13, 16, v12
	v_xor_b32_e32 v14, 8, v12
	;; [unrolled: 1-line block ×5, first 2 shown]
	v_cmp_gt_i32_e64 s0, 32, v13
	s_delay_alu instid0(VALU_DEP_1) | instskip(SKIP_1) | instid1(VALU_DEP_2)
	v_cndmask_b32_e64 v13, v12, v13, s0
	v_cmp_gt_i32_e64 s0, 32, v14
	v_lshlrev_b32_e32 v13, 2, v13
	s_delay_alu instid0(VALU_DEP_2) | instskip(SKIP_1) | instid1(VALU_DEP_2)
	v_cndmask_b32_e64 v14, v12, v14, s0
	v_cmp_gt_i32_e64 s0, 32, v15
	v_lshlrev_b32_e32 v14, 2, v14
	s_delay_alu instid0(VALU_DEP_2) | instskip(SKIP_1) | instid1(VALU_DEP_2)
	;; [unrolled: 4-line block ×3, first 2 shown]
	v_cndmask_b32_e64 v16, v12, v16, s0
	v_cmp_gt_i32_e64 s0, 32, v17
	v_lshlrev_b32_e32 v16, 2, v16
	s_delay_alu instid0(VALU_DEP_2) | instskip(NEXT) | instid1(VALU_DEP_1)
	v_cndmask_b32_e64 v12, v12, v17, s0
	v_dual_mov_b32 v12, 0 :: v_dual_lshlrev_b32 v17, 2, v12
	s_branch .LBB223_10
.LBB223_8:                              ;   in Loop: Header=BB223_10 Depth=1
	s_or_b32 exec_lo, exec_lo, s1
.LBB223_9:                              ;   in Loop: Header=BB223_10 Depth=1
	v_add_nc_u32_e32 v18, s14, v18
	s_cmp_eq_u32 s4, s7
	s_cbranch_scc1 .LBB223_37
.LBB223_10:                             ; =>This Inner Loop Header: Depth=1
	v_cmp_gt_f32_e64 s0, v5, v4
	s_mov_b32 s17, exec_lo
	s_delay_alu instid0(VALU_DEP_1) | instskip(SKIP_2) | instid1(VALU_DEP_3)
	v_cndmask_b32_e64 v20, v4, v5, s0
	v_cndmask_b32_e64 v19, 0, 1, s0
	;; [unrolled: 1-line block ×3, first 2 shown]
	v_cmp_gt_f32_e64 s1, v6, v20
	s_delay_alu instid0(VALU_DEP_1) | instskip(NEXT) | instid1(VALU_DEP_4)
	v_cndmask_b32_e64 v20, v20, v6, s1
	v_cndmask_b32_e64 v19, v19, 2, s1
	s_waitcnt lgkmcnt(0)
	v_cndmask_b32_e64 v22, v21, v2, s1
	s_delay_alu instid0(VALU_DEP_3) | instskip(NEXT) | instid1(VALU_DEP_1)
	v_cmp_gt_f32_e64 s0, v7, v20
	v_cndmask_b32_e64 v19, v19, 3, s0
	v_cndmask_b32_e64 v21, v20, v7, s0
	s_delay_alu instid0(VALU_DEP_4) | instskip(NEXT) | instid1(VALU_DEP_3)
	v_cndmask_b32_e64 v20, v22, v3, s0
	v_or_b32_e32 v19, v10, v19
	ds_bpermute_b32 v22, v13, v21
	ds_bpermute_b32 v24, v13, v20
	;; [unrolled: 1-line block ×3, first 2 shown]
	s_waitcnt lgkmcnt(0)
	v_cmp_lt_f32_e64 s16, v21, v22
	v_cmpx_nlt_f32_e32 v21, v22
; %bb.11:                               ;   in Loop: Header=BB223_10 Depth=1
	v_cmp_eq_f32_e64 s0, v21, v22
	v_cmp_lt_i32_e64 s1, v23, v19
	s_delay_alu instid0(VALU_DEP_1) | instskip(SKIP_2) | instid1(SALU_CYCLE_1)
	s_and_b32 s0, s0, s1
	s_and_not1_b32 s1, s16, exec_lo
	s_and_b32 s0, s0, exec_lo
	s_or_b32 s16, s1, s0
; %bb.12:                               ;   in Loop: Header=BB223_10 Depth=1
	s_or_b32 exec_lo, exec_lo, s17
	s_and_saveexec_b32 s0, s16
; %bb.13:                               ;   in Loop: Header=BB223_10 Depth=1
	v_dual_mov_b32 v20, v24 :: v_dual_mov_b32 v21, v22
	v_mov_b32_e32 v19, v23
; %bb.14:                               ;   in Loop: Header=BB223_10 Depth=1
	s_or_b32 exec_lo, exec_lo, s0
	ds_bpermute_b32 v22, v14, v21
	ds_bpermute_b32 v24, v14, v20
	;; [unrolled: 1-line block ×3, first 2 shown]
	s_mov_b32 s17, exec_lo
	s_waitcnt lgkmcnt(2)
	v_cmp_lt_f32_e64 s16, v21, v22
	v_cmpx_nlt_f32_e32 v21, v22
	s_cbranch_execz .LBB223_16
; %bb.15:                               ;   in Loop: Header=BB223_10 Depth=1
	v_cmp_eq_f32_e64 s0, v21, v22
	s_waitcnt lgkmcnt(0)
	v_cmp_lt_i32_e64 s1, v23, v19
	s_delay_alu instid0(VALU_DEP_1) | instskip(SKIP_2) | instid1(SALU_CYCLE_1)
	s_and_b32 s0, s0, s1
	s_and_not1_b32 s1, s16, exec_lo
	s_and_b32 s0, s0, exec_lo
	s_or_b32 s16, s1, s0
.LBB223_16:                             ;   in Loop: Header=BB223_10 Depth=1
	s_or_b32 exec_lo, exec_lo, s17
	s_delay_alu instid0(VALU_DEP_2)
	s_and_saveexec_b32 s0, s16
	s_cbranch_execz .LBB223_18
; %bb.17:                               ;   in Loop: Header=BB223_10 Depth=1
	s_waitcnt lgkmcnt(1)
	v_dual_mov_b32 v20, v24 :: v_dual_mov_b32 v21, v22
	s_waitcnt lgkmcnt(0)
	v_mov_b32_e32 v19, v23
.LBB223_18:                             ;   in Loop: Header=BB223_10 Depth=1
	s_or_b32 exec_lo, exec_lo, s0
	ds_bpermute_b32 v22, v15, v21
	s_waitcnt lgkmcnt(2)
	ds_bpermute_b32 v24, v15, v20
	s_waitcnt lgkmcnt(2)
	ds_bpermute_b32 v23, v15, v19
	s_mov_b32 s17, exec_lo
	s_waitcnt lgkmcnt(2)
	v_cmp_lt_f32_e64 s16, v21, v22
	v_cmpx_nlt_f32_e32 v21, v22
	s_cbranch_execz .LBB223_20
; %bb.19:                               ;   in Loop: Header=BB223_10 Depth=1
	v_cmp_eq_f32_e64 s0, v21, v22
	s_waitcnt lgkmcnt(0)
	v_cmp_lt_i32_e64 s1, v23, v19
	s_delay_alu instid0(VALU_DEP_1) | instskip(SKIP_2) | instid1(SALU_CYCLE_1)
	s_and_b32 s0, s0, s1
	s_and_not1_b32 s1, s16, exec_lo
	s_and_b32 s0, s0, exec_lo
	s_or_b32 s16, s1, s0
.LBB223_20:                             ;   in Loop: Header=BB223_10 Depth=1
	s_or_b32 exec_lo, exec_lo, s17
	s_delay_alu instid0(VALU_DEP_2)
	s_and_saveexec_b32 s0, s16
	s_cbranch_execz .LBB223_22
; %bb.21:                               ;   in Loop: Header=BB223_10 Depth=1
	s_waitcnt lgkmcnt(1)
	v_dual_mov_b32 v20, v24 :: v_dual_mov_b32 v21, v22
	s_waitcnt lgkmcnt(0)
	v_mov_b32_e32 v19, v23
.LBB223_22:                             ;   in Loop: Header=BB223_10 Depth=1
	s_or_b32 exec_lo, exec_lo, s0
	ds_bpermute_b32 v22, v16, v21
	s_waitcnt lgkmcnt(2)
	ds_bpermute_b32 v24, v16, v20
	s_waitcnt lgkmcnt(2)
	ds_bpermute_b32 v23, v16, v19
	s_mov_b32 s17, exec_lo
	s_waitcnt lgkmcnt(2)
	v_cmp_lt_f32_e64 s16, v21, v22
	v_cmpx_nlt_f32_e32 v21, v22
	s_cbranch_execz .LBB223_24
; %bb.23:                               ;   in Loop: Header=BB223_10 Depth=1
	v_cmp_eq_f32_e64 s0, v21, v22
	s_waitcnt lgkmcnt(0)
	v_cmp_lt_i32_e64 s1, v23, v19
	s_delay_alu instid0(VALU_DEP_1) | instskip(SKIP_2) | instid1(SALU_CYCLE_1)
	s_and_b32 s0, s0, s1
	s_and_not1_b32 s1, s16, exec_lo
	s_and_b32 s0, s0, exec_lo
	s_or_b32 s16, s1, s0
.LBB223_24:                             ;   in Loop: Header=BB223_10 Depth=1
	s_or_b32 exec_lo, exec_lo, s17
	s_delay_alu instid0(VALU_DEP_2)
	s_and_saveexec_b32 s0, s16
	s_cbranch_execz .LBB223_26
; %bb.25:                               ;   in Loop: Header=BB223_10 Depth=1
	s_waitcnt lgkmcnt(1)
	v_dual_mov_b32 v20, v24 :: v_dual_mov_b32 v21, v22
	s_waitcnt lgkmcnt(0)
	v_mov_b32_e32 v19, v23
.LBB223_26:                             ;   in Loop: Header=BB223_10 Depth=1
	s_or_b32 exec_lo, exec_lo, s0
	s_waitcnt lgkmcnt(1)
	ds_bpermute_b32 v24, v17, v21
	ds_bpermute_b32 v22, v17, v20
	s_waitcnt lgkmcnt(2)
	ds_bpermute_b32 v23, v17, v19
	s_mov_b32 s17, exec_lo
	s_waitcnt lgkmcnt(2)
	v_cmp_lt_f32_e64 s16, v21, v24
	v_cmpx_nlt_f32_e32 v21, v24
	s_cbranch_execnz .LBB223_30
; %bb.27:                               ;   in Loop: Header=BB223_10 Depth=1
	s_or_b32 exec_lo, exec_lo, s17
	s_delay_alu instid0(VALU_DEP_2)
	s_and_saveexec_b32 s0, s16
	s_cbranch_execnz .LBB223_31
.LBB223_28:                             ;   in Loop: Header=BB223_10 Depth=1
	s_or_b32 exec_lo, exec_lo, s0
	s_and_saveexec_b32 s16, s2
	s_cbranch_execnz .LBB223_32
.LBB223_29:                             ;   in Loop: Header=BB223_10 Depth=1
	s_or_b32 exec_lo, exec_lo, s16
	s_add_i32 s7, s7, 1
	s_delay_alu instid0(SALU_CYCLE_1)
	s_cmp_ge_i32 s7, s4
	s_cbranch_scc1 .LBB223_9
	s_branch .LBB223_33
.LBB223_30:                             ;   in Loop: Header=BB223_10 Depth=1
	v_cmp_eq_f32_e64 s0, v21, v24
	s_waitcnt lgkmcnt(0)
	v_cmp_lt_i32_e64 s1, v23, v19
	s_delay_alu instid0(VALU_DEP_1) | instskip(SKIP_2) | instid1(SALU_CYCLE_1)
	s_and_b32 s0, s0, s1
	s_and_not1_b32 s1, s16, exec_lo
	s_and_b32 s0, s0, exec_lo
	s_or_b32 s16, s1, s0
	s_or_b32 exec_lo, exec_lo, s17
	s_and_saveexec_b32 s0, s16
	s_cbranch_execz .LBB223_28
.LBB223_31:                             ;   in Loop: Header=BB223_10 Depth=1
	s_waitcnt lgkmcnt(0)
	v_dual_mov_b32 v19, v23 :: v_dual_mov_b32 v20, v22
	s_or_b32 exec_lo, exec_lo, s0
	s_and_saveexec_b32 s16, s2
	s_cbranch_execz .LBB223_29
.LBB223_32:                             ;   in Loop: Header=BB223_10 Depth=1
	s_delay_alu instid0(VALU_DEP_1)
	v_dual_add_f32 v28, v12, v20 :: v_dual_add_nc_u32 v21, s7, v11
	v_cmp_le_i32_e64 s0, s5, v19
	v_cmp_gt_i32_e64 s1, s6, v19
	s_waitcnt lgkmcnt(0)
	v_subrev_nc_u32_e32 v23, s5, v19
	v_ashrrev_i32_e32 v22, 31, v21
	v_cndmask_b32_e32 v12, v12, v28, vcc_lo
	s_and_b32 s0, s0, s1
	s_delay_alu instid0(SALU_CYCLE_1) | instskip(NEXT) | instid1(VALU_DEP_2)
	s_and_b32 s0, s15, s0
	v_lshlrev_b64 v[21:22], 2, v[21:22]
	v_cndmask_b32_e64 v27, 0x80, v23, s0
	s_delay_alu instid0(VALU_DEP_2) | instskip(NEXT) | instid1(VALU_DEP_1)
	v_add_co_u32 v23, s0, s12, v21
	v_add_co_ci_u32_e64 v24, s0, s13, v22, s0
	v_add_co_u32 v25, s0, s8, v21
	s_delay_alu instid0(VALU_DEP_1) | instskip(SKIP_1) | instid1(VALU_DEP_1)
	v_add_co_ci_u32_e64 v26, s0, s9, v22, s0
	v_add_co_u32 v21, s0, s10, v21
	v_add_co_ci_u32_e64 v22, s0, s11, v22, s0
	global_store_b32 v[23:24], v20, off
	global_store_b32 v[25:26], v27, off
	;; [unrolled: 1-line block ×3, first 2 shown]
	s_or_b32 exec_lo, exec_lo, s16
	s_add_i32 s7, s7, 1
	s_delay_alu instid0(SALU_CYCLE_1)
	s_cmp_ge_i32 s7, s4
	s_cbranch_scc1 .LBB223_9
.LBB223_33:                             ;   in Loop: Header=BB223_10 Depth=1
	v_ashrrev_i32_e32 v20, 31, v19
	s_mov_b32 s1, exec_lo
	s_delay_alu instid0(VALU_DEP_1) | instskip(NEXT) | instid1(VALU_DEP_1)
	v_lshrrev_b32_e32 v21, 30, v20
	v_add_nc_u32_e32 v21, v19, v21
	s_waitcnt lgkmcnt(1)
	s_delay_alu instid0(VALU_DEP_1) | instskip(SKIP_1) | instid1(VALU_DEP_2)
	v_ashrrev_i32_e32 v22, 31, v21
	v_ashrrev_i32_e32 v21, 2, v21
	v_lshrrev_b32_e32 v22, 27, v22
	s_delay_alu instid0(VALU_DEP_1) | instskip(NEXT) | instid1(VALU_DEP_1)
	v_add_nc_u32_e32 v22, v21, v22
	v_and_b32_e32 v22, 0xffffffe0, v22
	s_delay_alu instid0(VALU_DEP_1) | instskip(NEXT) | instid1(VALU_DEP_1)
	v_sub_nc_u32_e32 v22, v21, v22
	v_cmpx_eq_u32_e64 v9, v22
	s_cbranch_execz .LBB223_8
; %bb.34:                               ;   in Loop: Header=BB223_10 Depth=1
	v_lshrrev_b32_e32 v20, 25, v20
	v_lshlrev_b32_e32 v21, 2, v21
	s_delay_alu instid0(VALU_DEP_2) | instskip(NEXT) | instid1(VALU_DEP_2)
	v_add_nc_u32_e32 v20, v19, v20
	v_sub_nc_u32_e32 v19, v19, v21
	s_delay_alu instid0(VALU_DEP_2) | instskip(NEXT) | instid1(VALU_DEP_1)
	v_ashrrev_i32_e32 v20, 7, v20
	v_lshl_add_u32 v19, v20, 2, v19
	s_delay_alu instid0(VALU_DEP_1) | instskip(NEXT) | instid1(VALU_DEP_1)
	v_cmp_ne_u32_e64 s0, 3, v19
	v_cndmask_b32_e64 v7, 0xc61c4000, v7, s0
	v_cmp_ne_u32_e64 s0, 2, v19
	s_delay_alu instid0(VALU_DEP_1) | instskip(SKIP_1) | instid1(VALU_DEP_1)
	v_cndmask_b32_e64 v6, 0xc61c4000, v6, s0
	v_cmp_ne_u32_e64 s0, 1, v19
	v_cndmask_b32_e64 v5, 0xc61c4000, v5, s0
	v_cmp_ne_u32_e64 s0, 0, v19
	s_delay_alu instid0(VALU_DEP_1)
	v_cndmask_b32_e64 v4, 0xc61c4000, v4, s0
	s_branch .LBB223_8
.LBB223_35:
                                        ; implicit-def: $vgpr4_vgpr5_vgpr6_vgpr7
	s_and_not1_b32 vcc_lo, exec_lo, s8
	s_cbranch_vccz .LBB223_5
	s_branch .LBB223_6
.LBB223_36:
	v_mov_b32_e32 v12, 0
.LBB223_37:
	v_cmp_eq_u32_e64 s0, 0, v9
	s_delay_alu instid0(VALU_DEP_1) | instskip(NEXT) | instid1(SALU_CYCLE_1)
	s_and_b32 s0, s0, vcc_lo
	s_and_b32 exec_lo, exec_lo, s0
	s_cbranch_execz .LBB223_41
; %bb.38:
	s_and_not1_b32 vcc_lo, exec_lo, s3
	s_cbranch_vccnz .LBB223_41
; %bb.39:
	v_mul_lo_u32 v0, v8, s4
	v_cmp_lt_f32_e32 vcc_lo, 0, v12
	v_cndmask_b32_e32 v2, 1.0, v12, vcc_lo
	s_delay_alu instid0(VALU_DEP_3) | instskip(NEXT) | instid1(VALU_DEP_1)
	v_ashrrev_i32_e32 v1, 31, v0
	v_lshlrev_b64 v[0:1], 2, v[0:1]
	s_delay_alu instid0(VALU_DEP_1) | instskip(NEXT) | instid1(VALU_DEP_2)
	v_add_co_u32 v0, vcc_lo, s12, v0
	v_add_co_ci_u32_e32 v1, vcc_lo, s13, v1, vcc_lo
	.p2align	6
.LBB223_40:                             ; =>This Inner Loop Header: Depth=1
	global_load_b32 v3, v[0:1], off
	s_add_i32 s4, s4, -1
	s_delay_alu instid0(SALU_CYCLE_1) | instskip(SKIP_3) | instid1(VALU_DEP_2)
	s_cmp_lg_u32 s4, 0
	s_waitcnt vmcnt(0)
	v_div_scale_f32 v4, null, v2, v2, v3
	v_div_scale_f32 v7, vcc_lo, v3, v2, v3
	v_rcp_f32_e32 v5, v4
	s_waitcnt_depctr 0xfff
	v_fma_f32 v6, -v4, v5, 1.0
	s_delay_alu instid0(VALU_DEP_1) | instskip(NEXT) | instid1(VALU_DEP_1)
	v_fmac_f32_e32 v5, v6, v5
	v_mul_f32_e32 v6, v7, v5
	s_delay_alu instid0(VALU_DEP_1) | instskip(NEXT) | instid1(VALU_DEP_1)
	v_fma_f32 v8, -v4, v6, v7
	v_fmac_f32_e32 v6, v8, v5
	s_delay_alu instid0(VALU_DEP_1) | instskip(NEXT) | instid1(VALU_DEP_1)
	v_fma_f32 v4, -v4, v6, v7
	v_div_fmas_f32 v4, v4, v5, v6
	s_delay_alu instid0(VALU_DEP_1)
	v_div_fixup_f32 v3, v4, v2, v3
	global_store_b32 v[0:1], v3, off
	v_add_co_u32 v0, vcc_lo, v0, 4
	v_add_co_ci_u32_e32 v1, vcc_lo, 0, v1, vcc_lo
	s_cbranch_scc1 .LBB223_40
.LBB223_41:
	s_nop 0
	s_sendmsg sendmsg(MSG_DEALLOC_VGPRS)
	s_endpgm
	.section	.rodata,"a",@progbits
	.p2align	6, 0x0
	.amdhsa_kernel _ZN4vllm3moe10topkGatingILi4ELi128ELi4ELi16ELi64EjfLNS0_11ScoringFuncE1EEEvPKT5_PKbPfiPT4_PiiiibPKf
		.amdhsa_group_segment_fixed_size 0
		.amdhsa_private_segment_fixed_size 0
		.amdhsa_kernarg_size 72
		.amdhsa_user_sgpr_count 15
		.amdhsa_user_sgpr_dispatch_ptr 0
		.amdhsa_user_sgpr_queue_ptr 0
		.amdhsa_user_sgpr_kernarg_segment_ptr 1
		.amdhsa_user_sgpr_dispatch_id 0
		.amdhsa_user_sgpr_private_segment_size 0
		.amdhsa_wavefront_size32 1
		.amdhsa_uses_dynamic_stack 0
		.amdhsa_enable_private_segment 0
		.amdhsa_system_sgpr_workgroup_id_x 1
		.amdhsa_system_sgpr_workgroup_id_y 0
		.amdhsa_system_sgpr_workgroup_id_z 0
		.amdhsa_system_sgpr_workgroup_info 0
		.amdhsa_system_vgpr_workitem_id 1
		.amdhsa_next_free_vgpr 29
		.amdhsa_next_free_sgpr 18
		.amdhsa_reserve_vcc 1
		.amdhsa_float_round_mode_32 0
		.amdhsa_float_round_mode_16_64 0
		.amdhsa_float_denorm_mode_32 3
		.amdhsa_float_denorm_mode_16_64 3
		.amdhsa_dx10_clamp 1
		.amdhsa_ieee_mode 1
		.amdhsa_fp16_overflow 0
		.amdhsa_workgroup_processor_mode 1
		.amdhsa_memory_ordered 1
		.amdhsa_forward_progress 0
		.amdhsa_shared_vgpr_count 0
		.amdhsa_exception_fp_ieee_invalid_op 0
		.amdhsa_exception_fp_denorm_src 0
		.amdhsa_exception_fp_ieee_div_zero 0
		.amdhsa_exception_fp_ieee_overflow 0
		.amdhsa_exception_fp_ieee_underflow 0
		.amdhsa_exception_fp_ieee_inexact 0
		.amdhsa_exception_int_div_zero 0
	.end_amdhsa_kernel
	.section	.text._ZN4vllm3moe10topkGatingILi4ELi128ELi4ELi16ELi64EjfLNS0_11ScoringFuncE1EEEvPKT5_PKbPfiPT4_PiiiibPKf,"axG",@progbits,_ZN4vllm3moe10topkGatingILi4ELi128ELi4ELi16ELi64EjfLNS0_11ScoringFuncE1EEEvPKT5_PKbPfiPT4_PiiiibPKf,comdat
.Lfunc_end223:
	.size	_ZN4vllm3moe10topkGatingILi4ELi128ELi4ELi16ELi64EjfLNS0_11ScoringFuncE1EEEvPKT5_PKbPfiPT4_PiiiibPKf, .Lfunc_end223-_ZN4vllm3moe10topkGatingILi4ELi128ELi4ELi16ELi64EjfLNS0_11ScoringFuncE1EEEvPKT5_PKbPfiPT4_PiiiibPKf
                                        ; -- End function
	.section	.AMDGPU.csdata,"",@progbits
; Kernel info:
; codeLenInByte = 2504
; NumSgprs: 20
; NumVgprs: 29
; ScratchSize: 0
; MemoryBound: 0
; FloatMode: 240
; IeeeMode: 1
; LDSByteSize: 0 bytes/workgroup (compile time only)
; SGPRBlocks: 2
; VGPRBlocks: 3
; NumSGPRsForWavesPerEU: 20
; NumVGPRsForWavesPerEU: 29
; Occupancy: 16
; WaveLimiterHint : 0
; COMPUTE_PGM_RSRC2:SCRATCH_EN: 0
; COMPUTE_PGM_RSRC2:USER_SGPR: 15
; COMPUTE_PGM_RSRC2:TRAP_HANDLER: 0
; COMPUTE_PGM_RSRC2:TGID_X_EN: 1
; COMPUTE_PGM_RSRC2:TGID_Y_EN: 0
; COMPUTE_PGM_RSRC2:TGID_Z_EN: 0
; COMPUTE_PGM_RSRC2:TIDIG_COMP_CNT: 1
	.section	.text._ZN4vllm3moe10topkGatingILi4ELi128ELi4ELi16ELi32EjfLNS0_11ScoringFuncE1EEEvPKT5_PKbPfiPT4_PiiiibPKf,"axG",@progbits,_ZN4vllm3moe10topkGatingILi4ELi128ELi4ELi16ELi32EjfLNS0_11ScoringFuncE1EEEvPKT5_PKbPfiPT4_PiiiibPKf,comdat
	.protected	_ZN4vllm3moe10topkGatingILi4ELi128ELi4ELi16ELi32EjfLNS0_11ScoringFuncE1EEEvPKT5_PKbPfiPT4_PiiiibPKf ; -- Begin function _ZN4vllm3moe10topkGatingILi4ELi128ELi4ELi16ELi32EjfLNS0_11ScoringFuncE1EEEvPKT5_PKbPfiPT4_PiiiibPKf
	.globl	_ZN4vllm3moe10topkGatingILi4ELi128ELi4ELi16ELi32EjfLNS0_11ScoringFuncE1EEEvPKT5_PKbPfiPT4_PiiiibPKf
	.p2align	8
	.type	_ZN4vllm3moe10topkGatingILi4ELi128ELi4ELi16ELi32EjfLNS0_11ScoringFuncE1EEEvPKT5_PKbPfiPT4_PiiiibPKf,@function
_ZN4vllm3moe10topkGatingILi4ELi128ELi4ELi16ELi32EjfLNS0_11ScoringFuncE1EEEvPKT5_PKbPfiPT4_PiiiibPKf: ; @_ZN4vllm3moe10topkGatingILi4ELi128ELi4ELi16ELi32EjfLNS0_11ScoringFuncE1EEEvPKT5_PKbPfiPT4_PiiiibPKf
; %bb.0:
	s_load_b32 s14, s[0:1], 0x18
	v_and_b32_e32 v1, 0x3ff, v0
	v_bfe_u32 v0, v0, 10, 10
	s_lshl_b32 s2, s15, 2
	s_delay_alu instid0(VALU_DEP_2) | instskip(NEXT) | instid1(VALU_DEP_1)
	v_lshrrev_b32_e32 v2, 5, v1
	v_add3_u32 v8, s2, v0, v2
	s_mov_b32 s2, exec_lo
	s_waitcnt lgkmcnt(0)
	s_delay_alu instid0(VALU_DEP_1)
	v_cmpx_gt_i32_e64 s14, v8
	s_cbranch_execz .LBB224_41
; %bb.1:
	s_clause 0x1
	s_load_b128 s[4:7], s[0:1], 0x0
	s_load_b64 s[12:13], s[0:1], 0x10
	s_mov_b32 s8, -1
	s_mov_b32 s15, -1
	s_waitcnt lgkmcnt(0)
	s_cmp_eq_u64 s[6:7], 0
	s_cbranch_scc1 .LBB224_3
; %bb.2:
	v_ashrrev_i32_e32 v0, 31, v8
	v_add_co_u32 v2, vcc_lo, s6, v8
	s_delay_alu instid0(VALU_DEP_2) | instskip(SKIP_3) | instid1(VALU_DEP_1)
	v_add_co_ci_u32_e32 v3, vcc_lo, s7, v0, vcc_lo
	global_load_u8 v0, v[2:3], off
	s_waitcnt vmcnt(0)
	v_and_b32_e32 v0, 1, v0
	v_cmp_eq_u32_e32 vcc_lo, 1, v0
	s_xor_b32 s2, vcc_lo, -1
	s_delay_alu instid0(SALU_CYCLE_1)
	s_or_not1_b32 s15, s2, exec_lo
.LBB224_3:
	v_lshlrev_b32_e32 v2, 7, v8
	v_and_b32_e32 v9, 31, v1
	s_load_b64 s[6:7], s[0:1], 0x40
	s_delay_alu instid0(VALU_DEP_2) | instskip(NEXT) | instid1(VALU_DEP_1)
	v_ashrrev_i32_e32 v3, 31, v2
	v_lshlrev_b64 v[0:1], 2, v[2:3]
	s_delay_alu instid0(VALU_DEP_3) | instskip(NEXT) | instid1(VALU_DEP_2)
	v_lshlrev_b32_e32 v2, 4, v9
	v_add_co_u32 v0, vcc_lo, s4, v0
	s_delay_alu instid0(VALU_DEP_3) | instskip(NEXT) | instid1(VALU_DEP_2)
	v_add_co_ci_u32_e32 v1, vcc_lo, s5, v1, vcc_lo
	v_add_co_u32 v0, vcc_lo, v0, v2
	s_delay_alu instid0(VALU_DEP_2)
	v_add_co_ci_u32_e32 v1, vcc_lo, 0, v1, vcc_lo
	s_waitcnt lgkmcnt(0)
	s_cmp_eq_u64 s[6:7], 0
	global_load_b128 v[0:3], v[0:1], off
	s_waitcnt vmcnt(0)
	v_dual_mul_f32 v3, 0xbfb8aa3b, v3 :: v_dual_mul_f32 v0, 0xbfb8aa3b, v0
	v_mul_f32_e32 v1, 0xbfb8aa3b, v1
	s_delay_alu instid0(VALU_DEP_2) | instskip(NEXT) | instid1(VALU_DEP_2)
	v_exp_f32_e32 v3, v3
	v_exp_f32_e32 v0, v0
	s_delay_alu instid0(VALU_DEP_1) | instskip(NEXT) | instid1(TRANS32_DEP_3)
	v_exp_f32_e32 v1, v1
	v_dual_mul_f32 v2, 0xbfb8aa3b, v2 :: v_dual_add_f32 v3, 1.0, v3
	s_waitcnt_depctr 0xfff
	v_dual_add_f32 v0, 1.0, v0 :: v_dual_add_f32 v1, 1.0, v1
	v_exp_f32_e32 v2, v2
	v_div_scale_f32 v7, null, v3, v3, 1.0
	s_delay_alu instid0(VALU_DEP_2) | instskip(NEXT) | instid1(VALU_DEP_3)
	v_div_scale_f32 v4, null, v0, v0, 1.0
	v_div_scale_f32 v5, null, v1, v1, 1.0
	v_div_scale_f32 v15, vcc_lo, 1.0, v0, 1.0
	s_delay_alu instid0(VALU_DEP_3) | instskip(NEXT) | instid1(VALU_DEP_2)
	v_rcp_f32_e32 v11, v4
	v_rcp_f32_e32 v12, v5
	;; [unrolled: 1-line block ×3, first 2 shown]
	v_div_scale_f32 v16, s2, 1.0, v1, 1.0
	v_div_scale_f32 v21, s4, 1.0, v3, 1.0
	s_delay_alu instid0(TRANS32_DEP_3)
	v_fma_f32 v10, -v4, v11, 1.0
	v_add_f32_e32 v2, 1.0, v2
	s_waitcnt_depctr 0xfff
	v_fma_f32 v18, -v5, v12, 1.0
	v_fma_f32 v20, -v7, v14, 1.0
	v_fmac_f32_e32 v11, v10, v11
	v_div_scale_f32 v6, null, v2, v2, 1.0
	v_div_scale_f32 v17, s3, 1.0, v2, 1.0
	s_delay_alu instid0(VALU_DEP_2) | instskip(SKIP_4) | instid1(VALU_DEP_3)
	v_rcp_f32_e32 v13, v6
	s_waitcnt_depctr 0xfff
	v_fma_f32 v19, -v6, v13, 1.0
	v_fmac_f32_e32 v12, v18, v12
	v_mul_f32_e32 v18, v15, v11
	v_fmac_f32_e32 v13, v19, v13
	s_delay_alu instid0(VALU_DEP_3) | instskip(NEXT) | instid1(VALU_DEP_3)
	v_mul_f32_e32 v19, v16, v12
	v_fma_f32 v10, -v4, v18, v15
	s_delay_alu instid0(VALU_DEP_2) | instskip(NEXT) | instid1(VALU_DEP_2)
	v_fma_f32 v23, -v5, v19, v16
	v_fmac_f32_e32 v18, v10, v11
	v_fmac_f32_e32 v14, v20, v14
	v_mul_f32_e32 v20, v17, v13
	s_delay_alu instid0(VALU_DEP_4) | instskip(NEXT) | instid1(VALU_DEP_4)
	v_dual_fmac_f32 v19, v23, v12 :: v_dual_lshlrev_b32 v10, 2, v9
	v_fma_f32 v4, -v4, v18, v15
	s_delay_alu instid0(VALU_DEP_3) | instskip(NEXT) | instid1(VALU_DEP_3)
	v_fma_f32 v24, -v6, v20, v17
	v_fma_f32 v5, -v5, v19, v16
	s_delay_alu instid0(VALU_DEP_3) | instskip(SKIP_1) | instid1(VALU_DEP_3)
	v_div_fmas_f32 v4, v4, v11, v18
	s_mov_b32 vcc_lo, s2
	v_fmac_f32_e32 v20, v24, v13
	s_delay_alu instid0(VALU_DEP_3) | instskip(NEXT) | instid1(VALU_DEP_3)
	v_div_fmas_f32 v5, v5, v12, v19
	v_div_fixup_f32 v0, v4, v0, 1.0
	s_mov_b32 vcc_lo, s3
	s_delay_alu instid0(VALU_DEP_3) | instskip(NEXT) | instid1(VALU_DEP_3)
	v_fma_f32 v6, -v6, v20, v17
	v_div_fixup_f32 v1, v5, v1, 1.0
	v_mul_f32_e32 v22, v21, v14
	s_delay_alu instid0(VALU_DEP_3) | instskip(SKIP_1) | instid1(VALU_DEP_2)
	v_div_fmas_f32 v6, v6, v13, v20
	s_mov_b32 vcc_lo, s4
	v_fma_f32 v25, -v7, v22, v21
	s_delay_alu instid0(VALU_DEP_2) | instskip(NEXT) | instid1(VALU_DEP_2)
	v_div_fixup_f32 v2, v6, v2, 1.0
	v_fmac_f32_e32 v22, v25, v14
	s_delay_alu instid0(VALU_DEP_1) | instskip(NEXT) | instid1(VALU_DEP_1)
	v_fma_f32 v7, -v7, v22, v21
	v_div_fmas_f32 v4, v7, v14, v22
	v_cmp_class_f32_e64 vcc_lo, v0, 0x1f8
	s_delay_alu instid0(VALU_DEP_2)
	v_div_fixup_f32 v3, v4, v3, 1.0
	v_cndmask_b32_e32 v0, 0, v0, vcc_lo
	v_cmp_class_f32_e64 vcc_lo, v1, 0x1f8
	v_cndmask_b32_e32 v1, 0, v1, vcc_lo
	v_cmp_class_f32_e64 vcc_lo, v2, 0x1f8
	;; [unrolled: 2-line block ×3, first 2 shown]
	v_cndmask_b32_e32 v3, 0, v3, vcc_lo
	s_cbranch_scc1 .LBB224_35
; %bb.4:
	v_lshlrev_b32_e32 v4, 2, v10
	global_load_b128 v[4:7], v4, s[6:7]
	s_waitcnt vmcnt(0)
	v_dual_add_f32 v5, v5, v1 :: v_dual_add_f32 v4, v4, v0
	v_dual_add_f32 v7, v7, v3 :: v_dual_add_f32 v6, v6, v2
	s_cbranch_execnz .LBB224_6
.LBB224_5:
	v_dual_mov_b32 v7, v3 :: v_dual_mov_b32 v6, v2
	v_dual_mov_b32 v5, v1 :: v_dual_mov_b32 v4, v0
.LBB224_6:
	s_load_b128 s[4:7], s[0:1], 0x30
	v_cmp_eq_u32_e64 s2, 0, v9
	s_waitcnt lgkmcnt(0)
	s_bitcmp1_b32 s7, 0
	s_mov_b32 s7, 0
	s_cselect_b32 vcc_lo, -1, 0
	s_cmp_gt_i32 s4, 0
	s_cselect_b32 s3, -1, 0
	s_cmp_lt_i32 s4, 1
	s_cbranch_scc1 .LBB224_36
; %bb.7:
	v_mbcnt_lo_u32_b32 v12, -1, 0
	s_load_b128 s[8:11], s[0:1], 0x20
	v_mul_lo_u32 v11, v8, s4
	v_mov_b32_e32 v18, v8
	s_delay_alu instid0(VALU_DEP_3)
	v_xor_b32_e32 v13, 16, v12
	v_xor_b32_e32 v14, 8, v12
	;; [unrolled: 1-line block ×5, first 2 shown]
	v_cmp_gt_i32_e64 s0, 32, v13
	s_delay_alu instid0(VALU_DEP_1) | instskip(SKIP_1) | instid1(VALU_DEP_2)
	v_cndmask_b32_e64 v13, v12, v13, s0
	v_cmp_gt_i32_e64 s0, 32, v14
	v_lshlrev_b32_e32 v13, 2, v13
	s_delay_alu instid0(VALU_DEP_2) | instskip(SKIP_1) | instid1(VALU_DEP_2)
	v_cndmask_b32_e64 v14, v12, v14, s0
	v_cmp_gt_i32_e64 s0, 32, v15
	v_lshlrev_b32_e32 v14, 2, v14
	s_delay_alu instid0(VALU_DEP_2) | instskip(SKIP_1) | instid1(VALU_DEP_2)
	;; [unrolled: 4-line block ×3, first 2 shown]
	v_cndmask_b32_e64 v16, v12, v16, s0
	v_cmp_gt_i32_e64 s0, 32, v17
	v_lshlrev_b32_e32 v16, 2, v16
	s_delay_alu instid0(VALU_DEP_2) | instskip(NEXT) | instid1(VALU_DEP_1)
	v_cndmask_b32_e64 v12, v12, v17, s0
	v_dual_mov_b32 v12, 0 :: v_dual_lshlrev_b32 v17, 2, v12
	s_branch .LBB224_10
.LBB224_8:                              ;   in Loop: Header=BB224_10 Depth=1
	s_or_b32 exec_lo, exec_lo, s1
.LBB224_9:                              ;   in Loop: Header=BB224_10 Depth=1
	v_add_nc_u32_e32 v18, s14, v18
	s_cmp_eq_u32 s4, s7
	s_cbranch_scc1 .LBB224_37
.LBB224_10:                             ; =>This Inner Loop Header: Depth=1
	v_cmp_gt_f32_e64 s0, v5, v4
	s_mov_b32 s17, exec_lo
	s_delay_alu instid0(VALU_DEP_1) | instskip(SKIP_2) | instid1(VALU_DEP_3)
	v_cndmask_b32_e64 v20, v4, v5, s0
	v_cndmask_b32_e64 v19, 0, 1, s0
	;; [unrolled: 1-line block ×3, first 2 shown]
	v_cmp_gt_f32_e64 s1, v6, v20
	s_delay_alu instid0(VALU_DEP_1) | instskip(NEXT) | instid1(VALU_DEP_4)
	v_cndmask_b32_e64 v20, v20, v6, s1
	v_cndmask_b32_e64 v19, v19, 2, s1
	s_waitcnt lgkmcnt(0)
	v_cndmask_b32_e64 v22, v21, v2, s1
	s_delay_alu instid0(VALU_DEP_3) | instskip(NEXT) | instid1(VALU_DEP_1)
	v_cmp_gt_f32_e64 s0, v7, v20
	v_cndmask_b32_e64 v19, v19, 3, s0
	v_cndmask_b32_e64 v21, v20, v7, s0
	s_delay_alu instid0(VALU_DEP_4) | instskip(NEXT) | instid1(VALU_DEP_3)
	v_cndmask_b32_e64 v20, v22, v3, s0
	v_or_b32_e32 v19, v10, v19
	ds_bpermute_b32 v22, v13, v21
	ds_bpermute_b32 v24, v13, v20
	;; [unrolled: 1-line block ×3, first 2 shown]
	s_waitcnt lgkmcnt(0)
	v_cmp_lt_f32_e64 s16, v21, v22
	v_cmpx_nlt_f32_e32 v21, v22
; %bb.11:                               ;   in Loop: Header=BB224_10 Depth=1
	v_cmp_eq_f32_e64 s0, v21, v22
	v_cmp_lt_i32_e64 s1, v23, v19
	s_delay_alu instid0(VALU_DEP_1) | instskip(SKIP_2) | instid1(SALU_CYCLE_1)
	s_and_b32 s0, s0, s1
	s_and_not1_b32 s1, s16, exec_lo
	s_and_b32 s0, s0, exec_lo
	s_or_b32 s16, s1, s0
; %bb.12:                               ;   in Loop: Header=BB224_10 Depth=1
	s_or_b32 exec_lo, exec_lo, s17
	s_and_saveexec_b32 s0, s16
; %bb.13:                               ;   in Loop: Header=BB224_10 Depth=1
	v_dual_mov_b32 v20, v24 :: v_dual_mov_b32 v21, v22
	v_mov_b32_e32 v19, v23
; %bb.14:                               ;   in Loop: Header=BB224_10 Depth=1
	s_or_b32 exec_lo, exec_lo, s0
	ds_bpermute_b32 v22, v14, v21
	ds_bpermute_b32 v24, v14, v20
	;; [unrolled: 1-line block ×3, first 2 shown]
	s_mov_b32 s17, exec_lo
	s_waitcnt lgkmcnt(2)
	v_cmp_lt_f32_e64 s16, v21, v22
	v_cmpx_nlt_f32_e32 v21, v22
	s_cbranch_execz .LBB224_16
; %bb.15:                               ;   in Loop: Header=BB224_10 Depth=1
	v_cmp_eq_f32_e64 s0, v21, v22
	s_waitcnt lgkmcnt(0)
	v_cmp_lt_i32_e64 s1, v23, v19
	s_delay_alu instid0(VALU_DEP_1) | instskip(SKIP_2) | instid1(SALU_CYCLE_1)
	s_and_b32 s0, s0, s1
	s_and_not1_b32 s1, s16, exec_lo
	s_and_b32 s0, s0, exec_lo
	s_or_b32 s16, s1, s0
.LBB224_16:                             ;   in Loop: Header=BB224_10 Depth=1
	s_or_b32 exec_lo, exec_lo, s17
	s_delay_alu instid0(VALU_DEP_2)
	s_and_saveexec_b32 s0, s16
	s_cbranch_execz .LBB224_18
; %bb.17:                               ;   in Loop: Header=BB224_10 Depth=1
	s_waitcnt lgkmcnt(1)
	v_dual_mov_b32 v20, v24 :: v_dual_mov_b32 v21, v22
	s_waitcnt lgkmcnt(0)
	v_mov_b32_e32 v19, v23
.LBB224_18:                             ;   in Loop: Header=BB224_10 Depth=1
	s_or_b32 exec_lo, exec_lo, s0
	ds_bpermute_b32 v22, v15, v21
	s_waitcnt lgkmcnt(2)
	ds_bpermute_b32 v24, v15, v20
	s_waitcnt lgkmcnt(2)
	ds_bpermute_b32 v23, v15, v19
	s_mov_b32 s17, exec_lo
	s_waitcnt lgkmcnt(2)
	v_cmp_lt_f32_e64 s16, v21, v22
	v_cmpx_nlt_f32_e32 v21, v22
	s_cbranch_execz .LBB224_20
; %bb.19:                               ;   in Loop: Header=BB224_10 Depth=1
	v_cmp_eq_f32_e64 s0, v21, v22
	s_waitcnt lgkmcnt(0)
	v_cmp_lt_i32_e64 s1, v23, v19
	s_delay_alu instid0(VALU_DEP_1) | instskip(SKIP_2) | instid1(SALU_CYCLE_1)
	s_and_b32 s0, s0, s1
	s_and_not1_b32 s1, s16, exec_lo
	s_and_b32 s0, s0, exec_lo
	s_or_b32 s16, s1, s0
.LBB224_20:                             ;   in Loop: Header=BB224_10 Depth=1
	s_or_b32 exec_lo, exec_lo, s17
	s_delay_alu instid0(VALU_DEP_2)
	s_and_saveexec_b32 s0, s16
	s_cbranch_execz .LBB224_22
; %bb.21:                               ;   in Loop: Header=BB224_10 Depth=1
	s_waitcnt lgkmcnt(1)
	v_dual_mov_b32 v20, v24 :: v_dual_mov_b32 v21, v22
	s_waitcnt lgkmcnt(0)
	v_mov_b32_e32 v19, v23
.LBB224_22:                             ;   in Loop: Header=BB224_10 Depth=1
	s_or_b32 exec_lo, exec_lo, s0
	ds_bpermute_b32 v22, v16, v21
	s_waitcnt lgkmcnt(2)
	ds_bpermute_b32 v24, v16, v20
	s_waitcnt lgkmcnt(2)
	ds_bpermute_b32 v23, v16, v19
	s_mov_b32 s17, exec_lo
	s_waitcnt lgkmcnt(2)
	v_cmp_lt_f32_e64 s16, v21, v22
	v_cmpx_nlt_f32_e32 v21, v22
	s_cbranch_execz .LBB224_24
; %bb.23:                               ;   in Loop: Header=BB224_10 Depth=1
	v_cmp_eq_f32_e64 s0, v21, v22
	s_waitcnt lgkmcnt(0)
	v_cmp_lt_i32_e64 s1, v23, v19
	s_delay_alu instid0(VALU_DEP_1) | instskip(SKIP_2) | instid1(SALU_CYCLE_1)
	s_and_b32 s0, s0, s1
	s_and_not1_b32 s1, s16, exec_lo
	s_and_b32 s0, s0, exec_lo
	s_or_b32 s16, s1, s0
.LBB224_24:                             ;   in Loop: Header=BB224_10 Depth=1
	s_or_b32 exec_lo, exec_lo, s17
	s_delay_alu instid0(VALU_DEP_2)
	s_and_saveexec_b32 s0, s16
	s_cbranch_execz .LBB224_26
; %bb.25:                               ;   in Loop: Header=BB224_10 Depth=1
	s_waitcnt lgkmcnt(1)
	v_dual_mov_b32 v20, v24 :: v_dual_mov_b32 v21, v22
	s_waitcnt lgkmcnt(0)
	v_mov_b32_e32 v19, v23
.LBB224_26:                             ;   in Loop: Header=BB224_10 Depth=1
	s_or_b32 exec_lo, exec_lo, s0
	s_waitcnt lgkmcnt(1)
	ds_bpermute_b32 v24, v17, v21
	ds_bpermute_b32 v22, v17, v20
	s_waitcnt lgkmcnt(2)
	ds_bpermute_b32 v23, v17, v19
	s_mov_b32 s17, exec_lo
	s_waitcnt lgkmcnt(2)
	v_cmp_lt_f32_e64 s16, v21, v24
	v_cmpx_nlt_f32_e32 v21, v24
	s_cbranch_execnz .LBB224_30
; %bb.27:                               ;   in Loop: Header=BB224_10 Depth=1
	s_or_b32 exec_lo, exec_lo, s17
	s_delay_alu instid0(VALU_DEP_2)
	s_and_saveexec_b32 s0, s16
	s_cbranch_execnz .LBB224_31
.LBB224_28:                             ;   in Loop: Header=BB224_10 Depth=1
	s_or_b32 exec_lo, exec_lo, s0
	s_and_saveexec_b32 s16, s2
	s_cbranch_execnz .LBB224_32
.LBB224_29:                             ;   in Loop: Header=BB224_10 Depth=1
	s_or_b32 exec_lo, exec_lo, s16
	s_add_i32 s7, s7, 1
	s_delay_alu instid0(SALU_CYCLE_1)
	s_cmp_ge_i32 s7, s4
	s_cbranch_scc1 .LBB224_9
	s_branch .LBB224_33
.LBB224_30:                             ;   in Loop: Header=BB224_10 Depth=1
	v_cmp_eq_f32_e64 s0, v21, v24
	s_waitcnt lgkmcnt(0)
	v_cmp_lt_i32_e64 s1, v23, v19
	s_delay_alu instid0(VALU_DEP_1) | instskip(SKIP_2) | instid1(SALU_CYCLE_1)
	s_and_b32 s0, s0, s1
	s_and_not1_b32 s1, s16, exec_lo
	s_and_b32 s0, s0, exec_lo
	s_or_b32 s16, s1, s0
	s_or_b32 exec_lo, exec_lo, s17
	s_and_saveexec_b32 s0, s16
	s_cbranch_execz .LBB224_28
.LBB224_31:                             ;   in Loop: Header=BB224_10 Depth=1
	s_waitcnt lgkmcnt(0)
	v_dual_mov_b32 v19, v23 :: v_dual_mov_b32 v20, v22
	s_or_b32 exec_lo, exec_lo, s0
	s_and_saveexec_b32 s16, s2
	s_cbranch_execz .LBB224_29
.LBB224_32:                             ;   in Loop: Header=BB224_10 Depth=1
	s_delay_alu instid0(VALU_DEP_1)
	v_dual_add_f32 v28, v12, v20 :: v_dual_add_nc_u32 v21, s7, v11
	v_cmp_le_i32_e64 s0, s5, v19
	v_cmp_gt_i32_e64 s1, s6, v19
	s_waitcnt lgkmcnt(0)
	v_subrev_nc_u32_e32 v23, s5, v19
	v_ashrrev_i32_e32 v22, 31, v21
	v_cndmask_b32_e32 v12, v12, v28, vcc_lo
	s_and_b32 s0, s0, s1
	s_delay_alu instid0(SALU_CYCLE_1) | instskip(NEXT) | instid1(VALU_DEP_2)
	s_and_b32 s0, s15, s0
	v_lshlrev_b64 v[21:22], 2, v[21:22]
	v_cndmask_b32_e64 v27, 0x80, v23, s0
	s_delay_alu instid0(VALU_DEP_2) | instskip(NEXT) | instid1(VALU_DEP_1)
	v_add_co_u32 v23, s0, s12, v21
	v_add_co_ci_u32_e64 v24, s0, s13, v22, s0
	v_add_co_u32 v25, s0, s8, v21
	s_delay_alu instid0(VALU_DEP_1) | instskip(SKIP_1) | instid1(VALU_DEP_1)
	v_add_co_ci_u32_e64 v26, s0, s9, v22, s0
	v_add_co_u32 v21, s0, s10, v21
	v_add_co_ci_u32_e64 v22, s0, s11, v22, s0
	global_store_b32 v[23:24], v20, off
	global_store_b32 v[25:26], v27, off
	;; [unrolled: 1-line block ×3, first 2 shown]
	s_or_b32 exec_lo, exec_lo, s16
	s_add_i32 s7, s7, 1
	s_delay_alu instid0(SALU_CYCLE_1)
	s_cmp_ge_i32 s7, s4
	s_cbranch_scc1 .LBB224_9
.LBB224_33:                             ;   in Loop: Header=BB224_10 Depth=1
	v_ashrrev_i32_e32 v20, 31, v19
	s_mov_b32 s1, exec_lo
	s_delay_alu instid0(VALU_DEP_1) | instskip(NEXT) | instid1(VALU_DEP_1)
	v_lshrrev_b32_e32 v21, 30, v20
	v_add_nc_u32_e32 v21, v19, v21
	s_waitcnt lgkmcnt(1)
	s_delay_alu instid0(VALU_DEP_1) | instskip(SKIP_1) | instid1(VALU_DEP_2)
	v_ashrrev_i32_e32 v22, 31, v21
	v_ashrrev_i32_e32 v21, 2, v21
	v_lshrrev_b32_e32 v22, 27, v22
	s_delay_alu instid0(VALU_DEP_1) | instskip(NEXT) | instid1(VALU_DEP_1)
	v_add_nc_u32_e32 v22, v21, v22
	v_and_b32_e32 v22, 0xffffffe0, v22
	s_delay_alu instid0(VALU_DEP_1) | instskip(NEXT) | instid1(VALU_DEP_1)
	v_sub_nc_u32_e32 v22, v21, v22
	v_cmpx_eq_u32_e64 v9, v22
	s_cbranch_execz .LBB224_8
; %bb.34:                               ;   in Loop: Header=BB224_10 Depth=1
	v_lshrrev_b32_e32 v20, 25, v20
	v_lshlrev_b32_e32 v21, 2, v21
	s_delay_alu instid0(VALU_DEP_2) | instskip(NEXT) | instid1(VALU_DEP_2)
	v_add_nc_u32_e32 v20, v19, v20
	v_sub_nc_u32_e32 v19, v19, v21
	s_delay_alu instid0(VALU_DEP_2) | instskip(NEXT) | instid1(VALU_DEP_1)
	v_ashrrev_i32_e32 v20, 7, v20
	v_lshl_add_u32 v19, v20, 2, v19
	s_delay_alu instid0(VALU_DEP_1) | instskip(NEXT) | instid1(VALU_DEP_1)
	v_cmp_ne_u32_e64 s0, 3, v19
	v_cndmask_b32_e64 v7, 0xc61c4000, v7, s0
	v_cmp_ne_u32_e64 s0, 2, v19
	s_delay_alu instid0(VALU_DEP_1) | instskip(SKIP_1) | instid1(VALU_DEP_1)
	v_cndmask_b32_e64 v6, 0xc61c4000, v6, s0
	v_cmp_ne_u32_e64 s0, 1, v19
	v_cndmask_b32_e64 v5, 0xc61c4000, v5, s0
	v_cmp_ne_u32_e64 s0, 0, v19
	s_delay_alu instid0(VALU_DEP_1)
	v_cndmask_b32_e64 v4, 0xc61c4000, v4, s0
	s_branch .LBB224_8
.LBB224_35:
                                        ; implicit-def: $vgpr4_vgpr5_vgpr6_vgpr7
	s_and_not1_b32 vcc_lo, exec_lo, s8
	s_cbranch_vccz .LBB224_5
	s_branch .LBB224_6
.LBB224_36:
	v_mov_b32_e32 v12, 0
.LBB224_37:
	v_cmp_eq_u32_e64 s0, 0, v9
	s_delay_alu instid0(VALU_DEP_1) | instskip(NEXT) | instid1(SALU_CYCLE_1)
	s_and_b32 s0, s0, vcc_lo
	s_and_b32 exec_lo, exec_lo, s0
	s_cbranch_execz .LBB224_41
; %bb.38:
	s_and_not1_b32 vcc_lo, exec_lo, s3
	s_cbranch_vccnz .LBB224_41
; %bb.39:
	v_mul_lo_u32 v0, v8, s4
	v_cmp_lt_f32_e32 vcc_lo, 0, v12
	v_cndmask_b32_e32 v2, 1.0, v12, vcc_lo
	s_delay_alu instid0(VALU_DEP_3) | instskip(NEXT) | instid1(VALU_DEP_1)
	v_ashrrev_i32_e32 v1, 31, v0
	v_lshlrev_b64 v[0:1], 2, v[0:1]
	s_delay_alu instid0(VALU_DEP_1) | instskip(NEXT) | instid1(VALU_DEP_2)
	v_add_co_u32 v0, vcc_lo, s12, v0
	v_add_co_ci_u32_e32 v1, vcc_lo, s13, v1, vcc_lo
	.p2align	6
.LBB224_40:                             ; =>This Inner Loop Header: Depth=1
	global_load_b32 v3, v[0:1], off
	s_add_i32 s4, s4, -1
	s_delay_alu instid0(SALU_CYCLE_1) | instskip(SKIP_3) | instid1(VALU_DEP_2)
	s_cmp_lg_u32 s4, 0
	s_waitcnt vmcnt(0)
	v_div_scale_f32 v4, null, v2, v2, v3
	v_div_scale_f32 v7, vcc_lo, v3, v2, v3
	v_rcp_f32_e32 v5, v4
	s_waitcnt_depctr 0xfff
	v_fma_f32 v6, -v4, v5, 1.0
	s_delay_alu instid0(VALU_DEP_1) | instskip(NEXT) | instid1(VALU_DEP_1)
	v_fmac_f32_e32 v5, v6, v5
	v_mul_f32_e32 v6, v7, v5
	s_delay_alu instid0(VALU_DEP_1) | instskip(NEXT) | instid1(VALU_DEP_1)
	v_fma_f32 v8, -v4, v6, v7
	v_fmac_f32_e32 v6, v8, v5
	s_delay_alu instid0(VALU_DEP_1) | instskip(NEXT) | instid1(VALU_DEP_1)
	v_fma_f32 v4, -v4, v6, v7
	v_div_fmas_f32 v4, v4, v5, v6
	s_delay_alu instid0(VALU_DEP_1)
	v_div_fixup_f32 v3, v4, v2, v3
	global_store_b32 v[0:1], v3, off
	v_add_co_u32 v0, vcc_lo, v0, 4
	v_add_co_ci_u32_e32 v1, vcc_lo, 0, v1, vcc_lo
	s_cbranch_scc1 .LBB224_40
.LBB224_41:
	s_nop 0
	s_sendmsg sendmsg(MSG_DEALLOC_VGPRS)
	s_endpgm
	.section	.rodata,"a",@progbits
	.p2align	6, 0x0
	.amdhsa_kernel _ZN4vllm3moe10topkGatingILi4ELi128ELi4ELi16ELi32EjfLNS0_11ScoringFuncE1EEEvPKT5_PKbPfiPT4_PiiiibPKf
		.amdhsa_group_segment_fixed_size 0
		.amdhsa_private_segment_fixed_size 0
		.amdhsa_kernarg_size 72
		.amdhsa_user_sgpr_count 15
		.amdhsa_user_sgpr_dispatch_ptr 0
		.amdhsa_user_sgpr_queue_ptr 0
		.amdhsa_user_sgpr_kernarg_segment_ptr 1
		.amdhsa_user_sgpr_dispatch_id 0
		.amdhsa_user_sgpr_private_segment_size 0
		.amdhsa_wavefront_size32 1
		.amdhsa_uses_dynamic_stack 0
		.amdhsa_enable_private_segment 0
		.amdhsa_system_sgpr_workgroup_id_x 1
		.amdhsa_system_sgpr_workgroup_id_y 0
		.amdhsa_system_sgpr_workgroup_id_z 0
		.amdhsa_system_sgpr_workgroup_info 0
		.amdhsa_system_vgpr_workitem_id 1
		.amdhsa_next_free_vgpr 29
		.amdhsa_next_free_sgpr 18
		.amdhsa_reserve_vcc 1
		.amdhsa_float_round_mode_32 0
		.amdhsa_float_round_mode_16_64 0
		.amdhsa_float_denorm_mode_32 3
		.amdhsa_float_denorm_mode_16_64 3
		.amdhsa_dx10_clamp 1
		.amdhsa_ieee_mode 1
		.amdhsa_fp16_overflow 0
		.amdhsa_workgroup_processor_mode 1
		.amdhsa_memory_ordered 1
		.amdhsa_forward_progress 0
		.amdhsa_shared_vgpr_count 0
		.amdhsa_exception_fp_ieee_invalid_op 0
		.amdhsa_exception_fp_denorm_src 0
		.amdhsa_exception_fp_ieee_div_zero 0
		.amdhsa_exception_fp_ieee_overflow 0
		.amdhsa_exception_fp_ieee_underflow 0
		.amdhsa_exception_fp_ieee_inexact 0
		.amdhsa_exception_int_div_zero 0
	.end_amdhsa_kernel
	.section	.text._ZN4vllm3moe10topkGatingILi4ELi128ELi4ELi16ELi32EjfLNS0_11ScoringFuncE1EEEvPKT5_PKbPfiPT4_PiiiibPKf,"axG",@progbits,_ZN4vllm3moe10topkGatingILi4ELi128ELi4ELi16ELi32EjfLNS0_11ScoringFuncE1EEEvPKT5_PKbPfiPT4_PiiiibPKf,comdat
.Lfunc_end224:
	.size	_ZN4vllm3moe10topkGatingILi4ELi128ELi4ELi16ELi32EjfLNS0_11ScoringFuncE1EEEvPKT5_PKbPfiPT4_PiiiibPKf, .Lfunc_end224-_ZN4vllm3moe10topkGatingILi4ELi128ELi4ELi16ELi32EjfLNS0_11ScoringFuncE1EEEvPKT5_PKbPfiPT4_PiiiibPKf
                                        ; -- End function
	.section	.AMDGPU.csdata,"",@progbits
; Kernel info:
; codeLenInByte = 2500
; NumSgprs: 20
; NumVgprs: 29
; ScratchSize: 0
; MemoryBound: 0
; FloatMode: 240
; IeeeMode: 1
; LDSByteSize: 0 bytes/workgroup (compile time only)
; SGPRBlocks: 2
; VGPRBlocks: 3
; NumSGPRsForWavesPerEU: 20
; NumVGPRsForWavesPerEU: 29
; Occupancy: 16
; WaveLimiterHint : 0
; COMPUTE_PGM_RSRC2:SCRATCH_EN: 0
; COMPUTE_PGM_RSRC2:USER_SGPR: 15
; COMPUTE_PGM_RSRC2:TRAP_HANDLER: 0
; COMPUTE_PGM_RSRC2:TGID_X_EN: 1
; COMPUTE_PGM_RSRC2:TGID_Y_EN: 0
; COMPUTE_PGM_RSRC2:TGID_Z_EN: 0
; COMPUTE_PGM_RSRC2:TIDIG_COMP_CNT: 1
	.section	.text._ZN4vllm3moe10topkGatingILi4ELi256ELi4ELi16ELi64EjfLNS0_11ScoringFuncE1EEEvPKT5_PKbPfiPT4_PiiiibPKf,"axG",@progbits,_ZN4vllm3moe10topkGatingILi4ELi256ELi4ELi16ELi64EjfLNS0_11ScoringFuncE1EEEvPKT5_PKbPfiPT4_PiiiibPKf,comdat
	.protected	_ZN4vllm3moe10topkGatingILi4ELi256ELi4ELi16ELi64EjfLNS0_11ScoringFuncE1EEEvPKT5_PKbPfiPT4_PiiiibPKf ; -- Begin function _ZN4vllm3moe10topkGatingILi4ELi256ELi4ELi16ELi64EjfLNS0_11ScoringFuncE1EEEvPKT5_PKbPfiPT4_PiiiibPKf
	.globl	_ZN4vllm3moe10topkGatingILi4ELi256ELi4ELi16ELi64EjfLNS0_11ScoringFuncE1EEEvPKT5_PKbPfiPT4_PiiiibPKf
	.p2align	8
	.type	_ZN4vllm3moe10topkGatingILi4ELi256ELi4ELi16ELi64EjfLNS0_11ScoringFuncE1EEEvPKT5_PKbPfiPT4_PiiiibPKf,@function
_ZN4vllm3moe10topkGatingILi4ELi256ELi4ELi16ELi64EjfLNS0_11ScoringFuncE1EEEvPKT5_PKbPfiPT4_PiiiibPKf: ; @_ZN4vllm3moe10topkGatingILi4ELi256ELi4ELi16ELi64EjfLNS0_11ScoringFuncE1EEEvPKT5_PKbPfiPT4_PiiiibPKf
; %bb.0:
	s_load_b32 s14, s[0:1], 0x18
	v_and_b32_e32 v1, 0x3ff, v0
	v_bfe_u32 v0, v0, 10, 10
	s_lshl_b32 s2, s15, 2
	s_delay_alu instid0(VALU_DEP_2) | instskip(NEXT) | instid1(VALU_DEP_1)
	v_lshrrev_b32_e32 v2, 6, v1
	v_add3_u32 v8, s2, v0, v2
	s_mov_b32 s2, exec_lo
	s_waitcnt lgkmcnt(0)
	s_delay_alu instid0(VALU_DEP_1)
	v_cmpx_gt_i32_e64 s14, v8
	s_cbranch_execz .LBB225_45
; %bb.1:
	s_clause 0x1
	s_load_b128 s[4:7], s[0:1], 0x0
	s_load_b64 s[12:13], s[0:1], 0x10
	s_mov_b32 s8, -1
	s_mov_b32 s15, -1
	s_waitcnt lgkmcnt(0)
	s_cmp_eq_u64 s[6:7], 0
	s_cbranch_scc1 .LBB225_3
; %bb.2:
	v_ashrrev_i32_e32 v0, 31, v8
	v_add_co_u32 v2, vcc_lo, s6, v8
	s_delay_alu instid0(VALU_DEP_2) | instskip(SKIP_3) | instid1(VALU_DEP_1)
	v_add_co_ci_u32_e32 v3, vcc_lo, s7, v0, vcc_lo
	global_load_u8 v0, v[2:3], off
	s_waitcnt vmcnt(0)
	v_and_b32_e32 v0, 1, v0
	v_cmp_eq_u32_e32 vcc_lo, 1, v0
	s_xor_b32 s2, vcc_lo, -1
	s_delay_alu instid0(SALU_CYCLE_1)
	s_or_not1_b32 s15, s2, exec_lo
.LBB225_3:
	v_lshlrev_b32_e32 v2, 8, v8
	v_and_b32_e32 v9, 63, v1
	s_load_b64 s[6:7], s[0:1], 0x40
	s_delay_alu instid0(VALU_DEP_2) | instskip(NEXT) | instid1(VALU_DEP_1)
	v_ashrrev_i32_e32 v3, 31, v2
	v_lshlrev_b64 v[0:1], 2, v[2:3]
	s_delay_alu instid0(VALU_DEP_3) | instskip(NEXT) | instid1(VALU_DEP_2)
	v_lshlrev_b32_e32 v2, 4, v9
	v_add_co_u32 v0, vcc_lo, s4, v0
	s_delay_alu instid0(VALU_DEP_3) | instskip(NEXT) | instid1(VALU_DEP_2)
	v_add_co_ci_u32_e32 v1, vcc_lo, s5, v1, vcc_lo
	v_add_co_u32 v0, vcc_lo, v0, v2
	s_delay_alu instid0(VALU_DEP_2)
	v_add_co_ci_u32_e32 v1, vcc_lo, 0, v1, vcc_lo
	s_waitcnt lgkmcnt(0)
	s_cmp_eq_u64 s[6:7], 0
	global_load_b128 v[0:3], v[0:1], off
	s_waitcnt vmcnt(0)
	v_dual_mul_f32 v3, 0xbfb8aa3b, v3 :: v_dual_mul_f32 v0, 0xbfb8aa3b, v0
	v_mul_f32_e32 v1, 0xbfb8aa3b, v1
	s_delay_alu instid0(VALU_DEP_2) | instskip(NEXT) | instid1(VALU_DEP_2)
	v_exp_f32_e32 v3, v3
	v_exp_f32_e32 v0, v0
	s_delay_alu instid0(VALU_DEP_1) | instskip(NEXT) | instid1(TRANS32_DEP_3)
	v_exp_f32_e32 v1, v1
	v_dual_mul_f32 v2, 0xbfb8aa3b, v2 :: v_dual_add_f32 v3, 1.0, v3
	s_waitcnt_depctr 0xfff
	v_dual_add_f32 v0, 1.0, v0 :: v_dual_add_f32 v1, 1.0, v1
	v_exp_f32_e32 v2, v2
	v_div_scale_f32 v7, null, v3, v3, 1.0
	s_delay_alu instid0(VALU_DEP_2) | instskip(NEXT) | instid1(VALU_DEP_3)
	v_div_scale_f32 v4, null, v0, v0, 1.0
	v_div_scale_f32 v5, null, v1, v1, 1.0
	v_div_scale_f32 v15, vcc_lo, 1.0, v0, 1.0
	s_delay_alu instid0(VALU_DEP_3) | instskip(NEXT) | instid1(VALU_DEP_2)
	v_rcp_f32_e32 v11, v4
	v_rcp_f32_e32 v12, v5
	;; [unrolled: 1-line block ×3, first 2 shown]
	v_div_scale_f32 v16, s2, 1.0, v1, 1.0
	v_div_scale_f32 v21, s4, 1.0, v3, 1.0
	s_delay_alu instid0(TRANS32_DEP_3)
	v_fma_f32 v10, -v4, v11, 1.0
	v_add_f32_e32 v2, 1.0, v2
	s_waitcnt_depctr 0xfff
	v_fma_f32 v18, -v5, v12, 1.0
	v_fma_f32 v20, -v7, v14, 1.0
	v_fmac_f32_e32 v11, v10, v11
	v_div_scale_f32 v6, null, v2, v2, 1.0
	v_div_scale_f32 v17, s3, 1.0, v2, 1.0
	s_delay_alu instid0(VALU_DEP_2) | instskip(SKIP_4) | instid1(VALU_DEP_3)
	v_rcp_f32_e32 v13, v6
	s_waitcnt_depctr 0xfff
	v_fma_f32 v19, -v6, v13, 1.0
	v_fmac_f32_e32 v12, v18, v12
	v_mul_f32_e32 v18, v15, v11
	v_fmac_f32_e32 v13, v19, v13
	s_delay_alu instid0(VALU_DEP_3) | instskip(NEXT) | instid1(VALU_DEP_3)
	v_mul_f32_e32 v19, v16, v12
	v_fma_f32 v10, -v4, v18, v15
	s_delay_alu instid0(VALU_DEP_2) | instskip(NEXT) | instid1(VALU_DEP_2)
	v_fma_f32 v23, -v5, v19, v16
	v_fmac_f32_e32 v18, v10, v11
	v_fmac_f32_e32 v14, v20, v14
	v_mul_f32_e32 v20, v17, v13
	s_delay_alu instid0(VALU_DEP_4) | instskip(NEXT) | instid1(VALU_DEP_4)
	v_dual_fmac_f32 v19, v23, v12 :: v_dual_lshlrev_b32 v10, 2, v9
	v_fma_f32 v4, -v4, v18, v15
	s_delay_alu instid0(VALU_DEP_3) | instskip(NEXT) | instid1(VALU_DEP_3)
	v_fma_f32 v24, -v6, v20, v17
	v_fma_f32 v5, -v5, v19, v16
	s_delay_alu instid0(VALU_DEP_3) | instskip(SKIP_1) | instid1(VALU_DEP_3)
	v_div_fmas_f32 v4, v4, v11, v18
	s_mov_b32 vcc_lo, s2
	v_fmac_f32_e32 v20, v24, v13
	s_delay_alu instid0(VALU_DEP_3) | instskip(NEXT) | instid1(VALU_DEP_3)
	v_div_fmas_f32 v5, v5, v12, v19
	v_div_fixup_f32 v0, v4, v0, 1.0
	s_mov_b32 vcc_lo, s3
	s_delay_alu instid0(VALU_DEP_3) | instskip(NEXT) | instid1(VALU_DEP_3)
	v_fma_f32 v6, -v6, v20, v17
	v_div_fixup_f32 v1, v5, v1, 1.0
	v_mul_f32_e32 v22, v21, v14
	s_delay_alu instid0(VALU_DEP_3) | instskip(SKIP_1) | instid1(VALU_DEP_2)
	v_div_fmas_f32 v6, v6, v13, v20
	s_mov_b32 vcc_lo, s4
	v_fma_f32 v25, -v7, v22, v21
	s_delay_alu instid0(VALU_DEP_2) | instskip(NEXT) | instid1(VALU_DEP_2)
	v_div_fixup_f32 v2, v6, v2, 1.0
	v_fmac_f32_e32 v22, v25, v14
	s_delay_alu instid0(VALU_DEP_1) | instskip(NEXT) | instid1(VALU_DEP_1)
	v_fma_f32 v7, -v7, v22, v21
	v_div_fmas_f32 v4, v7, v14, v22
	v_cmp_class_f32_e64 vcc_lo, v0, 0x1f8
	s_delay_alu instid0(VALU_DEP_2)
	v_div_fixup_f32 v3, v4, v3, 1.0
	v_cndmask_b32_e32 v0, 0, v0, vcc_lo
	v_cmp_class_f32_e64 vcc_lo, v1, 0x1f8
	v_cndmask_b32_e32 v1, 0, v1, vcc_lo
	v_cmp_class_f32_e64 vcc_lo, v2, 0x1f8
	;; [unrolled: 2-line block ×3, first 2 shown]
	v_cndmask_b32_e32 v3, 0, v3, vcc_lo
	s_cbranch_scc1 .LBB225_39
; %bb.4:
	v_lshlrev_b32_e32 v4, 2, v10
	global_load_b128 v[4:7], v4, s[6:7]
	s_waitcnt vmcnt(0)
	v_dual_add_f32 v5, v5, v1 :: v_dual_add_f32 v4, v4, v0
	v_dual_add_f32 v7, v7, v3 :: v_dual_add_f32 v6, v6, v2
	s_cbranch_execnz .LBB225_6
.LBB225_5:
	v_dual_mov_b32 v7, v3 :: v_dual_mov_b32 v6, v2
	v_dual_mov_b32 v5, v1 :: v_dual_mov_b32 v4, v0
.LBB225_6:
	s_load_b128 s[4:7], s[0:1], 0x30
	v_cmp_eq_u32_e64 s2, 0, v9
	s_waitcnt lgkmcnt(0)
	s_bitcmp1_b32 s7, 0
	s_mov_b32 s7, 0
	s_cselect_b32 vcc_lo, -1, 0
	s_cmp_gt_i32 s4, 0
	s_cselect_b32 s3, -1, 0
	s_cmp_lt_i32 s4, 1
	s_cbranch_scc1 .LBB225_40
; %bb.7:
	v_mbcnt_lo_u32_b32 v12, -1, 0
	s_load_b128 s[8:11], s[0:1], 0x20
	v_mul_lo_u32 v11, v8, s4
	v_mov_b32_e32 v19, v8
	s_delay_alu instid0(VALU_DEP_3)
	v_or_b32_e32 v13, 32, v12
	v_xor_b32_e32 v14, 16, v12
	v_xor_b32_e32 v15, 8, v12
	;; [unrolled: 1-line block ×4, first 2 shown]
	v_cmp_gt_i32_e64 s0, 64, v13
	v_xor_b32_e32 v18, 1, v12
	s_delay_alu instid0(VALU_DEP_2) | instskip(SKIP_1) | instid1(VALU_DEP_2)
	v_cndmask_b32_e64 v13, v12, v13, s0
	v_cmp_gt_i32_e64 s0, 64, v14
	v_lshlrev_b32_e32 v13, 2, v13
	s_delay_alu instid0(VALU_DEP_2) | instskip(SKIP_1) | instid1(VALU_DEP_2)
	v_cndmask_b32_e64 v14, v12, v14, s0
	v_cmp_gt_i32_e64 s0, 64, v15
	v_lshlrev_b32_e32 v14, 2, v14
	;; [unrolled: 4-line block ×5, first 2 shown]
	s_delay_alu instid0(VALU_DEP_2) | instskip(NEXT) | instid1(VALU_DEP_1)
	v_cndmask_b32_e64 v12, v12, v18, s0
	v_lshlrev_b32_e32 v18, 2, v12
	v_mov_b32_e32 v12, 0
	s_branch .LBB225_10
.LBB225_8:                              ;   in Loop: Header=BB225_10 Depth=1
	s_or_b32 exec_lo, exec_lo, s1
.LBB225_9:                              ;   in Loop: Header=BB225_10 Depth=1
	v_add_nc_u32_e32 v19, s14, v19
	s_cmp_eq_u32 s4, s7
	s_cbranch_scc1 .LBB225_41
.LBB225_10:                             ; =>This Inner Loop Header: Depth=1
	v_cmp_gt_f32_e64 s0, v5, v4
	s_mov_b32 s17, exec_lo
	s_delay_alu instid0(VALU_DEP_1) | instskip(SKIP_2) | instid1(VALU_DEP_3)
	v_cndmask_b32_e64 v21, v4, v5, s0
	v_cndmask_b32_e64 v20, 0, 1, s0
	;; [unrolled: 1-line block ×3, first 2 shown]
	v_cmp_gt_f32_e64 s1, v6, v21
	s_delay_alu instid0(VALU_DEP_1) | instskip(NEXT) | instid1(VALU_DEP_4)
	v_cndmask_b32_e64 v21, v21, v6, s1
	v_cndmask_b32_e64 v20, v20, 2, s1
	s_waitcnt lgkmcnt(0)
	v_cndmask_b32_e64 v23, v22, v2, s1
	s_delay_alu instid0(VALU_DEP_3) | instskip(NEXT) | instid1(VALU_DEP_1)
	v_cmp_gt_f32_e64 s0, v7, v21
	v_cndmask_b32_e64 v20, v20, 3, s0
	v_cndmask_b32_e64 v22, v21, v7, s0
	s_delay_alu instid0(VALU_DEP_4) | instskip(NEXT) | instid1(VALU_DEP_3)
	v_cndmask_b32_e64 v21, v23, v3, s0
	v_or_b32_e32 v20, v10, v20
	ds_bpermute_b32 v23, v13, v22
	ds_bpermute_b32 v25, v13, v21
	ds_bpermute_b32 v24, v13, v20
	s_waitcnt lgkmcnt(0)
	v_cmp_lt_f32_e64 s16, v22, v23
	v_cmpx_nlt_f32_e32 v22, v23
; %bb.11:                               ;   in Loop: Header=BB225_10 Depth=1
	v_cmp_eq_f32_e64 s0, v22, v23
	v_cmp_lt_i32_e64 s1, v24, v20
	s_delay_alu instid0(VALU_DEP_1) | instskip(SKIP_2) | instid1(SALU_CYCLE_1)
	s_and_b32 s0, s0, s1
	s_and_not1_b32 s1, s16, exec_lo
	s_and_b32 s0, s0, exec_lo
	s_or_b32 s16, s1, s0
; %bb.12:                               ;   in Loop: Header=BB225_10 Depth=1
	s_or_b32 exec_lo, exec_lo, s17
	s_and_saveexec_b32 s0, s16
; %bb.13:                               ;   in Loop: Header=BB225_10 Depth=1
	v_dual_mov_b32 v21, v25 :: v_dual_mov_b32 v22, v23
	v_mov_b32_e32 v20, v24
; %bb.14:                               ;   in Loop: Header=BB225_10 Depth=1
	s_or_b32 exec_lo, exec_lo, s0
	ds_bpermute_b32 v23, v14, v22
	ds_bpermute_b32 v25, v14, v21
	;; [unrolled: 1-line block ×3, first 2 shown]
	s_mov_b32 s17, exec_lo
	s_waitcnt lgkmcnt(2)
	v_cmp_lt_f32_e64 s16, v22, v23
	v_cmpx_nlt_f32_e32 v22, v23
	s_cbranch_execz .LBB225_16
; %bb.15:                               ;   in Loop: Header=BB225_10 Depth=1
	v_cmp_eq_f32_e64 s0, v22, v23
	s_waitcnt lgkmcnt(0)
	v_cmp_lt_i32_e64 s1, v24, v20
	s_delay_alu instid0(VALU_DEP_1) | instskip(SKIP_2) | instid1(SALU_CYCLE_1)
	s_and_b32 s0, s0, s1
	s_and_not1_b32 s1, s16, exec_lo
	s_and_b32 s0, s0, exec_lo
	s_or_b32 s16, s1, s0
.LBB225_16:                             ;   in Loop: Header=BB225_10 Depth=1
	s_or_b32 exec_lo, exec_lo, s17
	s_delay_alu instid0(VALU_DEP_2)
	s_and_saveexec_b32 s0, s16
	s_cbranch_execz .LBB225_18
; %bb.17:                               ;   in Loop: Header=BB225_10 Depth=1
	s_waitcnt lgkmcnt(1)
	v_dual_mov_b32 v21, v25 :: v_dual_mov_b32 v22, v23
	s_waitcnt lgkmcnt(0)
	v_mov_b32_e32 v20, v24
.LBB225_18:                             ;   in Loop: Header=BB225_10 Depth=1
	s_or_b32 exec_lo, exec_lo, s0
	ds_bpermute_b32 v23, v15, v22
	s_waitcnt lgkmcnt(2)
	ds_bpermute_b32 v25, v15, v21
	s_waitcnt lgkmcnt(2)
	ds_bpermute_b32 v24, v15, v20
	s_mov_b32 s17, exec_lo
	s_waitcnt lgkmcnt(2)
	v_cmp_lt_f32_e64 s16, v22, v23
	v_cmpx_nlt_f32_e32 v22, v23
	s_cbranch_execz .LBB225_20
; %bb.19:                               ;   in Loop: Header=BB225_10 Depth=1
	v_cmp_eq_f32_e64 s0, v22, v23
	s_waitcnt lgkmcnt(0)
	v_cmp_lt_i32_e64 s1, v24, v20
	s_delay_alu instid0(VALU_DEP_1) | instskip(SKIP_2) | instid1(SALU_CYCLE_1)
	s_and_b32 s0, s0, s1
	s_and_not1_b32 s1, s16, exec_lo
	s_and_b32 s0, s0, exec_lo
	s_or_b32 s16, s1, s0
.LBB225_20:                             ;   in Loop: Header=BB225_10 Depth=1
	s_or_b32 exec_lo, exec_lo, s17
	s_delay_alu instid0(VALU_DEP_2)
	s_and_saveexec_b32 s0, s16
	s_cbranch_execz .LBB225_22
; %bb.21:                               ;   in Loop: Header=BB225_10 Depth=1
	s_waitcnt lgkmcnt(1)
	v_dual_mov_b32 v21, v25 :: v_dual_mov_b32 v22, v23
	s_waitcnt lgkmcnt(0)
	v_mov_b32_e32 v20, v24
.LBB225_22:                             ;   in Loop: Header=BB225_10 Depth=1
	s_or_b32 exec_lo, exec_lo, s0
	ds_bpermute_b32 v23, v16, v22
	s_waitcnt lgkmcnt(2)
	ds_bpermute_b32 v25, v16, v21
	s_waitcnt lgkmcnt(2)
	ds_bpermute_b32 v24, v16, v20
	;; [unrolled: 31-line block ×3, first 2 shown]
	s_mov_b32 s17, exec_lo
	s_waitcnt lgkmcnt(2)
	v_cmp_lt_f32_e64 s16, v22, v23
	v_cmpx_nlt_f32_e32 v22, v23
	s_cbranch_execz .LBB225_28
; %bb.27:                               ;   in Loop: Header=BB225_10 Depth=1
	v_cmp_eq_f32_e64 s0, v22, v23
	s_waitcnt lgkmcnt(0)
	v_cmp_lt_i32_e64 s1, v24, v20
	s_delay_alu instid0(VALU_DEP_1) | instskip(SKIP_2) | instid1(SALU_CYCLE_1)
	s_and_b32 s0, s0, s1
	s_and_not1_b32 s1, s16, exec_lo
	s_and_b32 s0, s0, exec_lo
	s_or_b32 s16, s1, s0
.LBB225_28:                             ;   in Loop: Header=BB225_10 Depth=1
	s_or_b32 exec_lo, exec_lo, s17
	s_delay_alu instid0(VALU_DEP_2)
	s_and_saveexec_b32 s0, s16
	s_cbranch_execz .LBB225_30
; %bb.29:                               ;   in Loop: Header=BB225_10 Depth=1
	s_waitcnt lgkmcnt(1)
	v_dual_mov_b32 v21, v25 :: v_dual_mov_b32 v22, v23
	s_waitcnt lgkmcnt(0)
	v_mov_b32_e32 v20, v24
.LBB225_30:                             ;   in Loop: Header=BB225_10 Depth=1
	s_or_b32 exec_lo, exec_lo, s0
	s_waitcnt lgkmcnt(1)
	ds_bpermute_b32 v25, v18, v22
	ds_bpermute_b32 v23, v18, v21
	s_waitcnt lgkmcnt(2)
	ds_bpermute_b32 v24, v18, v20
	s_mov_b32 s17, exec_lo
	s_waitcnt lgkmcnt(2)
	v_cmp_lt_f32_e64 s16, v22, v25
	v_cmpx_nlt_f32_e32 v22, v25
	s_cbranch_execnz .LBB225_34
; %bb.31:                               ;   in Loop: Header=BB225_10 Depth=1
	s_or_b32 exec_lo, exec_lo, s17
	s_delay_alu instid0(VALU_DEP_2)
	s_and_saveexec_b32 s0, s16
	s_cbranch_execnz .LBB225_35
.LBB225_32:                             ;   in Loop: Header=BB225_10 Depth=1
	s_or_b32 exec_lo, exec_lo, s0
	s_and_saveexec_b32 s16, s2
	s_cbranch_execnz .LBB225_36
.LBB225_33:                             ;   in Loop: Header=BB225_10 Depth=1
	s_or_b32 exec_lo, exec_lo, s16
	s_add_i32 s7, s7, 1
	s_delay_alu instid0(SALU_CYCLE_1)
	s_cmp_ge_i32 s7, s4
	s_cbranch_scc1 .LBB225_9
	s_branch .LBB225_37
.LBB225_34:                             ;   in Loop: Header=BB225_10 Depth=1
	v_cmp_eq_f32_e64 s0, v22, v25
	s_waitcnt lgkmcnt(0)
	v_cmp_lt_i32_e64 s1, v24, v20
	s_delay_alu instid0(VALU_DEP_1) | instskip(SKIP_2) | instid1(SALU_CYCLE_1)
	s_and_b32 s0, s0, s1
	s_and_not1_b32 s1, s16, exec_lo
	s_and_b32 s0, s0, exec_lo
	s_or_b32 s16, s1, s0
	s_or_b32 exec_lo, exec_lo, s17
	s_and_saveexec_b32 s0, s16
	s_cbranch_execz .LBB225_32
.LBB225_35:                             ;   in Loop: Header=BB225_10 Depth=1
	s_waitcnt lgkmcnt(0)
	v_dual_mov_b32 v20, v24 :: v_dual_mov_b32 v21, v23
	s_or_b32 exec_lo, exec_lo, s0
	s_and_saveexec_b32 s16, s2
	s_cbranch_execz .LBB225_33
.LBB225_36:                             ;   in Loop: Header=BB225_10 Depth=1
	s_delay_alu instid0(VALU_DEP_1)
	v_dual_add_f32 v29, v12, v21 :: v_dual_add_nc_u32 v22, s7, v11
	v_cmp_le_i32_e64 s0, s5, v20
	v_cmp_gt_i32_e64 s1, s6, v20
	s_waitcnt lgkmcnt(0)
	v_subrev_nc_u32_e32 v24, s5, v20
	v_ashrrev_i32_e32 v23, 31, v22
	v_cndmask_b32_e32 v12, v12, v29, vcc_lo
	s_and_b32 s0, s0, s1
	s_delay_alu instid0(SALU_CYCLE_1) | instskip(NEXT) | instid1(VALU_DEP_2)
	s_and_b32 s0, s15, s0
	v_lshlrev_b64 v[22:23], 2, v[22:23]
	v_cndmask_b32_e64 v28, 0x100, v24, s0
	s_delay_alu instid0(VALU_DEP_2) | instskip(NEXT) | instid1(VALU_DEP_1)
	v_add_co_u32 v24, s0, s12, v22
	v_add_co_ci_u32_e64 v25, s0, s13, v23, s0
	v_add_co_u32 v26, s0, s8, v22
	s_delay_alu instid0(VALU_DEP_1) | instskip(SKIP_1) | instid1(VALU_DEP_1)
	v_add_co_ci_u32_e64 v27, s0, s9, v23, s0
	v_add_co_u32 v22, s0, s10, v22
	v_add_co_ci_u32_e64 v23, s0, s11, v23, s0
	global_store_b32 v[24:25], v21, off
	global_store_b32 v[26:27], v28, off
	;; [unrolled: 1-line block ×3, first 2 shown]
	s_or_b32 exec_lo, exec_lo, s16
	s_add_i32 s7, s7, 1
	s_delay_alu instid0(SALU_CYCLE_1)
	s_cmp_ge_i32 s7, s4
	s_cbranch_scc1 .LBB225_9
.LBB225_37:                             ;   in Loop: Header=BB225_10 Depth=1
	v_ashrrev_i32_e32 v21, 31, v20
	s_mov_b32 s1, exec_lo
	s_delay_alu instid0(VALU_DEP_1) | instskip(NEXT) | instid1(VALU_DEP_1)
	v_lshrrev_b32_e32 v22, 30, v21
	v_add_nc_u32_e32 v22, v20, v22
	s_waitcnt lgkmcnt(1)
	s_delay_alu instid0(VALU_DEP_1) | instskip(SKIP_1) | instid1(VALU_DEP_2)
	v_ashrrev_i32_e32 v23, 31, v22
	v_ashrrev_i32_e32 v22, 2, v22
	v_lshrrev_b32_e32 v23, 26, v23
	s_delay_alu instid0(VALU_DEP_1) | instskip(NEXT) | instid1(VALU_DEP_1)
	v_add_nc_u32_e32 v23, v22, v23
	v_and_b32_e32 v23, 0xffffffc0, v23
	s_delay_alu instid0(VALU_DEP_1) | instskip(NEXT) | instid1(VALU_DEP_1)
	v_sub_nc_u32_e32 v23, v22, v23
	v_cmpx_eq_u32_e64 v9, v23
	s_cbranch_execz .LBB225_8
; %bb.38:                               ;   in Loop: Header=BB225_10 Depth=1
	v_lshrrev_b32_e32 v21, 24, v21
	v_lshlrev_b32_e32 v22, 2, v22
	s_delay_alu instid0(VALU_DEP_2) | instskip(NEXT) | instid1(VALU_DEP_2)
	v_add_nc_u32_e32 v21, v20, v21
	v_sub_nc_u32_e32 v20, v20, v22
	s_delay_alu instid0(VALU_DEP_2) | instskip(NEXT) | instid1(VALU_DEP_1)
	v_ashrrev_i32_e32 v21, 8, v21
	v_lshl_add_u32 v20, v21, 2, v20
	s_delay_alu instid0(VALU_DEP_1) | instskip(NEXT) | instid1(VALU_DEP_1)
	v_cmp_ne_u32_e64 s0, 3, v20
	v_cndmask_b32_e64 v7, 0xc61c4000, v7, s0
	v_cmp_ne_u32_e64 s0, 2, v20
	s_delay_alu instid0(VALU_DEP_1) | instskip(SKIP_1) | instid1(VALU_DEP_1)
	v_cndmask_b32_e64 v6, 0xc61c4000, v6, s0
	v_cmp_ne_u32_e64 s0, 1, v20
	v_cndmask_b32_e64 v5, 0xc61c4000, v5, s0
	v_cmp_ne_u32_e64 s0, 0, v20
	s_delay_alu instid0(VALU_DEP_1)
	v_cndmask_b32_e64 v4, 0xc61c4000, v4, s0
	s_branch .LBB225_8
.LBB225_39:
                                        ; implicit-def: $vgpr4_vgpr5_vgpr6_vgpr7
	s_and_not1_b32 vcc_lo, exec_lo, s8
	s_cbranch_vccz .LBB225_5
	s_branch .LBB225_6
.LBB225_40:
	v_mov_b32_e32 v12, 0
.LBB225_41:
	v_cmp_eq_u32_e64 s0, 0, v9
	s_delay_alu instid0(VALU_DEP_1) | instskip(NEXT) | instid1(SALU_CYCLE_1)
	s_and_b32 s0, s0, vcc_lo
	s_and_b32 exec_lo, exec_lo, s0
	s_cbranch_execz .LBB225_45
; %bb.42:
	s_and_not1_b32 vcc_lo, exec_lo, s3
	s_cbranch_vccnz .LBB225_45
; %bb.43:
	v_mul_lo_u32 v0, v8, s4
	v_cmp_lt_f32_e32 vcc_lo, 0, v12
	v_cndmask_b32_e32 v2, 1.0, v12, vcc_lo
	s_delay_alu instid0(VALU_DEP_3) | instskip(NEXT) | instid1(VALU_DEP_1)
	v_ashrrev_i32_e32 v1, 31, v0
	v_lshlrev_b64 v[0:1], 2, v[0:1]
	s_delay_alu instid0(VALU_DEP_1) | instskip(NEXT) | instid1(VALU_DEP_2)
	v_add_co_u32 v0, vcc_lo, s12, v0
	v_add_co_ci_u32_e32 v1, vcc_lo, s13, v1, vcc_lo
	.p2align	6
.LBB225_44:                             ; =>This Inner Loop Header: Depth=1
	global_load_b32 v3, v[0:1], off
	s_add_i32 s4, s4, -1
	s_delay_alu instid0(SALU_CYCLE_1) | instskip(SKIP_3) | instid1(VALU_DEP_2)
	s_cmp_lg_u32 s4, 0
	s_waitcnt vmcnt(0)
	v_div_scale_f32 v4, null, v2, v2, v3
	v_div_scale_f32 v7, vcc_lo, v3, v2, v3
	v_rcp_f32_e32 v5, v4
	s_waitcnt_depctr 0xfff
	v_fma_f32 v6, -v4, v5, 1.0
	s_delay_alu instid0(VALU_DEP_1) | instskip(NEXT) | instid1(VALU_DEP_1)
	v_fmac_f32_e32 v5, v6, v5
	v_mul_f32_e32 v6, v7, v5
	s_delay_alu instid0(VALU_DEP_1) | instskip(NEXT) | instid1(VALU_DEP_1)
	v_fma_f32 v8, -v4, v6, v7
	v_fmac_f32_e32 v6, v8, v5
	s_delay_alu instid0(VALU_DEP_1) | instskip(NEXT) | instid1(VALU_DEP_1)
	v_fma_f32 v4, -v4, v6, v7
	v_div_fmas_f32 v4, v4, v5, v6
	s_delay_alu instid0(VALU_DEP_1)
	v_div_fixup_f32 v3, v4, v2, v3
	global_store_b32 v[0:1], v3, off
	v_add_co_u32 v0, vcc_lo, v0, 4
	v_add_co_ci_u32_e32 v1, vcc_lo, 0, v1, vcc_lo
	s_cbranch_scc1 .LBB225_44
.LBB225_45:
	s_nop 0
	s_sendmsg sendmsg(MSG_DEALLOC_VGPRS)
	s_endpgm
	.section	.rodata,"a",@progbits
	.p2align	6, 0x0
	.amdhsa_kernel _ZN4vllm3moe10topkGatingILi4ELi256ELi4ELi16ELi64EjfLNS0_11ScoringFuncE1EEEvPKT5_PKbPfiPT4_PiiiibPKf
		.amdhsa_group_segment_fixed_size 0
		.amdhsa_private_segment_fixed_size 0
		.amdhsa_kernarg_size 72
		.amdhsa_user_sgpr_count 15
		.amdhsa_user_sgpr_dispatch_ptr 0
		.amdhsa_user_sgpr_queue_ptr 0
		.amdhsa_user_sgpr_kernarg_segment_ptr 1
		.amdhsa_user_sgpr_dispatch_id 0
		.amdhsa_user_sgpr_private_segment_size 0
		.amdhsa_wavefront_size32 1
		.amdhsa_uses_dynamic_stack 0
		.amdhsa_enable_private_segment 0
		.amdhsa_system_sgpr_workgroup_id_x 1
		.amdhsa_system_sgpr_workgroup_id_y 0
		.amdhsa_system_sgpr_workgroup_id_z 0
		.amdhsa_system_sgpr_workgroup_info 0
		.amdhsa_system_vgpr_workitem_id 1
		.amdhsa_next_free_vgpr 30
		.amdhsa_next_free_sgpr 18
		.amdhsa_reserve_vcc 1
		.amdhsa_float_round_mode_32 0
		.amdhsa_float_round_mode_16_64 0
		.amdhsa_float_denorm_mode_32 3
		.amdhsa_float_denorm_mode_16_64 3
		.amdhsa_dx10_clamp 1
		.amdhsa_ieee_mode 1
		.amdhsa_fp16_overflow 0
		.amdhsa_workgroup_processor_mode 1
		.amdhsa_memory_ordered 1
		.amdhsa_forward_progress 0
		.amdhsa_shared_vgpr_count 0
		.amdhsa_exception_fp_ieee_invalid_op 0
		.amdhsa_exception_fp_denorm_src 0
		.amdhsa_exception_fp_ieee_div_zero 0
		.amdhsa_exception_fp_ieee_overflow 0
		.amdhsa_exception_fp_ieee_underflow 0
		.amdhsa_exception_fp_ieee_inexact 0
		.amdhsa_exception_int_div_zero 0
	.end_amdhsa_kernel
	.section	.text._ZN4vllm3moe10topkGatingILi4ELi256ELi4ELi16ELi64EjfLNS0_11ScoringFuncE1EEEvPKT5_PKbPfiPT4_PiiiibPKf,"axG",@progbits,_ZN4vllm3moe10topkGatingILi4ELi256ELi4ELi16ELi64EjfLNS0_11ScoringFuncE1EEEvPKT5_PKbPfiPT4_PiiiibPKf,comdat
.Lfunc_end225:
	.size	_ZN4vllm3moe10topkGatingILi4ELi256ELi4ELi16ELi64EjfLNS0_11ScoringFuncE1EEEvPKT5_PKbPfiPT4_PiiiibPKf, .Lfunc_end225-_ZN4vllm3moe10topkGatingILi4ELi256ELi4ELi16ELi64EjfLNS0_11ScoringFuncE1EEEvPKT5_PKbPfiPT4_PiiiibPKf
                                        ; -- End function
	.section	.AMDGPU.csdata,"",@progbits
; Kernel info:
; codeLenInByte = 2664
; NumSgprs: 20
; NumVgprs: 30
; ScratchSize: 0
; MemoryBound: 0
; FloatMode: 240
; IeeeMode: 1
; LDSByteSize: 0 bytes/workgroup (compile time only)
; SGPRBlocks: 2
; VGPRBlocks: 3
; NumSGPRsForWavesPerEU: 20
; NumVGPRsForWavesPerEU: 30
; Occupancy: 16
; WaveLimiterHint : 0
; COMPUTE_PGM_RSRC2:SCRATCH_EN: 0
; COMPUTE_PGM_RSRC2:USER_SGPR: 15
; COMPUTE_PGM_RSRC2:TRAP_HANDLER: 0
; COMPUTE_PGM_RSRC2:TGID_X_EN: 1
; COMPUTE_PGM_RSRC2:TGID_Y_EN: 0
; COMPUTE_PGM_RSRC2:TGID_Z_EN: 0
; COMPUTE_PGM_RSRC2:TIDIG_COMP_CNT: 1
	.section	.text._ZN4vllm3moe10topkGatingILi8ELi256ELi4ELi16ELi32EjfLNS0_11ScoringFuncE1EEEvPKT5_PKbPfiPT4_PiiiibPKf,"axG",@progbits,_ZN4vllm3moe10topkGatingILi8ELi256ELi4ELi16ELi32EjfLNS0_11ScoringFuncE1EEEvPKT5_PKbPfiPT4_PiiiibPKf,comdat
	.protected	_ZN4vllm3moe10topkGatingILi8ELi256ELi4ELi16ELi32EjfLNS0_11ScoringFuncE1EEEvPKT5_PKbPfiPT4_PiiiibPKf ; -- Begin function _ZN4vllm3moe10topkGatingILi8ELi256ELi4ELi16ELi32EjfLNS0_11ScoringFuncE1EEEvPKT5_PKbPfiPT4_PiiiibPKf
	.globl	_ZN4vllm3moe10topkGatingILi8ELi256ELi4ELi16ELi32EjfLNS0_11ScoringFuncE1EEEvPKT5_PKbPfiPT4_PiiiibPKf
	.p2align	8
	.type	_ZN4vllm3moe10topkGatingILi8ELi256ELi4ELi16ELi32EjfLNS0_11ScoringFuncE1EEEvPKT5_PKbPfiPT4_PiiiibPKf,@function
_ZN4vllm3moe10topkGatingILi8ELi256ELi4ELi16ELi32EjfLNS0_11ScoringFuncE1EEEvPKT5_PKbPfiPT4_PiiiibPKf: ; @_ZN4vllm3moe10topkGatingILi8ELi256ELi4ELi16ELi32EjfLNS0_11ScoringFuncE1EEEvPKT5_PKbPfiPT4_PiiiibPKf
; %bb.0:
	s_load_b32 s18, s[0:1], 0x18
	v_and_b32_e32 v1, 0x3ff, v0
	v_bfe_u32 v0, v0, 10, 10
	s_lshl_b32 s2, s15, 2
	s_delay_alu instid0(VALU_DEP_2) | instskip(NEXT) | instid1(VALU_DEP_1)
	v_lshrrev_b32_e32 v2, 5, v1
	v_add3_u32 v16, s2, v0, v2
	s_mov_b32 s2, exec_lo
	s_waitcnt lgkmcnt(0)
	s_delay_alu instid0(VALU_DEP_1)
	v_cmpx_gt_i32_e64 s18, v16
	s_cbranch_execz .LBB226_41
; %bb.1:
	s_clause 0x1
	s_load_b128 s[4:7], s[0:1], 0x0
	s_load_b64 s[16:17], s[0:1], 0x10
	s_mov_b32 s9, -1
	s_mov_b32 s19, -1
	s_waitcnt lgkmcnt(0)
	s_cmp_eq_u64 s[6:7], 0
	s_cbranch_scc1 .LBB226_3
; %bb.2:
	v_ashrrev_i32_e32 v0, 31, v16
	v_add_co_u32 v2, vcc_lo, s6, v16
	s_delay_alu instid0(VALU_DEP_2) | instskip(SKIP_3) | instid1(VALU_DEP_1)
	v_add_co_ci_u32_e32 v3, vcc_lo, s7, v0, vcc_lo
	global_load_u8 v0, v[2:3], off
	s_waitcnt vmcnt(0)
	v_and_b32_e32 v0, 1, v0
	v_cmp_eq_u32_e32 vcc_lo, 1, v0
	s_xor_b32 s2, vcc_lo, -1
	s_delay_alu instid0(SALU_CYCLE_1)
	s_or_not1_b32 s19, s2, exec_lo
.LBB226_3:
	v_lshlrev_b32_e32 v2, 8, v16
	v_and_b32_e32 v17, 31, v1
	s_load_b64 s[10:11], s[0:1], 0x40
	s_delay_alu instid0(VALU_DEP_2) | instskip(NEXT) | instid1(VALU_DEP_1)
	v_ashrrev_i32_e32 v3, 31, v2
	v_lshlrev_b64 v[0:1], 2, v[2:3]
	s_delay_alu instid0(VALU_DEP_3) | instskip(NEXT) | instid1(VALU_DEP_2)
	v_lshlrev_b32_e32 v2, 4, v17
	v_add_co_u32 v0, vcc_lo, s4, v0
	s_delay_alu instid0(VALU_DEP_3) | instskip(NEXT) | instid1(VALU_DEP_2)
	v_add_co_ci_u32_e32 v1, vcc_lo, s5, v1, vcc_lo
	v_add_co_u32 v4, vcc_lo, v0, v2
	s_delay_alu instid0(VALU_DEP_2)
	v_add_co_ci_u32_e32 v5, vcc_lo, 0, v1, vcc_lo
	s_waitcnt lgkmcnt(0)
	s_cmp_eq_u64 s[10:11], 0
	s_clause 0x1
	global_load_b128 v[0:3], v[4:5], off
	global_load_b128 v[4:7], v[4:5], off offset:512
	s_waitcnt vmcnt(1)
	v_mul_f32_e32 v3, 0xbfb8aa3b, v3
	v_dual_mul_f32 v1, 0xbfb8aa3b, v1 :: v_dual_mul_f32 v0, 0xbfb8aa3b, v0
	s_waitcnt vmcnt(0)
	v_dual_mul_f32 v2, 0xbfb8aa3b, v2 :: v_dual_mul_f32 v5, 0xbfb8aa3b, v5
	s_delay_alu instid0(VALU_DEP_3) | instskip(NEXT) | instid1(VALU_DEP_2)
	v_exp_f32_e32 v3, v3
	v_exp_f32_e32 v1, v1
	v_mul_f32_e32 v6, 0xbfb8aa3b, v6
	v_exp_f32_e32 v0, v0
	v_dual_mul_f32 v4, 0xbfb8aa3b, v4 :: v_dual_mul_f32 v7, 0xbfb8aa3b, v7
	v_lshlrev_b32_e32 v18, 2, v17
	v_exp_f32_e32 v5, v5
	v_exp_f32_e32 v2, v2
	s_delay_alu instid0(VALU_DEP_2)
	v_exp_f32_e32 v4, v4
	v_add_f32_e32 v3, 1.0, v3
	v_add_f32_e32 v1, 1.0, v1
	v_exp_f32_e32 v7, v7
	v_add_f32_e32 v0, 1.0, v0
	v_exp_f32_e32 v6, v6
	v_div_scale_f32 v14, null, v3, v3, 1.0
	v_add_f32_e32 v5, 1.0, v5
	v_div_scale_f32 v10, null, v1, v1, 1.0
	s_delay_alu instid0(VALU_DEP_3) | instskip(SKIP_1) | instid1(VALU_DEP_2)
	v_rcp_f32_e32 v29, v14
	v_div_scale_f32 v8, null, v0, v0, 1.0
	v_rcp_f32_e32 v27, v10
	v_dual_add_f32 v2, 1.0, v2 :: v_dual_add_f32 v7, 1.0, v7
	v_div_scale_f32 v21, null, v5, v5, 1.0
	s_delay_alu instid0(VALU_DEP_3) | instskip(NEXT) | instid1(VALU_DEP_2)
	v_rcp_f32_e32 v26, v8
	v_div_scale_f32 v12, null, v2, v2, 1.0
	s_delay_alu instid0(VALU_DEP_3)
	v_div_scale_f32 v25, null, v7, v7, 1.0
	s_waitcnt_depctr 0xfff
	v_fma_f32 v36, -v10, v27, 1.0
	v_add_f32_e32 v4, 1.0, v4
	v_fma_f32 v38, -v14, v29, 1.0
	v_add_f32_e32 v6, 1.0, v6
	v_rcp_f32_e32 v31, v21
	v_fmac_f32_e32 v27, v36, v27
	v_div_scale_f32 v19, null, v4, v4, 1.0
	v_fmac_f32_e32 v29, v38, v29
	v_div_scale_f32 v23, null, v6, v6, 1.0
	v_rcp_f32_e32 v28, v12
	s_delay_alu instid0(VALU_DEP_3)
	v_rcp_f32_e32 v30, v19
	v_rcp_f32_e32 v33, v25
	v_fma_f32 v35, -v8, v26, 1.0
	v_rcp_f32_e32 v32, v23
	v_div_scale_f32 v9, vcc_lo, 1.0, v0, 1.0
	v_fma_f32 v40, -v21, v31, 1.0
	s_delay_alu instid0(VALU_DEP_3) | instskip(SKIP_2) | instid1(VALU_DEP_4)
	v_fmac_f32_e32 v26, v35, v26
	v_div_scale_f32 v11, s2, 1.0, v1, 1.0
	v_fma_f32 v37, -v12, v28, 1.0
	v_fmac_f32_e32 v31, v40, v31
	v_fma_f32 v39, -v19, v30, 1.0
	v_fma_f32 v42, -v25, v33, 1.0
	v_dual_mul_f32 v35, v9, v26 :: v_dual_mul_f32 v36, v11, v27
	v_div_scale_f32 v13, s3, 1.0, v2, 1.0
	v_div_scale_f32 v20, s5, 1.0, v4, 1.0
	v_fma_f32 v41, -v23, v32, 1.0
	v_dual_fmac_f32 v28, v37, v28 :: v_dual_fmac_f32 v33, v42, v33
	v_fmac_f32_e32 v30, v39, v30
	v_div_scale_f32 v22, s6, 1.0, v5, 1.0
	s_delay_alu instid0(VALU_DEP_3) | instskip(SKIP_1) | instid1(VALU_DEP_4)
	v_mul_f32_e32 v37, v13, v28
	v_fma_f32 v43, -v8, v35, v9
	v_dual_fmac_f32 v32, v41, v32 :: v_dual_mul_f32 v39, v20, v30
	v_fma_f32 v44, -v10, v36, v11
	v_div_scale_f32 v15, s4, 1.0, v3, 1.0
	s_delay_alu instid0(VALU_DEP_4) | instskip(NEXT) | instid1(VALU_DEP_4)
	v_dual_mul_f32 v40, v22, v31 :: v_dual_fmac_f32 v35, v43, v26
	v_fma_f32 v47, -v19, v39, v20
	s_delay_alu instid0(VALU_DEP_4) | instskip(SKIP_4) | instid1(VALU_DEP_4)
	v_fmac_f32_e32 v36, v44, v27
	v_div_scale_f32 v24, s7, 1.0, v6, 1.0
	v_mul_f32_e32 v38, v15, v29
	v_fma_f32 v8, -v8, v35, v9
	v_div_scale_f32 v34, s8, 1.0, v7, 1.0
	v_mul_f32_e32 v41, v24, v32
	v_fma_f32 v45, -v12, v37, v13
	v_fmac_f32_e32 v39, v47, v30
	v_fma_f32 v9, -v10, v36, v11
	v_fma_f32 v46, -v14, v38, v15
	v_div_fmas_f32 v8, v8, v26, v35
	s_mov_b32 vcc_lo, s2
	v_dual_mul_f32 v42, v34, v33 :: v_dual_fmac_f32 v37, v45, v28
	v_fma_f32 v48, -v21, v40, v22
	v_div_fmas_f32 v9, v9, v27, v36
	v_fma_f32 v49, -v23, v41, v24
	v_fmac_f32_e32 v38, v46, v29
	v_fma_f32 v10, -v12, v37, v13
	s_mov_b32 vcc_lo, s3
	v_div_fixup_f32 v1, v9, v1, 1.0
	v_dual_fmac_f32 v41, v49, v32 :: v_dual_fmac_f32 v40, v48, v31
	v_fma_f32 v11, -v14, v38, v15
	v_fma_f32 v12, -v19, v39, v20
	v_div_fmas_f32 v10, v10, v28, v37
	s_mov_b32 vcc_lo, s4
	v_fma_f32 v13, -v21, v40, v22
	v_div_fixup_f32 v0, v8, v0, 1.0
	v_div_fmas_f32 v8, v11, v29, v38
	s_mov_b32 vcc_lo, s5
	v_fma_f32 v50, -v25, v42, v34
	v_div_fmas_f32 v9, v12, v30, v39
	s_mov_b32 vcc_lo, s6
	v_div_fixup_f32 v2, v10, v2, 1.0
	v_div_fmas_f32 v10, v13, v31, v40
	v_cmp_class_f32_e64 vcc_lo, v0, 0x1f8
	v_fma_f32 v14, -v23, v41, v24
	v_div_fixup_f32 v3, v8, v3, 1.0
	v_fmac_f32_e32 v42, v50, v33
	v_div_fixup_f32 v5, v10, v5, 1.0
	v_cndmask_b32_e32 v0, 0, v0, vcc_lo
	s_mov_b32 vcc_lo, s7
	v_div_fixup_f32 v4, v9, v4, 1.0
	v_div_fmas_f32 v8, v14, v32, v41
	v_cmp_class_f32_e64 vcc_lo, v1, 0x1f8
	v_fma_f32 v15, -v25, v42, v34
	s_delay_alu instid0(VALU_DEP_3) | instskip(SKIP_2) | instid1(VALU_DEP_3)
	v_div_fixup_f32 v6, v8, v6, 1.0
	v_cndmask_b32_e32 v1, 0, v1, vcc_lo
	s_mov_b32 vcc_lo, s8
	v_div_fmas_f32 v9, v15, v33, v42
	v_cmp_class_f32_e64 vcc_lo, v2, 0x1f8
	s_delay_alu instid0(VALU_DEP_2)
	v_div_fixup_f32 v7, v9, v7, 1.0
	v_cndmask_b32_e32 v2, 0, v2, vcc_lo
	v_cmp_class_f32_e64 vcc_lo, v3, 0x1f8
	v_cndmask_b32_e32 v3, 0, v3, vcc_lo
	v_cmp_class_f32_e64 vcc_lo, v4, 0x1f8
	;; [unrolled: 2-line block ×5, first 2 shown]
	v_cndmask_b32_e32 v7, 0, v7, vcc_lo
	s_cbranch_scc1 .LBB226_35
; %bb.4:
	v_lshlrev_b32_e32 v12, 2, v18
	s_clause 0x1
	global_load_b128 v[8:11], v12, s[10:11]
	global_load_b128 v[12:15], v12, s[10:11] offset:512
	s_waitcnt vmcnt(1)
	v_dual_add_f32 v9, v9, v1 :: v_dual_add_f32 v8, v8, v0
	v_dual_add_f32 v11, v11, v3 :: v_dual_add_f32 v10, v10, v2
	s_waitcnt vmcnt(0)
	v_dual_add_f32 v13, v13, v5 :: v_dual_add_f32 v12, v12, v4
	v_dual_add_f32 v15, v15, v7 :: v_dual_add_f32 v14, v14, v6
	s_cbranch_execnz .LBB226_6
.LBB226_5:
	v_dual_mov_b32 v15, v7 :: v_dual_mov_b32 v14, v6
	v_dual_mov_b32 v13, v5 :: v_dual_mov_b32 v12, v4
	;; [unrolled: 1-line block ×4, first 2 shown]
.LBB226_6:
	s_load_b128 s[8:11], s[0:1], 0x30
	v_cmp_eq_u32_e64 s2, 0, v17
	s_mov_b32 s6, 0
	s_waitcnt lgkmcnt(0)
	s_bitcmp1_b32 s11, 0
	s_cselect_b32 vcc_lo, -1, 0
	s_cmp_gt_i32 s8, 0
	s_cselect_b32 s5, -1, 0
	s_cmp_lt_i32 s8, 1
	s_cbranch_scc1 .LBB226_36
; %bb.7:
	v_mbcnt_lo_u32_b32 v20, -1, 0
	s_load_b128 s[12:15], s[0:1], 0x20
	v_mul_lo_u32 v19, v16, s8
	v_mov_b32_e32 v26, v16
	s_delay_alu instid0(VALU_DEP_3)
	v_xor_b32_e32 v21, 16, v20
	v_xor_b32_e32 v22, 8, v20
	;; [unrolled: 1-line block ×5, first 2 shown]
	v_cmp_gt_i32_e64 s0, 32, v21
	s_delay_alu instid0(VALU_DEP_1) | instskip(SKIP_1) | instid1(VALU_DEP_2)
	v_cndmask_b32_e64 v21, v20, v21, s0
	v_cmp_gt_i32_e64 s0, 32, v22
	v_lshlrev_b32_e32 v21, 2, v21
	s_delay_alu instid0(VALU_DEP_2) | instskip(SKIP_1) | instid1(VALU_DEP_2)
	v_cndmask_b32_e64 v22, v20, v22, s0
	v_cmp_gt_i32_e64 s0, 32, v23
	v_lshlrev_b32_e32 v22, 2, v22
	s_delay_alu instid0(VALU_DEP_2) | instskip(SKIP_1) | instid1(VALU_DEP_2)
	;; [unrolled: 4-line block ×3, first 2 shown]
	v_cndmask_b32_e64 v24, v20, v24, s0
	v_cmp_gt_i32_e64 s0, 32, v25
	v_lshlrev_b32_e32 v24, 2, v24
	s_delay_alu instid0(VALU_DEP_2) | instskip(NEXT) | instid1(VALU_DEP_1)
	v_cndmask_b32_e64 v20, v20, v25, s0
	v_dual_mov_b32 v20, 0 :: v_dual_lshlrev_b32 v25, 2, v20
	s_branch .LBB226_10
.LBB226_8:                              ;   in Loop: Header=BB226_10 Depth=1
	s_or_b32 exec_lo, exec_lo, s1
.LBB226_9:                              ;   in Loop: Header=BB226_10 Depth=1
	v_add_nc_u32_e32 v26, s18, v26
	s_cmp_eq_u32 s8, s6
	s_cbranch_scc1 .LBB226_37
.LBB226_10:                             ; =>This Inner Loop Header: Depth=1
	v_cmp_gt_f32_e64 s0, v9, v8
	s_delay_alu instid0(VALU_DEP_1) | instskip(SKIP_2) | instid1(VALU_DEP_3)
	v_cndmask_b32_e64 v28, v8, v9, s0
	v_cndmask_b32_e64 v27, 0, 1, s0
	v_cndmask_b32_e64 v29, v0, v1, s0
	v_cmp_gt_f32_e64 s1, v10, v28
	s_delay_alu instid0(VALU_DEP_1) | instskip(NEXT) | instid1(VALU_DEP_4)
	v_cndmask_b32_e64 v28, v28, v10, s1
	v_cndmask_b32_e64 v27, v27, 2, s1
	s_delay_alu instid0(VALU_DEP_4) | instskip(NEXT) | instid1(VALU_DEP_3)
	v_cndmask_b32_e64 v29, v29, v2, s1
	v_cmp_gt_f32_e64 s3, v11, v28
	s_delay_alu instid0(VALU_DEP_1) | instskip(NEXT) | instid1(VALU_DEP_4)
	v_cndmask_b32_e64 v28, v28, v11, s3
	v_cndmask_b32_e64 v27, v27, 3, s3
	s_delay_alu instid0(VALU_DEP_4) | instskip(NEXT) | instid1(VALU_DEP_3)
	v_cndmask_b32_e64 v29, v29, v3, s3
	v_cmp_gt_f32_e64 s4, v12, v28
	s_delay_alu instid0(VALU_DEP_1) | instskip(NEXT) | instid1(VALU_DEP_4)
	v_cndmask_b32_e64 v28, v28, v12, s4
	v_cndmask_b32_e64 v27, v27, 0x80, s4
	s_delay_alu instid0(VALU_DEP_4) | instskip(SKIP_1) | instid1(VALU_DEP_3)
	v_cndmask_b32_e64 v29, v29, v4, s4
	s_mov_b32 s4, exec_lo
	v_cmp_gt_f32_e64 s0, v13, v28
	s_delay_alu instid0(VALU_DEP_1) | instskip(SKIP_2) | instid1(VALU_DEP_3)
	v_cndmask_b32_e64 v28, v28, v13, s0
	v_cndmask_b32_e64 v27, v27, 0x81, s0
	;; [unrolled: 1-line block ×3, first 2 shown]
	v_cmp_gt_f32_e64 s1, v14, v28
	s_delay_alu instid0(VALU_DEP_1) | instskip(NEXT) | instid1(VALU_DEP_4)
	v_cndmask_b32_e64 v28, v28, v14, s1
	v_cndmask_b32_e64 v27, v27, 0x82, s1
	s_waitcnt lgkmcnt(0)
	v_cndmask_b32_e64 v30, v29, v6, s1
	s_delay_alu instid0(VALU_DEP_3) | instskip(NEXT) | instid1(VALU_DEP_1)
	v_cmp_gt_f32_e64 s0, v15, v28
	v_cndmask_b32_e64 v27, v27, 0x83, s0
	v_cndmask_b32_e64 v29, v28, v15, s0
	s_delay_alu instid0(VALU_DEP_4) | instskip(NEXT) | instid1(VALU_DEP_3)
	v_cndmask_b32_e64 v28, v30, v7, s0
	v_or_b32_e32 v27, v18, v27
	ds_bpermute_b32 v30, v21, v29
	ds_bpermute_b32 v32, v21, v28
	;; [unrolled: 1-line block ×3, first 2 shown]
	s_waitcnt lgkmcnt(0)
	v_cmp_lt_f32_e64 s3, v29, v30
	v_cmpx_nlt_f32_e32 v29, v30
; %bb.11:                               ;   in Loop: Header=BB226_10 Depth=1
	v_cmp_eq_f32_e64 s0, v29, v30
	v_cmp_lt_i32_e64 s1, v31, v27
	s_delay_alu instid0(VALU_DEP_1) | instskip(SKIP_2) | instid1(SALU_CYCLE_1)
	s_and_b32 s0, s0, s1
	s_and_not1_b32 s1, s3, exec_lo
	s_and_b32 s0, s0, exec_lo
	s_or_b32 s3, s1, s0
; %bb.12:                               ;   in Loop: Header=BB226_10 Depth=1
	s_or_b32 exec_lo, exec_lo, s4
	s_and_saveexec_b32 s0, s3
; %bb.13:                               ;   in Loop: Header=BB226_10 Depth=1
	v_dual_mov_b32 v28, v32 :: v_dual_mov_b32 v29, v30
	v_mov_b32_e32 v27, v31
; %bb.14:                               ;   in Loop: Header=BB226_10 Depth=1
	s_or_b32 exec_lo, exec_lo, s0
	ds_bpermute_b32 v30, v22, v29
	ds_bpermute_b32 v32, v22, v28
	;; [unrolled: 1-line block ×3, first 2 shown]
	s_mov_b32 s4, exec_lo
	s_waitcnt lgkmcnt(2)
	v_cmp_lt_f32_e64 s3, v29, v30
	v_cmpx_nlt_f32_e32 v29, v30
	s_cbranch_execz .LBB226_16
; %bb.15:                               ;   in Loop: Header=BB226_10 Depth=1
	v_cmp_eq_f32_e64 s0, v29, v30
	s_waitcnt lgkmcnt(0)
	v_cmp_lt_i32_e64 s1, v31, v27
	s_delay_alu instid0(VALU_DEP_1) | instskip(SKIP_2) | instid1(SALU_CYCLE_1)
	s_and_b32 s0, s0, s1
	s_and_not1_b32 s1, s3, exec_lo
	s_and_b32 s0, s0, exec_lo
	s_or_b32 s3, s1, s0
.LBB226_16:                             ;   in Loop: Header=BB226_10 Depth=1
	s_or_b32 exec_lo, exec_lo, s4
	s_delay_alu instid0(VALU_DEP_2)
	s_and_saveexec_b32 s0, s3
	s_cbranch_execz .LBB226_18
; %bb.17:                               ;   in Loop: Header=BB226_10 Depth=1
	s_waitcnt lgkmcnt(1)
	v_dual_mov_b32 v28, v32 :: v_dual_mov_b32 v29, v30
	s_waitcnt lgkmcnt(0)
	v_mov_b32_e32 v27, v31
.LBB226_18:                             ;   in Loop: Header=BB226_10 Depth=1
	s_or_b32 exec_lo, exec_lo, s0
	ds_bpermute_b32 v30, v23, v29
	s_waitcnt lgkmcnt(2)
	ds_bpermute_b32 v32, v23, v28
	s_waitcnt lgkmcnt(2)
	ds_bpermute_b32 v31, v23, v27
	s_mov_b32 s4, exec_lo
	s_waitcnt lgkmcnt(2)
	v_cmp_lt_f32_e64 s3, v29, v30
	v_cmpx_nlt_f32_e32 v29, v30
	s_cbranch_execz .LBB226_20
; %bb.19:                               ;   in Loop: Header=BB226_10 Depth=1
	v_cmp_eq_f32_e64 s0, v29, v30
	s_waitcnt lgkmcnt(0)
	v_cmp_lt_i32_e64 s1, v31, v27
	s_delay_alu instid0(VALU_DEP_1) | instskip(SKIP_2) | instid1(SALU_CYCLE_1)
	s_and_b32 s0, s0, s1
	s_and_not1_b32 s1, s3, exec_lo
	s_and_b32 s0, s0, exec_lo
	s_or_b32 s3, s1, s0
.LBB226_20:                             ;   in Loop: Header=BB226_10 Depth=1
	s_or_b32 exec_lo, exec_lo, s4
	s_delay_alu instid0(VALU_DEP_2)
	s_and_saveexec_b32 s0, s3
	s_cbranch_execz .LBB226_22
; %bb.21:                               ;   in Loop: Header=BB226_10 Depth=1
	s_waitcnt lgkmcnt(1)
	v_dual_mov_b32 v28, v32 :: v_dual_mov_b32 v29, v30
	s_waitcnt lgkmcnt(0)
	v_mov_b32_e32 v27, v31
.LBB226_22:                             ;   in Loop: Header=BB226_10 Depth=1
	s_or_b32 exec_lo, exec_lo, s0
	ds_bpermute_b32 v30, v24, v29
	s_waitcnt lgkmcnt(2)
	ds_bpermute_b32 v32, v24, v28
	s_waitcnt lgkmcnt(2)
	ds_bpermute_b32 v31, v24, v27
	s_mov_b32 s4, exec_lo
	s_waitcnt lgkmcnt(2)
	v_cmp_lt_f32_e64 s3, v29, v30
	v_cmpx_nlt_f32_e32 v29, v30
	s_cbranch_execz .LBB226_24
; %bb.23:                               ;   in Loop: Header=BB226_10 Depth=1
	v_cmp_eq_f32_e64 s0, v29, v30
	s_waitcnt lgkmcnt(0)
	v_cmp_lt_i32_e64 s1, v31, v27
	s_delay_alu instid0(VALU_DEP_1) | instskip(SKIP_2) | instid1(SALU_CYCLE_1)
	s_and_b32 s0, s0, s1
	s_and_not1_b32 s1, s3, exec_lo
	s_and_b32 s0, s0, exec_lo
	s_or_b32 s3, s1, s0
.LBB226_24:                             ;   in Loop: Header=BB226_10 Depth=1
	s_or_b32 exec_lo, exec_lo, s4
	s_delay_alu instid0(VALU_DEP_2)
	s_and_saveexec_b32 s0, s3
	s_cbranch_execz .LBB226_26
; %bb.25:                               ;   in Loop: Header=BB226_10 Depth=1
	s_waitcnt lgkmcnt(1)
	v_dual_mov_b32 v28, v32 :: v_dual_mov_b32 v29, v30
	s_waitcnt lgkmcnt(0)
	v_mov_b32_e32 v27, v31
.LBB226_26:                             ;   in Loop: Header=BB226_10 Depth=1
	s_or_b32 exec_lo, exec_lo, s0
	s_waitcnt lgkmcnt(1)
	ds_bpermute_b32 v32, v25, v29
	ds_bpermute_b32 v30, v25, v28
	s_waitcnt lgkmcnt(2)
	ds_bpermute_b32 v31, v25, v27
	s_mov_b32 s4, exec_lo
	s_waitcnt lgkmcnt(2)
	v_cmp_lt_f32_e64 s3, v29, v32
	v_cmpx_nlt_f32_e32 v29, v32
	s_cbranch_execnz .LBB226_30
; %bb.27:                               ;   in Loop: Header=BB226_10 Depth=1
	s_or_b32 exec_lo, exec_lo, s4
	s_delay_alu instid0(VALU_DEP_2)
	s_and_saveexec_b32 s0, s3
	s_cbranch_execnz .LBB226_31
.LBB226_28:                             ;   in Loop: Header=BB226_10 Depth=1
	s_or_b32 exec_lo, exec_lo, s0
	s_and_saveexec_b32 s3, s2
	s_cbranch_execnz .LBB226_32
.LBB226_29:                             ;   in Loop: Header=BB226_10 Depth=1
	s_or_b32 exec_lo, exec_lo, s3
	s_add_i32 s6, s6, 1
	s_delay_alu instid0(SALU_CYCLE_1)
	s_cmp_ge_i32 s6, s8
	s_cbranch_scc1 .LBB226_9
	s_branch .LBB226_33
.LBB226_30:                             ;   in Loop: Header=BB226_10 Depth=1
	v_cmp_eq_f32_e64 s0, v29, v32
	s_waitcnt lgkmcnt(0)
	v_cmp_lt_i32_e64 s1, v31, v27
	s_delay_alu instid0(VALU_DEP_1) | instskip(SKIP_2) | instid1(SALU_CYCLE_1)
	s_and_b32 s0, s0, s1
	s_and_not1_b32 s1, s3, exec_lo
	s_and_b32 s0, s0, exec_lo
	s_or_b32 s3, s1, s0
	s_or_b32 exec_lo, exec_lo, s4
	s_and_saveexec_b32 s0, s3
	s_cbranch_execz .LBB226_28
.LBB226_31:                             ;   in Loop: Header=BB226_10 Depth=1
	s_waitcnt lgkmcnt(0)
	v_dual_mov_b32 v27, v31 :: v_dual_mov_b32 v28, v30
	s_or_b32 exec_lo, exec_lo, s0
	s_and_saveexec_b32 s3, s2
	s_cbranch_execz .LBB226_29
.LBB226_32:                             ;   in Loop: Header=BB226_10 Depth=1
	s_delay_alu instid0(VALU_DEP_1)
	v_dual_add_f32 v36, v20, v28 :: v_dual_add_nc_u32 v29, s6, v19
	v_cmp_le_i32_e64 s0, s9, v27
	v_cmp_gt_i32_e64 s1, s10, v27
	s_waitcnt lgkmcnt(0)
	v_subrev_nc_u32_e32 v31, s9, v27
	v_ashrrev_i32_e32 v30, 31, v29
	v_cndmask_b32_e32 v20, v20, v36, vcc_lo
	s_and_b32 s0, s0, s1
	s_delay_alu instid0(SALU_CYCLE_1) | instskip(NEXT) | instid1(VALU_DEP_2)
	s_and_b32 s0, s19, s0
	v_lshlrev_b64 v[29:30], 2, v[29:30]
	v_cndmask_b32_e64 v35, 0x100, v31, s0
	s_delay_alu instid0(VALU_DEP_2) | instskip(NEXT) | instid1(VALU_DEP_1)
	v_add_co_u32 v31, s0, s16, v29
	v_add_co_ci_u32_e64 v32, s0, s17, v30, s0
	v_add_co_u32 v33, s0, s12, v29
	s_delay_alu instid0(VALU_DEP_1) | instskip(SKIP_1) | instid1(VALU_DEP_1)
	v_add_co_ci_u32_e64 v34, s0, s13, v30, s0
	v_add_co_u32 v29, s0, s14, v29
	v_add_co_ci_u32_e64 v30, s0, s15, v30, s0
	global_store_b32 v[31:32], v28, off
	global_store_b32 v[33:34], v35, off
	;; [unrolled: 1-line block ×3, first 2 shown]
	s_or_b32 exec_lo, exec_lo, s3
	s_add_i32 s6, s6, 1
	s_delay_alu instid0(SALU_CYCLE_1)
	s_cmp_ge_i32 s6, s8
	s_cbranch_scc1 .LBB226_9
.LBB226_33:                             ;   in Loop: Header=BB226_10 Depth=1
	v_ashrrev_i32_e32 v28, 31, v27
	s_mov_b32 s1, exec_lo
	s_delay_alu instid0(VALU_DEP_1) | instskip(NEXT) | instid1(VALU_DEP_1)
	v_lshrrev_b32_e32 v29, 30, v28
	v_add_nc_u32_e32 v29, v27, v29
	s_waitcnt lgkmcnt(1)
	s_delay_alu instid0(VALU_DEP_1) | instskip(SKIP_1) | instid1(VALU_DEP_2)
	v_ashrrev_i32_e32 v30, 31, v29
	v_ashrrev_i32_e32 v29, 2, v29
	v_lshrrev_b32_e32 v30, 27, v30
	s_delay_alu instid0(VALU_DEP_1) | instskip(NEXT) | instid1(VALU_DEP_1)
	v_add_nc_u32_e32 v30, v29, v30
	v_and_b32_e32 v30, 0xffffffe0, v30
	s_delay_alu instid0(VALU_DEP_1) | instskip(NEXT) | instid1(VALU_DEP_1)
	v_sub_nc_u32_e32 v30, v29, v30
	v_cmpx_eq_u32_e64 v17, v30
	s_cbranch_execz .LBB226_8
; %bb.34:                               ;   in Loop: Header=BB226_10 Depth=1
	v_lshrrev_b32_e32 v28, 25, v28
	v_lshlrev_b32_e32 v29, 2, v29
	s_delay_alu instid0(VALU_DEP_2) | instskip(NEXT) | instid1(VALU_DEP_2)
	v_add_nc_u32_e32 v28, v27, v28
	v_sub_nc_u32_e32 v27, v27, v29
	s_delay_alu instid0(VALU_DEP_2) | instskip(NEXT) | instid1(VALU_DEP_1)
	v_ashrrev_i32_e32 v28, 7, v28
	v_lshl_add_u32 v27, v28, 2, v27
	s_delay_alu instid0(VALU_DEP_1) | instskip(NEXT) | instid1(VALU_DEP_1)
	v_cmp_ne_u32_e64 s0, 7, v27
	v_cndmask_b32_e64 v15, 0xc61c4000, v15, s0
	v_cmp_ne_u32_e64 s0, 6, v27
	s_delay_alu instid0(VALU_DEP_1) | instskip(SKIP_1) | instid1(VALU_DEP_1)
	v_cndmask_b32_e64 v14, 0xc61c4000, v14, s0
	v_cmp_ne_u32_e64 s0, 5, v27
	v_cndmask_b32_e64 v13, 0xc61c4000, v13, s0
	v_cmp_ne_u32_e64 s0, 4, v27
	s_delay_alu instid0(VALU_DEP_1) | instskip(SKIP_1) | instid1(VALU_DEP_1)
	v_cndmask_b32_e64 v12, 0xc61c4000, v12, s0
	;; [unrolled: 5-line block ×3, first 2 shown]
	v_cmp_ne_u32_e64 s0, 1, v27
	v_cndmask_b32_e64 v9, 0xc61c4000, v9, s0
	v_cmp_ne_u32_e64 s0, 0, v27
	s_delay_alu instid0(VALU_DEP_1)
	v_cndmask_b32_e64 v8, 0xc61c4000, v8, s0
	s_branch .LBB226_8
.LBB226_35:
                                        ; implicit-def: $vgpr8_vgpr9_vgpr10_vgpr11_vgpr12_vgpr13_vgpr14_vgpr15
	s_and_not1_b32 vcc_lo, exec_lo, s9
	s_cbranch_vccz .LBB226_5
	s_branch .LBB226_6
.LBB226_36:
	v_mov_b32_e32 v20, 0
.LBB226_37:
	v_cmp_eq_u32_e64 s0, 0, v17
	s_delay_alu instid0(VALU_DEP_1) | instskip(NEXT) | instid1(SALU_CYCLE_1)
	s_and_b32 s0, s0, vcc_lo
	s_and_b32 exec_lo, exec_lo, s0
	s_cbranch_execz .LBB226_41
; %bb.38:
	s_and_not1_b32 vcc_lo, exec_lo, s5
	s_cbranch_vccnz .LBB226_41
; %bb.39:
	v_mul_lo_u32 v0, v16, s8
	v_cmp_lt_f32_e32 vcc_lo, 0, v20
	v_cndmask_b32_e32 v2, 1.0, v20, vcc_lo
	s_delay_alu instid0(VALU_DEP_3) | instskip(NEXT) | instid1(VALU_DEP_1)
	v_ashrrev_i32_e32 v1, 31, v0
	v_lshlrev_b64 v[0:1], 2, v[0:1]
	s_delay_alu instid0(VALU_DEP_1) | instskip(NEXT) | instid1(VALU_DEP_2)
	v_add_co_u32 v0, vcc_lo, s16, v0
	v_add_co_ci_u32_e32 v1, vcc_lo, s17, v1, vcc_lo
	.p2align	6
.LBB226_40:                             ; =>This Inner Loop Header: Depth=1
	global_load_b32 v3, v[0:1], off
	s_add_i32 s8, s8, -1
	s_delay_alu instid0(SALU_CYCLE_1) | instskip(SKIP_3) | instid1(VALU_DEP_2)
	s_cmp_lg_u32 s8, 0
	s_waitcnt vmcnt(0)
	v_div_scale_f32 v4, null, v2, v2, v3
	v_div_scale_f32 v7, vcc_lo, v3, v2, v3
	v_rcp_f32_e32 v5, v4
	s_waitcnt_depctr 0xfff
	v_fma_f32 v6, -v4, v5, 1.0
	s_delay_alu instid0(VALU_DEP_1) | instskip(NEXT) | instid1(VALU_DEP_1)
	v_fmac_f32_e32 v5, v6, v5
	v_mul_f32_e32 v6, v7, v5
	s_delay_alu instid0(VALU_DEP_1) | instskip(NEXT) | instid1(VALU_DEP_1)
	v_fma_f32 v8, -v4, v6, v7
	v_fmac_f32_e32 v6, v8, v5
	s_delay_alu instid0(VALU_DEP_1) | instskip(NEXT) | instid1(VALU_DEP_1)
	v_fma_f32 v4, -v4, v6, v7
	v_div_fmas_f32 v4, v4, v5, v6
	s_delay_alu instid0(VALU_DEP_1)
	v_div_fixup_f32 v3, v4, v2, v3
	global_store_b32 v[0:1], v3, off
	v_add_co_u32 v0, vcc_lo, v0, 4
	v_add_co_ci_u32_e32 v1, vcc_lo, 0, v1, vcc_lo
	s_cbranch_scc1 .LBB226_40
.LBB226_41:
	s_nop 0
	s_sendmsg sendmsg(MSG_DEALLOC_VGPRS)
	s_endpgm
	.section	.rodata,"a",@progbits
	.p2align	6, 0x0
	.amdhsa_kernel _ZN4vllm3moe10topkGatingILi8ELi256ELi4ELi16ELi32EjfLNS0_11ScoringFuncE1EEEvPKT5_PKbPfiPT4_PiiiibPKf
		.amdhsa_group_segment_fixed_size 0
		.amdhsa_private_segment_fixed_size 0
		.amdhsa_kernarg_size 72
		.amdhsa_user_sgpr_count 15
		.amdhsa_user_sgpr_dispatch_ptr 0
		.amdhsa_user_sgpr_queue_ptr 0
		.amdhsa_user_sgpr_kernarg_segment_ptr 1
		.amdhsa_user_sgpr_dispatch_id 0
		.amdhsa_user_sgpr_private_segment_size 0
		.amdhsa_wavefront_size32 1
		.amdhsa_uses_dynamic_stack 0
		.amdhsa_enable_private_segment 0
		.amdhsa_system_sgpr_workgroup_id_x 1
		.amdhsa_system_sgpr_workgroup_id_y 0
		.amdhsa_system_sgpr_workgroup_id_z 0
		.amdhsa_system_sgpr_workgroup_info 0
		.amdhsa_system_vgpr_workitem_id 1
		.amdhsa_next_free_vgpr 51
		.amdhsa_next_free_sgpr 20
		.amdhsa_reserve_vcc 1
		.amdhsa_float_round_mode_32 0
		.amdhsa_float_round_mode_16_64 0
		.amdhsa_float_denorm_mode_32 3
		.amdhsa_float_denorm_mode_16_64 3
		.amdhsa_dx10_clamp 1
		.amdhsa_ieee_mode 1
		.amdhsa_fp16_overflow 0
		.amdhsa_workgroup_processor_mode 1
		.amdhsa_memory_ordered 1
		.amdhsa_forward_progress 0
		.amdhsa_shared_vgpr_count 0
		.amdhsa_exception_fp_ieee_invalid_op 0
		.amdhsa_exception_fp_denorm_src 0
		.amdhsa_exception_fp_ieee_div_zero 0
		.amdhsa_exception_fp_ieee_overflow 0
		.amdhsa_exception_fp_ieee_underflow 0
		.amdhsa_exception_fp_ieee_inexact 0
		.amdhsa_exception_int_div_zero 0
	.end_amdhsa_kernel
	.section	.text._ZN4vllm3moe10topkGatingILi8ELi256ELi4ELi16ELi32EjfLNS0_11ScoringFuncE1EEEvPKT5_PKbPfiPT4_PiiiibPKf,"axG",@progbits,_ZN4vllm3moe10topkGatingILi8ELi256ELi4ELi16ELi32EjfLNS0_11ScoringFuncE1EEEvPKT5_PKbPfiPT4_PiiiibPKf,comdat
.Lfunc_end226:
	.size	_ZN4vllm3moe10topkGatingILi8ELi256ELi4ELi16ELi32EjfLNS0_11ScoringFuncE1EEEvPKT5_PKbPfiPT4_PiiiibPKf, .Lfunc_end226-_ZN4vllm3moe10topkGatingILi8ELi256ELi4ELi16ELi32EjfLNS0_11ScoringFuncE1EEEvPKT5_PKbPfiPT4_PiiiibPKf
                                        ; -- End function
	.section	.AMDGPU.csdata,"",@progbits
; Kernel info:
; codeLenInByte = 3220
; NumSgprs: 22
; NumVgprs: 51
; ScratchSize: 0
; MemoryBound: 0
; FloatMode: 240
; IeeeMode: 1
; LDSByteSize: 0 bytes/workgroup (compile time only)
; SGPRBlocks: 2
; VGPRBlocks: 6
; NumSGPRsForWavesPerEU: 22
; NumVGPRsForWavesPerEU: 51
; Occupancy: 16
; WaveLimiterHint : 1
; COMPUTE_PGM_RSRC2:SCRATCH_EN: 0
; COMPUTE_PGM_RSRC2:USER_SGPR: 15
; COMPUTE_PGM_RSRC2:TRAP_HANDLER: 0
; COMPUTE_PGM_RSRC2:TGID_X_EN: 1
; COMPUTE_PGM_RSRC2:TGID_Y_EN: 0
; COMPUTE_PGM_RSRC2:TGID_Z_EN: 0
; COMPUTE_PGM_RSRC2:TIDIG_COMP_CNT: 1
	.section	.text._ZN4vllm3moe10topkGatingILi8ELi512ELi4ELi16ELi64EjfLNS0_11ScoringFuncE1EEEvPKT5_PKbPfiPT4_PiiiibPKf,"axG",@progbits,_ZN4vllm3moe10topkGatingILi8ELi512ELi4ELi16ELi64EjfLNS0_11ScoringFuncE1EEEvPKT5_PKbPfiPT4_PiiiibPKf,comdat
	.protected	_ZN4vllm3moe10topkGatingILi8ELi512ELi4ELi16ELi64EjfLNS0_11ScoringFuncE1EEEvPKT5_PKbPfiPT4_PiiiibPKf ; -- Begin function _ZN4vllm3moe10topkGatingILi8ELi512ELi4ELi16ELi64EjfLNS0_11ScoringFuncE1EEEvPKT5_PKbPfiPT4_PiiiibPKf
	.globl	_ZN4vllm3moe10topkGatingILi8ELi512ELi4ELi16ELi64EjfLNS0_11ScoringFuncE1EEEvPKT5_PKbPfiPT4_PiiiibPKf
	.p2align	8
	.type	_ZN4vllm3moe10topkGatingILi8ELi512ELi4ELi16ELi64EjfLNS0_11ScoringFuncE1EEEvPKT5_PKbPfiPT4_PiiiibPKf,@function
_ZN4vllm3moe10topkGatingILi8ELi512ELi4ELi16ELi64EjfLNS0_11ScoringFuncE1EEEvPKT5_PKbPfiPT4_PiiiibPKf: ; @_ZN4vllm3moe10topkGatingILi8ELi512ELi4ELi16ELi64EjfLNS0_11ScoringFuncE1EEEvPKT5_PKbPfiPT4_PiiiibPKf
; %bb.0:
	s_load_b32 s18, s[0:1], 0x18
	v_and_b32_e32 v1, 0x3ff, v0
	v_bfe_u32 v0, v0, 10, 10
	s_lshl_b32 s2, s15, 2
	s_delay_alu instid0(VALU_DEP_2) | instskip(NEXT) | instid1(VALU_DEP_1)
	v_lshrrev_b32_e32 v2, 6, v1
	v_add3_u32 v16, s2, v0, v2
	s_mov_b32 s2, exec_lo
	s_waitcnt lgkmcnt(0)
	s_delay_alu instid0(VALU_DEP_1)
	v_cmpx_gt_i32_e64 s18, v16
	s_cbranch_execz .LBB227_45
; %bb.1:
	s_clause 0x1
	s_load_b128 s[4:7], s[0:1], 0x0
	s_load_b64 s[16:17], s[0:1], 0x10
	s_mov_b32 s9, -1
	s_mov_b32 s19, -1
	s_waitcnt lgkmcnt(0)
	s_cmp_eq_u64 s[6:7], 0
	s_cbranch_scc1 .LBB227_3
; %bb.2:
	v_ashrrev_i32_e32 v0, 31, v16
	v_add_co_u32 v2, vcc_lo, s6, v16
	s_delay_alu instid0(VALU_DEP_2) | instskip(SKIP_3) | instid1(VALU_DEP_1)
	v_add_co_ci_u32_e32 v3, vcc_lo, s7, v0, vcc_lo
	global_load_u8 v0, v[2:3], off
	s_waitcnt vmcnt(0)
	v_and_b32_e32 v0, 1, v0
	v_cmp_eq_u32_e32 vcc_lo, 1, v0
	s_xor_b32 s2, vcc_lo, -1
	s_delay_alu instid0(SALU_CYCLE_1)
	s_or_not1_b32 s19, s2, exec_lo
.LBB227_3:
	v_lshlrev_b32_e32 v2, 9, v16
	v_and_b32_e32 v17, 63, v1
	s_load_b64 s[10:11], s[0:1], 0x40
	s_delay_alu instid0(VALU_DEP_2) | instskip(NEXT) | instid1(VALU_DEP_1)
	v_ashrrev_i32_e32 v3, 31, v2
	v_lshlrev_b64 v[0:1], 2, v[2:3]
	s_delay_alu instid0(VALU_DEP_3) | instskip(NEXT) | instid1(VALU_DEP_2)
	v_lshlrev_b32_e32 v2, 4, v17
	v_add_co_u32 v0, vcc_lo, s4, v0
	s_delay_alu instid0(VALU_DEP_3) | instskip(NEXT) | instid1(VALU_DEP_2)
	v_add_co_ci_u32_e32 v1, vcc_lo, s5, v1, vcc_lo
	v_add_co_u32 v4, vcc_lo, v0, v2
	s_delay_alu instid0(VALU_DEP_2)
	v_add_co_ci_u32_e32 v5, vcc_lo, 0, v1, vcc_lo
	s_waitcnt lgkmcnt(0)
	s_cmp_eq_u64 s[10:11], 0
	s_clause 0x1
	global_load_b128 v[0:3], v[4:5], off
	global_load_b128 v[4:7], v[4:5], off offset:1024
	s_waitcnt vmcnt(1)
	v_mul_f32_e32 v3, 0xbfb8aa3b, v3
	v_dual_mul_f32 v1, 0xbfb8aa3b, v1 :: v_dual_mul_f32 v0, 0xbfb8aa3b, v0
	s_waitcnt vmcnt(0)
	v_dual_mul_f32 v2, 0xbfb8aa3b, v2 :: v_dual_mul_f32 v5, 0xbfb8aa3b, v5
	s_delay_alu instid0(VALU_DEP_3) | instskip(NEXT) | instid1(VALU_DEP_2)
	v_exp_f32_e32 v3, v3
	v_exp_f32_e32 v1, v1
	v_mul_f32_e32 v6, 0xbfb8aa3b, v6
	v_exp_f32_e32 v0, v0
	v_dual_mul_f32 v4, 0xbfb8aa3b, v4 :: v_dual_mul_f32 v7, 0xbfb8aa3b, v7
	v_lshlrev_b32_e32 v18, 2, v17
	v_exp_f32_e32 v5, v5
	v_exp_f32_e32 v2, v2
	s_delay_alu instid0(VALU_DEP_2)
	v_exp_f32_e32 v4, v4
	v_add_f32_e32 v3, 1.0, v3
	v_add_f32_e32 v1, 1.0, v1
	v_exp_f32_e32 v7, v7
	v_add_f32_e32 v0, 1.0, v0
	v_exp_f32_e32 v6, v6
	v_div_scale_f32 v14, null, v3, v3, 1.0
	v_add_f32_e32 v5, 1.0, v5
	v_div_scale_f32 v10, null, v1, v1, 1.0
	s_delay_alu instid0(VALU_DEP_3) | instskip(SKIP_1) | instid1(VALU_DEP_2)
	v_rcp_f32_e32 v29, v14
	v_div_scale_f32 v8, null, v0, v0, 1.0
	v_rcp_f32_e32 v27, v10
	v_dual_add_f32 v2, 1.0, v2 :: v_dual_add_f32 v7, 1.0, v7
	v_div_scale_f32 v21, null, v5, v5, 1.0
	s_delay_alu instid0(VALU_DEP_3) | instskip(NEXT) | instid1(VALU_DEP_2)
	v_rcp_f32_e32 v26, v8
	v_div_scale_f32 v12, null, v2, v2, 1.0
	s_delay_alu instid0(VALU_DEP_3)
	v_div_scale_f32 v25, null, v7, v7, 1.0
	s_waitcnt_depctr 0xfff
	v_fma_f32 v36, -v10, v27, 1.0
	v_add_f32_e32 v4, 1.0, v4
	v_fma_f32 v38, -v14, v29, 1.0
	v_add_f32_e32 v6, 1.0, v6
	v_rcp_f32_e32 v31, v21
	v_fmac_f32_e32 v27, v36, v27
	v_div_scale_f32 v19, null, v4, v4, 1.0
	v_fmac_f32_e32 v29, v38, v29
	v_div_scale_f32 v23, null, v6, v6, 1.0
	v_rcp_f32_e32 v28, v12
	s_delay_alu instid0(VALU_DEP_3)
	v_rcp_f32_e32 v30, v19
	v_rcp_f32_e32 v33, v25
	v_fma_f32 v35, -v8, v26, 1.0
	v_rcp_f32_e32 v32, v23
	v_div_scale_f32 v9, vcc_lo, 1.0, v0, 1.0
	v_fma_f32 v40, -v21, v31, 1.0
	s_delay_alu instid0(VALU_DEP_3) | instskip(SKIP_2) | instid1(VALU_DEP_4)
	v_fmac_f32_e32 v26, v35, v26
	v_div_scale_f32 v11, s2, 1.0, v1, 1.0
	v_fma_f32 v37, -v12, v28, 1.0
	v_fmac_f32_e32 v31, v40, v31
	v_fma_f32 v39, -v19, v30, 1.0
	v_fma_f32 v42, -v25, v33, 1.0
	v_dual_mul_f32 v35, v9, v26 :: v_dual_mul_f32 v36, v11, v27
	v_div_scale_f32 v13, s3, 1.0, v2, 1.0
	v_div_scale_f32 v20, s5, 1.0, v4, 1.0
	v_fma_f32 v41, -v23, v32, 1.0
	v_dual_fmac_f32 v28, v37, v28 :: v_dual_fmac_f32 v33, v42, v33
	v_fmac_f32_e32 v30, v39, v30
	v_div_scale_f32 v22, s6, 1.0, v5, 1.0
	s_delay_alu instid0(VALU_DEP_3) | instskip(SKIP_1) | instid1(VALU_DEP_4)
	v_mul_f32_e32 v37, v13, v28
	v_fma_f32 v43, -v8, v35, v9
	v_dual_fmac_f32 v32, v41, v32 :: v_dual_mul_f32 v39, v20, v30
	v_fma_f32 v44, -v10, v36, v11
	v_div_scale_f32 v15, s4, 1.0, v3, 1.0
	s_delay_alu instid0(VALU_DEP_4) | instskip(NEXT) | instid1(VALU_DEP_4)
	v_dual_mul_f32 v40, v22, v31 :: v_dual_fmac_f32 v35, v43, v26
	v_fma_f32 v47, -v19, v39, v20
	s_delay_alu instid0(VALU_DEP_4) | instskip(SKIP_4) | instid1(VALU_DEP_4)
	v_fmac_f32_e32 v36, v44, v27
	v_div_scale_f32 v24, s7, 1.0, v6, 1.0
	v_mul_f32_e32 v38, v15, v29
	v_fma_f32 v8, -v8, v35, v9
	v_div_scale_f32 v34, s8, 1.0, v7, 1.0
	v_mul_f32_e32 v41, v24, v32
	v_fma_f32 v45, -v12, v37, v13
	v_fmac_f32_e32 v39, v47, v30
	v_fma_f32 v9, -v10, v36, v11
	v_fma_f32 v46, -v14, v38, v15
	v_div_fmas_f32 v8, v8, v26, v35
	s_mov_b32 vcc_lo, s2
	v_dual_mul_f32 v42, v34, v33 :: v_dual_fmac_f32 v37, v45, v28
	v_fma_f32 v48, -v21, v40, v22
	v_div_fmas_f32 v9, v9, v27, v36
	v_fma_f32 v49, -v23, v41, v24
	v_fmac_f32_e32 v38, v46, v29
	v_fma_f32 v10, -v12, v37, v13
	s_mov_b32 vcc_lo, s3
	v_div_fixup_f32 v1, v9, v1, 1.0
	v_dual_fmac_f32 v41, v49, v32 :: v_dual_fmac_f32 v40, v48, v31
	v_fma_f32 v11, -v14, v38, v15
	v_fma_f32 v12, -v19, v39, v20
	v_div_fmas_f32 v10, v10, v28, v37
	s_mov_b32 vcc_lo, s4
	v_fma_f32 v13, -v21, v40, v22
	v_div_fixup_f32 v0, v8, v0, 1.0
	v_div_fmas_f32 v8, v11, v29, v38
	s_mov_b32 vcc_lo, s5
	v_fma_f32 v50, -v25, v42, v34
	v_div_fmas_f32 v9, v12, v30, v39
	s_mov_b32 vcc_lo, s6
	v_div_fixup_f32 v2, v10, v2, 1.0
	v_div_fmas_f32 v10, v13, v31, v40
	v_cmp_class_f32_e64 vcc_lo, v0, 0x1f8
	v_fma_f32 v14, -v23, v41, v24
	v_div_fixup_f32 v3, v8, v3, 1.0
	v_fmac_f32_e32 v42, v50, v33
	v_div_fixup_f32 v5, v10, v5, 1.0
	v_cndmask_b32_e32 v0, 0, v0, vcc_lo
	s_mov_b32 vcc_lo, s7
	v_div_fixup_f32 v4, v9, v4, 1.0
	v_div_fmas_f32 v8, v14, v32, v41
	v_cmp_class_f32_e64 vcc_lo, v1, 0x1f8
	v_fma_f32 v15, -v25, v42, v34
	s_delay_alu instid0(VALU_DEP_3) | instskip(SKIP_2) | instid1(VALU_DEP_3)
	v_div_fixup_f32 v6, v8, v6, 1.0
	v_cndmask_b32_e32 v1, 0, v1, vcc_lo
	s_mov_b32 vcc_lo, s8
	v_div_fmas_f32 v9, v15, v33, v42
	v_cmp_class_f32_e64 vcc_lo, v2, 0x1f8
	s_delay_alu instid0(VALU_DEP_2)
	v_div_fixup_f32 v7, v9, v7, 1.0
	v_cndmask_b32_e32 v2, 0, v2, vcc_lo
	v_cmp_class_f32_e64 vcc_lo, v3, 0x1f8
	v_cndmask_b32_e32 v3, 0, v3, vcc_lo
	v_cmp_class_f32_e64 vcc_lo, v4, 0x1f8
	;; [unrolled: 2-line block ×5, first 2 shown]
	v_cndmask_b32_e32 v7, 0, v7, vcc_lo
	s_cbranch_scc1 .LBB227_39
; %bb.4:
	v_lshlrev_b32_e32 v12, 2, v18
	s_clause 0x1
	global_load_b128 v[8:11], v12, s[10:11]
	global_load_b128 v[12:15], v12, s[10:11] offset:1024
	s_waitcnt vmcnt(1)
	v_dual_add_f32 v9, v9, v1 :: v_dual_add_f32 v8, v8, v0
	v_dual_add_f32 v11, v11, v3 :: v_dual_add_f32 v10, v10, v2
	s_waitcnt vmcnt(0)
	v_dual_add_f32 v13, v13, v5 :: v_dual_add_f32 v12, v12, v4
	v_dual_add_f32 v15, v15, v7 :: v_dual_add_f32 v14, v14, v6
	s_cbranch_execnz .LBB227_6
.LBB227_5:
	v_dual_mov_b32 v15, v7 :: v_dual_mov_b32 v14, v6
	v_dual_mov_b32 v13, v5 :: v_dual_mov_b32 v12, v4
	;; [unrolled: 1-line block ×4, first 2 shown]
.LBB227_6:
	s_load_b128 s[8:11], s[0:1], 0x30
	v_cmp_eq_u32_e64 s2, 0, v17
	s_mov_b32 s6, 0
	s_waitcnt lgkmcnt(0)
	s_bitcmp1_b32 s11, 0
	s_cselect_b32 vcc_lo, -1, 0
	s_cmp_gt_i32 s8, 0
	s_cselect_b32 s5, -1, 0
	s_cmp_lt_i32 s8, 1
	s_cbranch_scc1 .LBB227_40
; %bb.7:
	v_mbcnt_lo_u32_b32 v20, -1, 0
	s_load_b128 s[12:15], s[0:1], 0x20
	v_mul_lo_u32 v19, v16, s8
	v_mov_b32_e32 v27, v16
	s_delay_alu instid0(VALU_DEP_3)
	v_or_b32_e32 v21, 32, v20
	v_xor_b32_e32 v22, 16, v20
	v_xor_b32_e32 v23, 8, v20
	;; [unrolled: 1-line block ×4, first 2 shown]
	v_cmp_gt_i32_e64 s0, 64, v21
	v_xor_b32_e32 v26, 1, v20
	s_delay_alu instid0(VALU_DEP_2) | instskip(SKIP_1) | instid1(VALU_DEP_2)
	v_cndmask_b32_e64 v21, v20, v21, s0
	v_cmp_gt_i32_e64 s0, 64, v22
	v_lshlrev_b32_e32 v21, 2, v21
	s_delay_alu instid0(VALU_DEP_2) | instskip(SKIP_1) | instid1(VALU_DEP_2)
	v_cndmask_b32_e64 v22, v20, v22, s0
	v_cmp_gt_i32_e64 s0, 64, v23
	v_lshlrev_b32_e32 v22, 2, v22
	;; [unrolled: 4-line block ×5, first 2 shown]
	s_delay_alu instid0(VALU_DEP_2) | instskip(NEXT) | instid1(VALU_DEP_1)
	v_cndmask_b32_e64 v20, v20, v26, s0
	v_lshlrev_b32_e32 v26, 2, v20
	v_mov_b32_e32 v20, 0
	s_branch .LBB227_10
.LBB227_8:                              ;   in Loop: Header=BB227_10 Depth=1
	s_or_b32 exec_lo, exec_lo, s1
.LBB227_9:                              ;   in Loop: Header=BB227_10 Depth=1
	v_add_nc_u32_e32 v27, s18, v27
	s_cmp_eq_u32 s8, s6
	s_cbranch_scc1 .LBB227_41
.LBB227_10:                             ; =>This Inner Loop Header: Depth=1
	v_cmp_gt_f32_e64 s0, v9, v8
	s_delay_alu instid0(VALU_DEP_1) | instskip(SKIP_2) | instid1(VALU_DEP_3)
	v_cndmask_b32_e64 v29, v8, v9, s0
	v_cndmask_b32_e64 v28, 0, 1, s0
	;; [unrolled: 1-line block ×3, first 2 shown]
	v_cmp_gt_f32_e64 s1, v10, v29
	s_delay_alu instid0(VALU_DEP_1) | instskip(NEXT) | instid1(VALU_DEP_4)
	v_cndmask_b32_e64 v29, v29, v10, s1
	v_cndmask_b32_e64 v28, v28, 2, s1
	s_delay_alu instid0(VALU_DEP_4) | instskip(NEXT) | instid1(VALU_DEP_3)
	v_cndmask_b32_e64 v30, v30, v2, s1
	v_cmp_gt_f32_e64 s3, v11, v29
	s_delay_alu instid0(VALU_DEP_1) | instskip(NEXT) | instid1(VALU_DEP_4)
	v_cndmask_b32_e64 v29, v29, v11, s3
	v_cndmask_b32_e64 v28, v28, 3, s3
	s_delay_alu instid0(VALU_DEP_4) | instskip(NEXT) | instid1(VALU_DEP_3)
	v_cndmask_b32_e64 v30, v30, v3, s3
	v_cmp_gt_f32_e64 s4, v12, v29
	s_delay_alu instid0(VALU_DEP_1) | instskip(NEXT) | instid1(VALU_DEP_4)
	v_cndmask_b32_e64 v29, v29, v12, s4
	v_cndmask_b32_e64 v28, v28, 0x100, s4
	s_delay_alu instid0(VALU_DEP_4) | instskip(SKIP_1) | instid1(VALU_DEP_3)
	v_cndmask_b32_e64 v30, v30, v4, s4
	s_mov_b32 s4, exec_lo
	v_cmp_gt_f32_e64 s0, v13, v29
	s_delay_alu instid0(VALU_DEP_1) | instskip(SKIP_2) | instid1(VALU_DEP_3)
	v_cndmask_b32_e64 v29, v29, v13, s0
	v_cndmask_b32_e64 v28, v28, 0x101, s0
	;; [unrolled: 1-line block ×3, first 2 shown]
	v_cmp_gt_f32_e64 s1, v14, v29
	s_delay_alu instid0(VALU_DEP_1) | instskip(NEXT) | instid1(VALU_DEP_4)
	v_cndmask_b32_e64 v29, v29, v14, s1
	v_cndmask_b32_e64 v28, v28, 0x102, s1
	s_waitcnt lgkmcnt(0)
	v_cndmask_b32_e64 v31, v30, v6, s1
	s_delay_alu instid0(VALU_DEP_3) | instskip(NEXT) | instid1(VALU_DEP_1)
	v_cmp_gt_f32_e64 s0, v15, v29
	v_cndmask_b32_e64 v28, v28, 0x103, s0
	v_cndmask_b32_e64 v30, v29, v15, s0
	s_delay_alu instid0(VALU_DEP_4) | instskip(NEXT) | instid1(VALU_DEP_3)
	v_cndmask_b32_e64 v29, v31, v7, s0
	v_or_b32_e32 v28, v18, v28
	ds_bpermute_b32 v31, v21, v30
	ds_bpermute_b32 v33, v21, v29
	;; [unrolled: 1-line block ×3, first 2 shown]
	s_waitcnt lgkmcnt(0)
	v_cmp_lt_f32_e64 s3, v30, v31
	v_cmpx_nlt_f32_e32 v30, v31
; %bb.11:                               ;   in Loop: Header=BB227_10 Depth=1
	v_cmp_eq_f32_e64 s0, v30, v31
	v_cmp_lt_i32_e64 s1, v32, v28
	s_delay_alu instid0(VALU_DEP_1) | instskip(SKIP_2) | instid1(SALU_CYCLE_1)
	s_and_b32 s0, s0, s1
	s_and_not1_b32 s1, s3, exec_lo
	s_and_b32 s0, s0, exec_lo
	s_or_b32 s3, s1, s0
; %bb.12:                               ;   in Loop: Header=BB227_10 Depth=1
	s_or_b32 exec_lo, exec_lo, s4
	s_and_saveexec_b32 s0, s3
; %bb.13:                               ;   in Loop: Header=BB227_10 Depth=1
	v_dual_mov_b32 v29, v33 :: v_dual_mov_b32 v30, v31
	v_mov_b32_e32 v28, v32
; %bb.14:                               ;   in Loop: Header=BB227_10 Depth=1
	s_or_b32 exec_lo, exec_lo, s0
	ds_bpermute_b32 v31, v22, v30
	ds_bpermute_b32 v33, v22, v29
	;; [unrolled: 1-line block ×3, first 2 shown]
	s_mov_b32 s4, exec_lo
	s_waitcnt lgkmcnt(2)
	v_cmp_lt_f32_e64 s3, v30, v31
	v_cmpx_nlt_f32_e32 v30, v31
	s_cbranch_execz .LBB227_16
; %bb.15:                               ;   in Loop: Header=BB227_10 Depth=1
	v_cmp_eq_f32_e64 s0, v30, v31
	s_waitcnt lgkmcnt(0)
	v_cmp_lt_i32_e64 s1, v32, v28
	s_delay_alu instid0(VALU_DEP_1) | instskip(SKIP_2) | instid1(SALU_CYCLE_1)
	s_and_b32 s0, s0, s1
	s_and_not1_b32 s1, s3, exec_lo
	s_and_b32 s0, s0, exec_lo
	s_or_b32 s3, s1, s0
.LBB227_16:                             ;   in Loop: Header=BB227_10 Depth=1
	s_or_b32 exec_lo, exec_lo, s4
	s_delay_alu instid0(VALU_DEP_2)
	s_and_saveexec_b32 s0, s3
	s_cbranch_execz .LBB227_18
; %bb.17:                               ;   in Loop: Header=BB227_10 Depth=1
	s_waitcnt lgkmcnt(1)
	v_dual_mov_b32 v29, v33 :: v_dual_mov_b32 v30, v31
	s_waitcnt lgkmcnt(0)
	v_mov_b32_e32 v28, v32
.LBB227_18:                             ;   in Loop: Header=BB227_10 Depth=1
	s_or_b32 exec_lo, exec_lo, s0
	ds_bpermute_b32 v31, v23, v30
	s_waitcnt lgkmcnt(2)
	ds_bpermute_b32 v33, v23, v29
	s_waitcnt lgkmcnt(2)
	ds_bpermute_b32 v32, v23, v28
	s_mov_b32 s4, exec_lo
	s_waitcnt lgkmcnt(2)
	v_cmp_lt_f32_e64 s3, v30, v31
	v_cmpx_nlt_f32_e32 v30, v31
	s_cbranch_execz .LBB227_20
; %bb.19:                               ;   in Loop: Header=BB227_10 Depth=1
	v_cmp_eq_f32_e64 s0, v30, v31
	s_waitcnt lgkmcnt(0)
	v_cmp_lt_i32_e64 s1, v32, v28
	s_delay_alu instid0(VALU_DEP_1) | instskip(SKIP_2) | instid1(SALU_CYCLE_1)
	s_and_b32 s0, s0, s1
	s_and_not1_b32 s1, s3, exec_lo
	s_and_b32 s0, s0, exec_lo
	s_or_b32 s3, s1, s0
.LBB227_20:                             ;   in Loop: Header=BB227_10 Depth=1
	s_or_b32 exec_lo, exec_lo, s4
	s_delay_alu instid0(VALU_DEP_2)
	s_and_saveexec_b32 s0, s3
	s_cbranch_execz .LBB227_22
; %bb.21:                               ;   in Loop: Header=BB227_10 Depth=1
	s_waitcnt lgkmcnt(1)
	v_dual_mov_b32 v29, v33 :: v_dual_mov_b32 v30, v31
	s_waitcnt lgkmcnt(0)
	v_mov_b32_e32 v28, v32
.LBB227_22:                             ;   in Loop: Header=BB227_10 Depth=1
	s_or_b32 exec_lo, exec_lo, s0
	ds_bpermute_b32 v31, v24, v30
	s_waitcnt lgkmcnt(2)
	ds_bpermute_b32 v33, v24, v29
	s_waitcnt lgkmcnt(2)
	ds_bpermute_b32 v32, v24, v28
	;; [unrolled: 31-line block ×3, first 2 shown]
	s_mov_b32 s4, exec_lo
	s_waitcnt lgkmcnt(2)
	v_cmp_lt_f32_e64 s3, v30, v31
	v_cmpx_nlt_f32_e32 v30, v31
	s_cbranch_execz .LBB227_28
; %bb.27:                               ;   in Loop: Header=BB227_10 Depth=1
	v_cmp_eq_f32_e64 s0, v30, v31
	s_waitcnt lgkmcnt(0)
	v_cmp_lt_i32_e64 s1, v32, v28
	s_delay_alu instid0(VALU_DEP_1) | instskip(SKIP_2) | instid1(SALU_CYCLE_1)
	s_and_b32 s0, s0, s1
	s_and_not1_b32 s1, s3, exec_lo
	s_and_b32 s0, s0, exec_lo
	s_or_b32 s3, s1, s0
.LBB227_28:                             ;   in Loop: Header=BB227_10 Depth=1
	s_or_b32 exec_lo, exec_lo, s4
	s_delay_alu instid0(VALU_DEP_2)
	s_and_saveexec_b32 s0, s3
	s_cbranch_execz .LBB227_30
; %bb.29:                               ;   in Loop: Header=BB227_10 Depth=1
	s_waitcnt lgkmcnt(1)
	v_dual_mov_b32 v29, v33 :: v_dual_mov_b32 v30, v31
	s_waitcnt lgkmcnt(0)
	v_mov_b32_e32 v28, v32
.LBB227_30:                             ;   in Loop: Header=BB227_10 Depth=1
	s_or_b32 exec_lo, exec_lo, s0
	s_waitcnt lgkmcnt(1)
	ds_bpermute_b32 v33, v26, v30
	ds_bpermute_b32 v31, v26, v29
	s_waitcnt lgkmcnt(2)
	ds_bpermute_b32 v32, v26, v28
	s_mov_b32 s4, exec_lo
	s_waitcnt lgkmcnt(2)
	v_cmp_lt_f32_e64 s3, v30, v33
	v_cmpx_nlt_f32_e32 v30, v33
	s_cbranch_execnz .LBB227_34
; %bb.31:                               ;   in Loop: Header=BB227_10 Depth=1
	s_or_b32 exec_lo, exec_lo, s4
	s_delay_alu instid0(VALU_DEP_2)
	s_and_saveexec_b32 s0, s3
	s_cbranch_execnz .LBB227_35
.LBB227_32:                             ;   in Loop: Header=BB227_10 Depth=1
	s_or_b32 exec_lo, exec_lo, s0
	s_and_saveexec_b32 s3, s2
	s_cbranch_execnz .LBB227_36
.LBB227_33:                             ;   in Loop: Header=BB227_10 Depth=1
	s_or_b32 exec_lo, exec_lo, s3
	s_add_i32 s6, s6, 1
	s_delay_alu instid0(SALU_CYCLE_1)
	s_cmp_ge_i32 s6, s8
	s_cbranch_scc1 .LBB227_9
	s_branch .LBB227_37
.LBB227_34:                             ;   in Loop: Header=BB227_10 Depth=1
	v_cmp_eq_f32_e64 s0, v30, v33
	s_waitcnt lgkmcnt(0)
	v_cmp_lt_i32_e64 s1, v32, v28
	s_delay_alu instid0(VALU_DEP_1) | instskip(SKIP_2) | instid1(SALU_CYCLE_1)
	s_and_b32 s0, s0, s1
	s_and_not1_b32 s1, s3, exec_lo
	s_and_b32 s0, s0, exec_lo
	s_or_b32 s3, s1, s0
	s_or_b32 exec_lo, exec_lo, s4
	s_and_saveexec_b32 s0, s3
	s_cbranch_execz .LBB227_32
.LBB227_35:                             ;   in Loop: Header=BB227_10 Depth=1
	s_waitcnt lgkmcnt(0)
	v_dual_mov_b32 v28, v32 :: v_dual_mov_b32 v29, v31
	s_or_b32 exec_lo, exec_lo, s0
	s_and_saveexec_b32 s3, s2
	s_cbranch_execz .LBB227_33
.LBB227_36:                             ;   in Loop: Header=BB227_10 Depth=1
	s_delay_alu instid0(VALU_DEP_1)
	v_dual_add_f32 v37, v20, v29 :: v_dual_add_nc_u32 v30, s6, v19
	v_cmp_le_i32_e64 s0, s9, v28
	v_cmp_gt_i32_e64 s1, s10, v28
	s_waitcnt lgkmcnt(0)
	v_subrev_nc_u32_e32 v32, s9, v28
	v_ashrrev_i32_e32 v31, 31, v30
	v_cndmask_b32_e32 v20, v20, v37, vcc_lo
	s_and_b32 s0, s0, s1
	s_delay_alu instid0(SALU_CYCLE_1) | instskip(NEXT) | instid1(VALU_DEP_2)
	s_and_b32 s0, s19, s0
	v_lshlrev_b64 v[30:31], 2, v[30:31]
	v_cndmask_b32_e64 v36, 0x200, v32, s0
	s_delay_alu instid0(VALU_DEP_2) | instskip(NEXT) | instid1(VALU_DEP_1)
	v_add_co_u32 v32, s0, s16, v30
	v_add_co_ci_u32_e64 v33, s0, s17, v31, s0
	v_add_co_u32 v34, s0, s12, v30
	s_delay_alu instid0(VALU_DEP_1) | instskip(SKIP_1) | instid1(VALU_DEP_1)
	v_add_co_ci_u32_e64 v35, s0, s13, v31, s0
	v_add_co_u32 v30, s0, s14, v30
	v_add_co_ci_u32_e64 v31, s0, s15, v31, s0
	global_store_b32 v[32:33], v29, off
	global_store_b32 v[34:35], v36, off
	;; [unrolled: 1-line block ×3, first 2 shown]
	s_or_b32 exec_lo, exec_lo, s3
	s_add_i32 s6, s6, 1
	s_delay_alu instid0(SALU_CYCLE_1)
	s_cmp_ge_i32 s6, s8
	s_cbranch_scc1 .LBB227_9
.LBB227_37:                             ;   in Loop: Header=BB227_10 Depth=1
	v_ashrrev_i32_e32 v29, 31, v28
	s_mov_b32 s1, exec_lo
	s_delay_alu instid0(VALU_DEP_1) | instskip(NEXT) | instid1(VALU_DEP_1)
	v_lshrrev_b32_e32 v30, 30, v29
	v_add_nc_u32_e32 v30, v28, v30
	s_waitcnt lgkmcnt(1)
	s_delay_alu instid0(VALU_DEP_1) | instskip(SKIP_1) | instid1(VALU_DEP_2)
	v_ashrrev_i32_e32 v31, 31, v30
	v_ashrrev_i32_e32 v30, 2, v30
	v_lshrrev_b32_e32 v31, 26, v31
	s_delay_alu instid0(VALU_DEP_1) | instskip(NEXT) | instid1(VALU_DEP_1)
	v_add_nc_u32_e32 v31, v30, v31
	v_and_b32_e32 v31, 0xffffffc0, v31
	s_delay_alu instid0(VALU_DEP_1) | instskip(NEXT) | instid1(VALU_DEP_1)
	v_sub_nc_u32_e32 v31, v30, v31
	v_cmpx_eq_u32_e64 v17, v31
	s_cbranch_execz .LBB227_8
; %bb.38:                               ;   in Loop: Header=BB227_10 Depth=1
	v_lshrrev_b32_e32 v29, 24, v29
	v_lshlrev_b32_e32 v30, 2, v30
	s_delay_alu instid0(VALU_DEP_2) | instskip(NEXT) | instid1(VALU_DEP_2)
	v_add_nc_u32_e32 v29, v28, v29
	v_sub_nc_u32_e32 v28, v28, v30
	s_delay_alu instid0(VALU_DEP_2) | instskip(NEXT) | instid1(VALU_DEP_1)
	v_ashrrev_i32_e32 v29, 8, v29
	v_lshl_add_u32 v28, v29, 2, v28
	s_delay_alu instid0(VALU_DEP_1) | instskip(NEXT) | instid1(VALU_DEP_1)
	v_cmp_ne_u32_e64 s0, 7, v28
	v_cndmask_b32_e64 v15, 0xc61c4000, v15, s0
	v_cmp_ne_u32_e64 s0, 6, v28
	s_delay_alu instid0(VALU_DEP_1) | instskip(SKIP_1) | instid1(VALU_DEP_1)
	v_cndmask_b32_e64 v14, 0xc61c4000, v14, s0
	v_cmp_ne_u32_e64 s0, 5, v28
	v_cndmask_b32_e64 v13, 0xc61c4000, v13, s0
	v_cmp_ne_u32_e64 s0, 4, v28
	s_delay_alu instid0(VALU_DEP_1) | instskip(SKIP_1) | instid1(VALU_DEP_1)
	v_cndmask_b32_e64 v12, 0xc61c4000, v12, s0
	;; [unrolled: 5-line block ×3, first 2 shown]
	v_cmp_ne_u32_e64 s0, 1, v28
	v_cndmask_b32_e64 v9, 0xc61c4000, v9, s0
	v_cmp_ne_u32_e64 s0, 0, v28
	s_delay_alu instid0(VALU_DEP_1)
	v_cndmask_b32_e64 v8, 0xc61c4000, v8, s0
	s_branch .LBB227_8
.LBB227_39:
                                        ; implicit-def: $vgpr8_vgpr9_vgpr10_vgpr11_vgpr12_vgpr13_vgpr14_vgpr15
	s_and_not1_b32 vcc_lo, exec_lo, s9
	s_cbranch_vccz .LBB227_5
	s_branch .LBB227_6
.LBB227_40:
	v_mov_b32_e32 v20, 0
.LBB227_41:
	v_cmp_eq_u32_e64 s0, 0, v17
	s_delay_alu instid0(VALU_DEP_1) | instskip(NEXT) | instid1(SALU_CYCLE_1)
	s_and_b32 s0, s0, vcc_lo
	s_and_b32 exec_lo, exec_lo, s0
	s_cbranch_execz .LBB227_45
; %bb.42:
	s_and_not1_b32 vcc_lo, exec_lo, s5
	s_cbranch_vccnz .LBB227_45
; %bb.43:
	v_mul_lo_u32 v0, v16, s8
	v_cmp_lt_f32_e32 vcc_lo, 0, v20
	v_cndmask_b32_e32 v2, 1.0, v20, vcc_lo
	s_delay_alu instid0(VALU_DEP_3) | instskip(NEXT) | instid1(VALU_DEP_1)
	v_ashrrev_i32_e32 v1, 31, v0
	v_lshlrev_b64 v[0:1], 2, v[0:1]
	s_delay_alu instid0(VALU_DEP_1) | instskip(NEXT) | instid1(VALU_DEP_2)
	v_add_co_u32 v0, vcc_lo, s16, v0
	v_add_co_ci_u32_e32 v1, vcc_lo, s17, v1, vcc_lo
	.p2align	6
.LBB227_44:                             ; =>This Inner Loop Header: Depth=1
	global_load_b32 v3, v[0:1], off
	s_add_i32 s8, s8, -1
	s_delay_alu instid0(SALU_CYCLE_1) | instskip(SKIP_3) | instid1(VALU_DEP_2)
	s_cmp_lg_u32 s8, 0
	s_waitcnt vmcnt(0)
	v_div_scale_f32 v4, null, v2, v2, v3
	v_div_scale_f32 v7, vcc_lo, v3, v2, v3
	v_rcp_f32_e32 v5, v4
	s_waitcnt_depctr 0xfff
	v_fma_f32 v6, -v4, v5, 1.0
	s_delay_alu instid0(VALU_DEP_1) | instskip(NEXT) | instid1(VALU_DEP_1)
	v_fmac_f32_e32 v5, v6, v5
	v_mul_f32_e32 v6, v7, v5
	s_delay_alu instid0(VALU_DEP_1) | instskip(NEXT) | instid1(VALU_DEP_1)
	v_fma_f32 v8, -v4, v6, v7
	v_fmac_f32_e32 v6, v8, v5
	s_delay_alu instid0(VALU_DEP_1) | instskip(NEXT) | instid1(VALU_DEP_1)
	v_fma_f32 v4, -v4, v6, v7
	v_div_fmas_f32 v4, v4, v5, v6
	s_delay_alu instid0(VALU_DEP_1)
	v_div_fixup_f32 v3, v4, v2, v3
	global_store_b32 v[0:1], v3, off
	v_add_co_u32 v0, vcc_lo, v0, 4
	v_add_co_ci_u32_e32 v1, vcc_lo, 0, v1, vcc_lo
	s_cbranch_scc1 .LBB227_44
.LBB227_45:
	s_nop 0
	s_sendmsg sendmsg(MSG_DEALLOC_VGPRS)
	s_endpgm
	.section	.rodata,"a",@progbits
	.p2align	6, 0x0
	.amdhsa_kernel _ZN4vllm3moe10topkGatingILi8ELi512ELi4ELi16ELi64EjfLNS0_11ScoringFuncE1EEEvPKT5_PKbPfiPT4_PiiiibPKf
		.amdhsa_group_segment_fixed_size 0
		.amdhsa_private_segment_fixed_size 0
		.amdhsa_kernarg_size 72
		.amdhsa_user_sgpr_count 15
		.amdhsa_user_sgpr_dispatch_ptr 0
		.amdhsa_user_sgpr_queue_ptr 0
		.amdhsa_user_sgpr_kernarg_segment_ptr 1
		.amdhsa_user_sgpr_dispatch_id 0
		.amdhsa_user_sgpr_private_segment_size 0
		.amdhsa_wavefront_size32 1
		.amdhsa_uses_dynamic_stack 0
		.amdhsa_enable_private_segment 0
		.amdhsa_system_sgpr_workgroup_id_x 1
		.amdhsa_system_sgpr_workgroup_id_y 0
		.amdhsa_system_sgpr_workgroup_id_z 0
		.amdhsa_system_sgpr_workgroup_info 0
		.amdhsa_system_vgpr_workitem_id 1
		.amdhsa_next_free_vgpr 51
		.amdhsa_next_free_sgpr 20
		.amdhsa_reserve_vcc 1
		.amdhsa_float_round_mode_32 0
		.amdhsa_float_round_mode_16_64 0
		.amdhsa_float_denorm_mode_32 3
		.amdhsa_float_denorm_mode_16_64 3
		.amdhsa_dx10_clamp 1
		.amdhsa_ieee_mode 1
		.amdhsa_fp16_overflow 0
		.amdhsa_workgroup_processor_mode 1
		.amdhsa_memory_ordered 1
		.amdhsa_forward_progress 0
		.amdhsa_shared_vgpr_count 0
		.amdhsa_exception_fp_ieee_invalid_op 0
		.amdhsa_exception_fp_denorm_src 0
		.amdhsa_exception_fp_ieee_div_zero 0
		.amdhsa_exception_fp_ieee_overflow 0
		.amdhsa_exception_fp_ieee_underflow 0
		.amdhsa_exception_fp_ieee_inexact 0
		.amdhsa_exception_int_div_zero 0
	.end_amdhsa_kernel
	.section	.text._ZN4vllm3moe10topkGatingILi8ELi512ELi4ELi16ELi64EjfLNS0_11ScoringFuncE1EEEvPKT5_PKbPfiPT4_PiiiibPKf,"axG",@progbits,_ZN4vllm3moe10topkGatingILi8ELi512ELi4ELi16ELi64EjfLNS0_11ScoringFuncE1EEEvPKT5_PKbPfiPT4_PiiiibPKf,comdat
.Lfunc_end227:
	.size	_ZN4vllm3moe10topkGatingILi8ELi512ELi4ELi16ELi64EjfLNS0_11ScoringFuncE1EEEvPKT5_PKbPfiPT4_PiiiibPKf, .Lfunc_end227-_ZN4vllm3moe10topkGatingILi8ELi512ELi4ELi16ELi64EjfLNS0_11ScoringFuncE1EEEvPKT5_PKbPfiPT4_PiiiibPKf
                                        ; -- End function
	.section	.AMDGPU.csdata,"",@progbits
; Kernel info:
; codeLenInByte = 3384
; NumSgprs: 22
; NumVgprs: 51
; ScratchSize: 0
; MemoryBound: 0
; FloatMode: 240
; IeeeMode: 1
; LDSByteSize: 0 bytes/workgroup (compile time only)
; SGPRBlocks: 2
; VGPRBlocks: 6
; NumSGPRsForWavesPerEU: 22
; NumVGPRsForWavesPerEU: 51
; Occupancy: 16
; WaveLimiterHint : 1
; COMPUTE_PGM_RSRC2:SCRATCH_EN: 0
; COMPUTE_PGM_RSRC2:USER_SGPR: 15
; COMPUTE_PGM_RSRC2:TRAP_HANDLER: 0
; COMPUTE_PGM_RSRC2:TGID_X_EN: 1
; COMPUTE_PGM_RSRC2:TGID_Y_EN: 0
; COMPUTE_PGM_RSRC2:TGID_Z_EN: 0
; COMPUTE_PGM_RSRC2:TIDIG_COMP_CNT: 1
	.section	.text._ZN4vllm3moe10topkGatingILi16ELi512ELi4ELi16ELi32EjfLNS0_11ScoringFuncE1EEEvPKT5_PKbPfiPT4_PiiiibPKf,"axG",@progbits,_ZN4vllm3moe10topkGatingILi16ELi512ELi4ELi16ELi32EjfLNS0_11ScoringFuncE1EEEvPKT5_PKbPfiPT4_PiiiibPKf,comdat
	.protected	_ZN4vllm3moe10topkGatingILi16ELi512ELi4ELi16ELi32EjfLNS0_11ScoringFuncE1EEEvPKT5_PKbPfiPT4_PiiiibPKf ; -- Begin function _ZN4vllm3moe10topkGatingILi16ELi512ELi4ELi16ELi32EjfLNS0_11ScoringFuncE1EEEvPKT5_PKbPfiPT4_PiiiibPKf
	.globl	_ZN4vllm3moe10topkGatingILi16ELi512ELi4ELi16ELi32EjfLNS0_11ScoringFuncE1EEEvPKT5_PKbPfiPT4_PiiiibPKf
	.p2align	8
	.type	_ZN4vllm3moe10topkGatingILi16ELi512ELi4ELi16ELi32EjfLNS0_11ScoringFuncE1EEEvPKT5_PKbPfiPT4_PiiiibPKf,@function
_ZN4vllm3moe10topkGatingILi16ELi512ELi4ELi16ELi32EjfLNS0_11ScoringFuncE1EEEvPKT5_PKbPfiPT4_PiiiibPKf: ; @_ZN4vllm3moe10topkGatingILi16ELi512ELi4ELi16ELi32EjfLNS0_11ScoringFuncE1EEEvPKT5_PKbPfiPT4_PiiiibPKf
; %bb.0:
	s_load_b32 s22, s[0:1], 0x18
	v_and_b32_e32 v1, 0x3ff, v0
	v_bfe_u32 v0, v0, 10, 10
	s_lshl_b32 s2, s15, 2
	s_delay_alu instid0(VALU_DEP_2) | instskip(NEXT) | instid1(VALU_DEP_1)
	v_lshrrev_b32_e32 v2, 5, v1
	v_add3_u32 v32, s2, v0, v2
	s_mov_b32 s2, exec_lo
	s_waitcnt lgkmcnt(0)
	s_delay_alu instid0(VALU_DEP_1)
	v_cmpx_gt_i32_e64 s22, v32
	s_cbranch_execz .LBB228_41
; %bb.1:
	s_clause 0x1
	s_load_b128 s[4:7], s[0:1], 0x0
	s_load_b64 s[20:21], s[0:1], 0x10
	s_mov_b32 s17, -1
	s_mov_b32 s23, -1
	s_waitcnt lgkmcnt(0)
	s_cmp_eq_u64 s[6:7], 0
	s_cbranch_scc1 .LBB228_3
; %bb.2:
	v_ashrrev_i32_e32 v0, 31, v32
	v_add_co_u32 v2, vcc_lo, s6, v32
	s_delay_alu instid0(VALU_DEP_2) | instskip(SKIP_3) | instid1(VALU_DEP_1)
	v_add_co_ci_u32_e32 v3, vcc_lo, s7, v0, vcc_lo
	global_load_u8 v0, v[2:3], off
	s_waitcnt vmcnt(0)
	v_and_b32_e32 v0, 1, v0
	v_cmp_eq_u32_e32 vcc_lo, 1, v0
	s_xor_b32 s2, vcc_lo, -1
	s_delay_alu instid0(SALU_CYCLE_1)
	s_or_not1_b32 s23, s2, exec_lo
.LBB228_3:
	v_lshlrev_b32_e32 v2, 9, v32
	v_and_b32_e32 v33, 31, v1
	s_load_b64 s[18:19], s[0:1], 0x40
	s_delay_alu instid0(VALU_DEP_2) | instskip(NEXT) | instid1(VALU_DEP_1)
	v_ashrrev_i32_e32 v3, 31, v2
	v_lshlrev_b64 v[0:1], 2, v[2:3]
	s_delay_alu instid0(VALU_DEP_3) | instskip(NEXT) | instid1(VALU_DEP_2)
	v_lshlrev_b32_e32 v2, 4, v33
	v_add_co_u32 v0, vcc_lo, s4, v0
	s_delay_alu instid0(VALU_DEP_3) | instskip(NEXT) | instid1(VALU_DEP_2)
	v_add_co_ci_u32_e32 v1, vcc_lo, s5, v1, vcc_lo
	v_add_co_u32 v12, vcc_lo, v0, v2
	s_delay_alu instid0(VALU_DEP_2)
	v_add_co_ci_u32_e32 v13, vcc_lo, 0, v1, vcc_lo
	s_waitcnt lgkmcnt(0)
	s_cmp_eq_u64 s[18:19], 0
	s_clause 0x3
	global_load_b128 v[0:3], v[12:13], off
	global_load_b128 v[4:7], v[12:13], off offset:512
	global_load_b128 v[8:11], v[12:13], off offset:1024
	;; [unrolled: 1-line block ×3, first 2 shown]
	s_waitcnt vmcnt(3)
	v_dual_mul_f32 v3, 0xbfb8aa3b, v3 :: v_dual_mul_f32 v0, 0xbfb8aa3b, v0
	v_dual_mul_f32 v1, 0xbfb8aa3b, v1 :: v_dual_mul_f32 v2, 0xbfb8aa3b, v2
	s_waitcnt vmcnt(1)
	v_dual_mul_f32 v5, 0xbfb8aa3b, v5 :: v_dual_mul_f32 v8, 0xbfb8aa3b, v8
	s_waitcnt vmcnt(0)
	v_mul_f32_e32 v13, 0xbfb8aa3b, v13
	v_exp_f32_e32 v0, v0
	v_dual_mul_f32 v4, 0xbfb8aa3b, v4 :: v_dual_mul_f32 v9, 0xbfb8aa3b, v9
	v_exp_f32_e32 v1, v1
	v_dual_mul_f32 v7, 0xbfb8aa3b, v7 :: v_dual_lshlrev_b32 v34, 2, v33
	v_dual_mul_f32 v10, 0xbfb8aa3b, v10 :: v_dual_mul_f32 v15, 0xbfb8aa3b, v15
	v_exp_f32_e32 v2, v2
	v_exp_f32_e32 v5, v5
	;; [unrolled: 1-line block ×4, first 2 shown]
	v_dual_mul_f32 v6, 0xbfb8aa3b, v6 :: v_dual_mul_f32 v11, 0xbfb8aa3b, v11
	v_exp_f32_e32 v3, v3
	v_exp_f32_e32 v4, v4
	;; [unrolled: 1-line block ×5, first 2 shown]
	v_dual_add_f32 v0, 1.0, v0 :: v_dual_add_f32 v5, 1.0, v5
	v_exp_f32_e32 v6, v6
	v_dual_mul_f32 v12, 0xbfb8aa3b, v12 :: v_dual_add_f32 v1, 1.0, v1
	v_exp_f32_e32 v9, v9
	v_dual_add_f32 v2, 1.0, v2 :: v_dual_add_f32 v7, 1.0, v7
	v_dual_add_f32 v8, 1.0, v8 :: v_dual_add_f32 v13, 1.0, v13
	v_div_scale_f32 v16, null, v0, v0, 1.0
	v_dual_mul_f32 v14, 0xbfb8aa3b, v14 :: v_dual_add_f32 v3, 1.0, v3
	v_exp_f32_e32 v11, v11
	s_waitcnt_depctr 0xfff
	v_dual_add_f32 v4, 1.0, v4 :: v_dual_add_f32 v9, 1.0, v9
	v_div_scale_f32 v18, null, v1, v1, 1.0
	v_dual_add_f32 v10, 1.0, v10 :: v_dual_add_f32 v15, 1.0, v15
	v_div_scale_f32 v20, null, v2, v2, 1.0
	v_div_scale_f32 v45, null, v13, v13, 1.0
	v_rcp_f32_e32 v51, v16
	v_dual_add_f32 v6, 1.0, v6 :: v_dual_add_f32 v11, 1.0, v11
	v_div_scale_f32 v22, null, v3, v3, 1.0
	v_div_scale_f32 v24, null, v4, v4, 1.0
	v_rcp_f32_e32 v52, v18
	v_div_scale_f32 v49, null, v15, v15, 1.0
	v_rcp_f32_e32 v53, v20
	v_exp_f32_e32 v12, v12
	v_div_scale_f32 v26, null, v5, v5, 1.0
	v_rcp_f32_e32 v64, v45
	v_div_scale_f32 v28, null, v6, v6, 1.0
	v_rcp_f32_e32 v54, v22
	v_rcp_f32_e32 v55, v24
	v_exp_f32_e32 v14, v14
	v_rcp_f32_e32 v66, v49
	v_div_scale_f32 v35, null, v8, v8, 1.0
	v_rcp_f32_e32 v56, v26
	v_fma_f32 v67, -v16, v51, 1.0
	v_rcp_f32_e32 v57, v28
	v_fma_f32 v68, -v18, v52, 1.0
	v_fma_f32 v69, -v20, v53, 1.0
	s_delay_alu instid0(VALU_DEP_3)
	v_dual_add_f32 v12, 1.0, v12 :: v_dual_fmac_f32 v51, v67, v51
	v_div_scale_f32 v17, vcc_lo, 1.0, v0, 1.0
	v_rcp_f32_e32 v59, v35
	v_fma_f32 v80, -v45, v64, 1.0
	v_fma_f32 v70, -v22, v54, 1.0
	v_div_scale_f32 v19, s2, 1.0, v1, 1.0
	v_fma_f32 v71, -v24, v55, 1.0
	v_fmac_f32_e32 v52, v68, v52
	v_dual_add_f32 v14, 1.0, v14 :: v_dual_fmac_f32 v53, v69, v53
	v_div_scale_f32 v21, s3, 1.0, v2, 1.0
	v_div_scale_f32 v30, null, v7, v7, 1.0
	v_fma_f32 v82, -v49, v66, 1.0
	v_fma_f32 v72, -v26, v56, 1.0
	v_dual_fmac_f32 v64, v80, v64 :: v_dual_mul_f32 v67, v17, v51
	v_div_scale_f32 v23, s4, 1.0, v3, 1.0
	v_fma_f32 v73, -v28, v57, 1.0
	v_fmac_f32_e32 v54, v70, v54
	v_div_scale_f32 v25, s5, 1.0, v4, 1.0
	v_fmac_f32_e32 v55, v71, v55
	s_delay_alu instid0(VALU_DEP_4) | instskip(SKIP_1) | instid1(VALU_DEP_3)
	v_dual_fmac_f32 v57, v73, v57 :: v_dual_mul_f32 v68, v19, v52
	v_div_scale_f32 v39, null, v10, v10, 1.0
	v_mul_f32_e32 v71, v25, v55
	v_rcp_f32_e32 v58, v30
	v_dual_fmac_f32 v66, v82, v66 :: v_dual_mul_f32 v69, v21, v53
	v_div_scale_f32 v27, s6, 1.0, v5, 1.0
	v_div_scale_f32 v46, s14, 1.0, v13, 1.0
	v_fma_f32 v75, -v35, v59, 1.0
	v_fmac_f32_e32 v56, v72, v56
	v_fma_f32 v83, -v16, v67, v17
	v_div_scale_f32 v29, s7, 1.0, v6, 1.0
	s_delay_alu instid0(VALU_DEP_4) | instskip(SKIP_2) | instid1(VALU_DEP_4)
	v_fmac_f32_e32 v59, v75, v59
	v_mul_f32_e32 v70, v23, v54
	v_fma_f32 v84, -v18, v68, v19
	v_mul_f32_e32 v73, v29, v57
	v_div_scale_f32 v50, s16, 1.0, v15, 1.0
	v_rcp_f32_e32 v61, v39
	v_fma_f32 v85, -v20, v69, v21
	v_div_scale_f32 v36, s9, 1.0, v8, 1.0
	v_mul_f32_e32 v72, v27, v56
	v_dual_mul_f32 v80, v46, v64 :: v_dual_fmac_f32 v67, v83, v51
	v_fma_f32 v86, -v22, v70, v23
	v_fma_f32 v87, -v24, v71, v25
	v_fmac_f32_e32 v68, v84, v52
	v_div_scale_f32 v37, null, v9, v9, 1.0
	v_fma_f32 v74, -v30, v58, 1.0
	s_delay_alu instid0(VALU_DEP_4)
	v_dual_fmac_f32 v71, v87, v55 :: v_dual_mul_f32 v82, v50, v66
	v_fmac_f32_e32 v69, v85, v53
	v_mul_f32_e32 v75, v36, v59
	v_fma_f32 v88, -v26, v72, v27
	v_fma_f32 v16, -v16, v67, v17
	;; [unrolled: 1-line block ×3, first 2 shown]
	v_fmac_f32_e32 v70, v86, v54
	v_fma_f32 v17, -v18, v68, v19
	v_div_scale_f32 v43, null, v12, v12, 1.0
	s_delay_alu instid0(VALU_DEP_4)
	v_fmac_f32_e32 v73, v89, v57
	v_rcp_f32_e32 v60, v37
	v_div_scale_f32 v31, s8, 1.0, v7, 1.0
	v_fma_f32 v77, -v39, v61, 1.0
	v_fmac_f32_e32 v58, v74, v58
	v_fma_f32 v18, -v20, v69, v21
	v_fma_f32 v91, -v35, v75, v36
	v_fmac_f32_e32 v72, v88, v56
	v_div_fmas_f32 v16, v16, v51, v67
	s_mov_b32 vcc_lo, s2
	v_fma_f32 v19, -v22, v70, v23
	v_fmac_f32_e32 v75, v91, v59
	v_div_fmas_f32 v17, v17, v52, v68
	s_mov_b32 vcc_lo, s3
	v_rcp_f32_e32 v63, v43
	v_fma_f32 v20, -v24, v71, v25
	v_div_scale_f32 v40, s11, 1.0, v10, 1.0
	v_dual_fmac_f32 v61, v77, v61 :: v_dual_mul_f32 v74, v31, v58
	v_div_fmas_f32 v18, v18, v53, v69
	s_mov_b32 vcc_lo, s4
	v_fma_f32 v21, -v26, v72, v27
	s_delay_alu instid0(VALU_DEP_3)
	v_mul_f32_e32 v77, v40, v61
	v_div_fixup_f32 v0, v16, v0, 1.0
	v_div_fmas_f32 v16, v19, v54, v70
	s_mov_b32 vcc_lo, s5
	v_div_scale_f32 v41, null, v11, v11, 1.0
	v_fma_f32 v76, -v37, v60, 1.0
	v_div_fixup_f32 v1, v17, v1, 1.0
	v_div_fmas_f32 v17, v20, v55, v71
	s_mov_b32 vcc_lo, s6
	v_fma_f32 v90, -v30, v74, v31
	v_div_fixup_f32 v2, v18, v2, 1.0
	v_div_fmas_f32 v18, v21, v56, v72
	v_cmp_class_f32_e64 vcc_lo, v0, 0x1f8
	v_div_scale_f32 v47, null, v14, v14, 1.0
	v_rcp_f32_e32 v62, v41
	v_fma_f32 v22, -v28, v73, v29
	v_div_scale_f32 v38, s10, 1.0, v9, 1.0
	v_fma_f32 v79, -v43, v63, 1.0
	v_fmac_f32_e32 v60, v76, v60
	v_fma_f32 v84, -v39, v77, v40
	v_fmac_f32_e32 v74, v90, v58
	v_div_fixup_f32 v5, v18, v5, 1.0
	v_cndmask_b32_e32 v0, 0, v0, vcc_lo
	s_mov_b32 vcc_lo, s7
	v_rcp_f32_e32 v65, v47
	v_fma_f32 v87, -v45, v80, v46
	v_div_fixup_f32 v3, v16, v3, 1.0
	v_div_fmas_f32 v16, v22, v57, v73
	v_cmp_class_f32_e64 vcc_lo, v1, 0x1f8
	v_div_scale_f32 v44, s13, 1.0, v12, 1.0
	v_dual_fmac_f32 v63, v79, v63 :: v_dual_mul_f32 v76, v38, v60
	v_fmac_f32_e32 v77, v84, v61
	v_fma_f32 v23, -v30, v74, v31
	v_fma_f32 v78, -v41, v62, 1.0
	s_delay_alu instid0(VALU_DEP_4)
	v_dual_mul_f32 v79, v44, v63 :: v_dual_fmac_f32 v80, v87, v64
	v_cndmask_b32_e32 v1, 0, v1, vcc_lo
	s_mov_b32 vcc_lo, s8
	v_fma_f32 v83, -v37, v76, v38
	v_div_fixup_f32 v4, v17, v4, 1.0
	v_div_fmas_f32 v17, v23, v58, v74
	v_cmp_class_f32_e64 vcc_lo, v2, 0x1f8
	v_fma_f32 v24, -v35, v75, v36
	v_div_scale_f32 v42, s12, 1.0, v11, 1.0
	v_fma_f32 v81, -v47, v65, 1.0
	v_fmac_f32_e32 v62, v78, v62
	v_fma_f32 v86, -v43, v79, v44
	v_fmac_f32_e32 v76, v83, v60
	v_div_fixup_f32 v7, v17, v7, 1.0
	v_cndmask_b32_e32 v2, 0, v2, vcc_lo
	s_mov_b32 vcc_lo, s9
	v_fma_f32 v89, -v49, v82, v50
	v_div_fmas_f32 v18, v24, v59, v75
	v_cmp_class_f32_e64 vcc_lo, v3, 0x1f8
	v_div_scale_f32 v48, s15, 1.0, v14, 1.0
	v_dual_fmac_f32 v65, v81, v65 :: v_dual_mul_f32 v78, v42, v62
	v_fmac_f32_e32 v79, v86, v63
	v_fma_f32 v25, -v37, v76, v38
	v_dual_fmac_f32 v82, v89, v66 :: v_dual_cndmask_b32 v3, 0, v3
	s_mov_b32 vcc_lo, s10
	v_mul_f32_e32 v81, v48, v65
	v_fma_f32 v85, -v41, v78, v42
	v_div_fixup_f32 v6, v16, v6, 1.0
	v_div_fmas_f32 v16, v25, v60, v76
	v_cmp_class_f32_e64 vcc_lo, v4, 0x1f8
	v_fma_f32 v26, -v39, v77, v40
	v_fma_f32 v88, -v47, v81, v48
	v_fmac_f32_e32 v78, v85, v62
	v_div_fixup_f32 v9, v16, v9, 1.0
	v_cndmask_b32_e32 v4, 0, v4, vcc_lo
	s_mov_b32 vcc_lo, s11
	v_fmac_f32_e32 v81, v88, v65
	v_div_fmas_f32 v17, v26, v61, v77
	v_cmp_class_f32_e64 vcc_lo, v5, 0x1f8
	v_fma_f32 v27, -v41, v78, v42
	v_div_fixup_f32 v8, v18, v8, 1.0
	v_fma_f32 v28, -v43, v79, v44
	v_fma_f32 v29, -v45, v80, v46
	v_cndmask_b32_e32 v5, 0, v5, vcc_lo
	s_mov_b32 vcc_lo, s12
	v_div_fixup_f32 v10, v17, v10, 1.0
	v_div_fmas_f32 v18, v27, v62, v78
	v_cmp_class_f32_e64 vcc_lo, v6, 0x1f8
	v_fma_f32 v30, -v47, v81, v48
	v_fma_f32 v31, -v49, v82, v50
	s_delay_alu instid0(VALU_DEP_4) | instskip(SKIP_4) | instid1(VALU_DEP_2)
	v_div_fixup_f32 v11, v18, v11, 1.0
	v_cndmask_b32_e32 v6, 0, v6, vcc_lo
	s_mov_b32 vcc_lo, s13
	v_div_fmas_f32 v16, v28, v63, v79
	v_cmp_class_f32_e64 vcc_lo, v7, 0x1f8
	v_div_fixup_f32 v12, v16, v12, 1.0
	v_cndmask_b32_e32 v7, 0, v7, vcc_lo
	s_mov_b32 vcc_lo, s14
	v_div_fmas_f32 v17, v29, v64, v80
	v_cmp_class_f32_e64 vcc_lo, v8, 0x1f8
	s_delay_alu instid0(VALU_DEP_2) | instskip(SKIP_4) | instid1(VALU_DEP_2)
	v_div_fixup_f32 v13, v17, v13, 1.0
	v_cndmask_b32_e32 v8, 0, v8, vcc_lo
	s_mov_b32 vcc_lo, s15
	v_div_fmas_f32 v18, v30, v65, v81
	v_cmp_class_f32_e64 vcc_lo, v9, 0x1f8
	v_div_fixup_f32 v14, v18, v14, 1.0
	v_cndmask_b32_e32 v9, 0, v9, vcc_lo
	s_mov_b32 vcc_lo, s16
	v_div_fmas_f32 v16, v31, v66, v82
	v_cmp_class_f32_e64 vcc_lo, v10, 0x1f8
	s_delay_alu instid0(VALU_DEP_2)
	v_div_fixup_f32 v15, v16, v15, 1.0
	v_cndmask_b32_e32 v10, 0, v10, vcc_lo
	v_cmp_class_f32_e64 vcc_lo, v11, 0x1f8
	v_cndmask_b32_e32 v11, 0, v11, vcc_lo
	v_cmp_class_f32_e64 vcc_lo, v12, 0x1f8
	v_cndmask_b32_e32 v12, 0, v12, vcc_lo
	v_cmp_class_f32_e64 vcc_lo, v13, 0x1f8
	v_cndmask_b32_e32 v13, 0, v13, vcc_lo
	v_cmp_class_f32_e64 vcc_lo, v14, 0x1f8
	v_cndmask_b32_e32 v14, 0, v14, vcc_lo
	v_cmp_class_f32_e64 vcc_lo, v15, 0x1f8
	v_cndmask_b32_e32 v15, 0, v15, vcc_lo
	s_cbranch_scc1 .LBB228_35
; %bb.4:
	v_lshlrev_b32_e32 v28, 2, v34
	s_clause 0x3
	global_load_b128 v[16:19], v28, s[18:19]
	global_load_b128 v[20:23], v28, s[18:19] offset:512
	global_load_b128 v[24:27], v28, s[18:19] offset:1024
	;; [unrolled: 1-line block ×3, first 2 shown]
	s_waitcnt vmcnt(3)
	v_dual_add_f32 v17, v17, v1 :: v_dual_add_f32 v16, v16, v0
	v_dual_add_f32 v19, v19, v3 :: v_dual_add_f32 v18, v18, v2
	s_waitcnt vmcnt(2)
	v_dual_add_f32 v21, v21, v5 :: v_dual_add_f32 v20, v20, v4
	v_dual_add_f32 v23, v23, v7 :: v_dual_add_f32 v22, v22, v6
	;; [unrolled: 3-line block ×4, first 2 shown]
	s_cbranch_execnz .LBB228_6
.LBB228_5:
	v_dual_mov_b32 v31, v15 :: v_dual_mov_b32 v30, v14
	v_dual_mov_b32 v29, v13 :: v_dual_mov_b32 v28, v12
	;; [unrolled: 1-line block ×8, first 2 shown]
.LBB228_6:
	s_load_b128 s[12:15], s[0:1], 0x30
	v_cmp_eq_u32_e64 s2, 0, v33
	s_mov_b32 s10, 0
	s_waitcnt lgkmcnt(0)
	s_bitcmp1_b32 s15, 0
	s_cselect_b32 vcc_lo, -1, 0
	s_cmp_gt_i32 s12, 0
	s_cselect_b32 s9, -1, 0
	s_cmp_lt_i32 s12, 1
	s_cbranch_scc1 .LBB228_36
; %bb.7:
	v_mbcnt_lo_u32_b32 v36, -1, 0
	s_load_b128 s[16:19], s[0:1], 0x20
	v_mul_lo_u32 v35, v32, s12
	v_mov_b32_e32 v42, v32
	s_delay_alu instid0(VALU_DEP_3)
	v_xor_b32_e32 v37, 16, v36
	v_xor_b32_e32 v38, 8, v36
	;; [unrolled: 1-line block ×5, first 2 shown]
	v_cmp_gt_i32_e64 s0, 32, v37
	s_delay_alu instid0(VALU_DEP_1) | instskip(SKIP_1) | instid1(VALU_DEP_2)
	v_cndmask_b32_e64 v37, v36, v37, s0
	v_cmp_gt_i32_e64 s0, 32, v38
	v_lshlrev_b32_e32 v37, 2, v37
	s_delay_alu instid0(VALU_DEP_2) | instskip(SKIP_1) | instid1(VALU_DEP_2)
	v_cndmask_b32_e64 v38, v36, v38, s0
	v_cmp_gt_i32_e64 s0, 32, v39
	v_lshlrev_b32_e32 v38, 2, v38
	s_delay_alu instid0(VALU_DEP_2) | instskip(SKIP_1) | instid1(VALU_DEP_2)
	;; [unrolled: 4-line block ×3, first 2 shown]
	v_cndmask_b32_e64 v40, v36, v40, s0
	v_cmp_gt_i32_e64 s0, 32, v41
	v_lshlrev_b32_e32 v40, 2, v40
	s_delay_alu instid0(VALU_DEP_2) | instskip(NEXT) | instid1(VALU_DEP_1)
	v_cndmask_b32_e64 v36, v36, v41, s0
	v_dual_mov_b32 v36, 0 :: v_dual_lshlrev_b32 v41, 2, v36
	s_branch .LBB228_10
.LBB228_8:                              ;   in Loop: Header=BB228_10 Depth=1
	s_or_b32 exec_lo, exec_lo, s1
.LBB228_9:                              ;   in Loop: Header=BB228_10 Depth=1
	v_add_nc_u32_e32 v42, s22, v42
	s_cmp_eq_u32 s12, s10
	s_cbranch_scc1 .LBB228_37
.LBB228_10:                             ; =>This Inner Loop Header: Depth=1
	v_cmp_gt_f32_e64 s0, v17, v16
	s_delay_alu instid0(VALU_DEP_1) | instskip(SKIP_2) | instid1(VALU_DEP_3)
	v_cndmask_b32_e64 v44, v16, v17, s0
	v_cndmask_b32_e64 v43, 0, 1, s0
	;; [unrolled: 1-line block ×3, first 2 shown]
	v_cmp_gt_f32_e64 s1, v18, v44
	s_delay_alu instid0(VALU_DEP_1) | instskip(NEXT) | instid1(VALU_DEP_4)
	v_cndmask_b32_e64 v44, v44, v18, s1
	v_cndmask_b32_e64 v43, v43, 2, s1
	s_delay_alu instid0(VALU_DEP_4) | instskip(NEXT) | instid1(VALU_DEP_3)
	v_cndmask_b32_e64 v45, v45, v2, s1
	v_cmp_gt_f32_e64 s3, v19, v44
	s_delay_alu instid0(VALU_DEP_1) | instskip(NEXT) | instid1(VALU_DEP_4)
	v_cndmask_b32_e64 v44, v44, v19, s3
	v_cndmask_b32_e64 v43, v43, 3, s3
	s_delay_alu instid0(VALU_DEP_4) | instskip(NEXT) | instid1(VALU_DEP_3)
	v_cndmask_b32_e64 v45, v45, v3, s3
	;; [unrolled: 6-line block ×10, first 2 shown]
	v_cmp_gt_f32_e64 s4, v28, v44
	s_delay_alu instid0(VALU_DEP_1) | instskip(NEXT) | instid1(VALU_DEP_4)
	v_cndmask_b32_e64 v44, v44, v28, s4
	v_cndmask_b32_e64 v43, v43, 0x180, s4
	s_delay_alu instid0(VALU_DEP_4) | instskip(SKIP_1) | instid1(VALU_DEP_3)
	v_cndmask_b32_e64 v45, v45, v12, s4
	s_mov_b32 s4, exec_lo
	v_cmp_gt_f32_e64 s0, v29, v44
	s_delay_alu instid0(VALU_DEP_1) | instskip(SKIP_2) | instid1(VALU_DEP_3)
	v_cndmask_b32_e64 v44, v44, v29, s0
	v_cndmask_b32_e64 v43, v43, 0x181, s0
	v_cndmask_b32_e64 v45, v45, v13, s0
	v_cmp_gt_f32_e64 s1, v30, v44
	s_delay_alu instid0(VALU_DEP_1) | instskip(NEXT) | instid1(VALU_DEP_4)
	v_cndmask_b32_e64 v44, v44, v30, s1
	v_cndmask_b32_e64 v43, v43, 0x182, s1
	s_waitcnt lgkmcnt(0)
	v_cndmask_b32_e64 v46, v45, v14, s1
	s_delay_alu instid0(VALU_DEP_3) | instskip(NEXT) | instid1(VALU_DEP_1)
	v_cmp_gt_f32_e64 s0, v31, v44
	v_cndmask_b32_e64 v43, v43, 0x183, s0
	v_cndmask_b32_e64 v45, v44, v31, s0
	s_delay_alu instid0(VALU_DEP_4) | instskip(NEXT) | instid1(VALU_DEP_3)
	v_cndmask_b32_e64 v44, v46, v15, s0
	v_or_b32_e32 v43, v34, v43
	ds_bpermute_b32 v46, v37, v45
	ds_bpermute_b32 v48, v37, v44
	;; [unrolled: 1-line block ×3, first 2 shown]
	s_waitcnt lgkmcnt(0)
	v_cmp_lt_f32_e64 s3, v45, v46
	v_cmpx_nlt_f32_e32 v45, v46
; %bb.11:                               ;   in Loop: Header=BB228_10 Depth=1
	v_cmp_eq_f32_e64 s0, v45, v46
	v_cmp_lt_i32_e64 s1, v47, v43
	s_delay_alu instid0(VALU_DEP_1) | instskip(SKIP_2) | instid1(SALU_CYCLE_1)
	s_and_b32 s0, s0, s1
	s_and_not1_b32 s1, s3, exec_lo
	s_and_b32 s0, s0, exec_lo
	s_or_b32 s3, s1, s0
; %bb.12:                               ;   in Loop: Header=BB228_10 Depth=1
	s_or_b32 exec_lo, exec_lo, s4
	s_and_saveexec_b32 s0, s3
; %bb.13:                               ;   in Loop: Header=BB228_10 Depth=1
	v_dual_mov_b32 v44, v48 :: v_dual_mov_b32 v45, v46
	v_mov_b32_e32 v43, v47
; %bb.14:                               ;   in Loop: Header=BB228_10 Depth=1
	s_or_b32 exec_lo, exec_lo, s0
	ds_bpermute_b32 v46, v38, v45
	ds_bpermute_b32 v48, v38, v44
	;; [unrolled: 1-line block ×3, first 2 shown]
	s_mov_b32 s4, exec_lo
	s_waitcnt lgkmcnt(2)
	v_cmp_lt_f32_e64 s3, v45, v46
	v_cmpx_nlt_f32_e32 v45, v46
	s_cbranch_execz .LBB228_16
; %bb.15:                               ;   in Loop: Header=BB228_10 Depth=1
	v_cmp_eq_f32_e64 s0, v45, v46
	s_waitcnt lgkmcnt(0)
	v_cmp_lt_i32_e64 s1, v47, v43
	s_delay_alu instid0(VALU_DEP_1) | instskip(SKIP_2) | instid1(SALU_CYCLE_1)
	s_and_b32 s0, s0, s1
	s_and_not1_b32 s1, s3, exec_lo
	s_and_b32 s0, s0, exec_lo
	s_or_b32 s3, s1, s0
.LBB228_16:                             ;   in Loop: Header=BB228_10 Depth=1
	s_or_b32 exec_lo, exec_lo, s4
	s_delay_alu instid0(VALU_DEP_2)
	s_and_saveexec_b32 s0, s3
	s_cbranch_execz .LBB228_18
; %bb.17:                               ;   in Loop: Header=BB228_10 Depth=1
	s_waitcnt lgkmcnt(1)
	v_dual_mov_b32 v44, v48 :: v_dual_mov_b32 v45, v46
	s_waitcnt lgkmcnt(0)
	v_mov_b32_e32 v43, v47
.LBB228_18:                             ;   in Loop: Header=BB228_10 Depth=1
	s_or_b32 exec_lo, exec_lo, s0
	ds_bpermute_b32 v46, v39, v45
	s_waitcnt lgkmcnt(2)
	ds_bpermute_b32 v48, v39, v44
	s_waitcnt lgkmcnt(2)
	ds_bpermute_b32 v47, v39, v43
	s_mov_b32 s4, exec_lo
	s_waitcnt lgkmcnt(2)
	v_cmp_lt_f32_e64 s3, v45, v46
	v_cmpx_nlt_f32_e32 v45, v46
	s_cbranch_execz .LBB228_20
; %bb.19:                               ;   in Loop: Header=BB228_10 Depth=1
	v_cmp_eq_f32_e64 s0, v45, v46
	s_waitcnt lgkmcnt(0)
	v_cmp_lt_i32_e64 s1, v47, v43
	s_delay_alu instid0(VALU_DEP_1) | instskip(SKIP_2) | instid1(SALU_CYCLE_1)
	s_and_b32 s0, s0, s1
	s_and_not1_b32 s1, s3, exec_lo
	s_and_b32 s0, s0, exec_lo
	s_or_b32 s3, s1, s0
.LBB228_20:                             ;   in Loop: Header=BB228_10 Depth=1
	s_or_b32 exec_lo, exec_lo, s4
	s_delay_alu instid0(VALU_DEP_2)
	s_and_saveexec_b32 s0, s3
	s_cbranch_execz .LBB228_22
; %bb.21:                               ;   in Loop: Header=BB228_10 Depth=1
	s_waitcnt lgkmcnt(1)
	v_dual_mov_b32 v44, v48 :: v_dual_mov_b32 v45, v46
	s_waitcnt lgkmcnt(0)
	v_mov_b32_e32 v43, v47
.LBB228_22:                             ;   in Loop: Header=BB228_10 Depth=1
	s_or_b32 exec_lo, exec_lo, s0
	ds_bpermute_b32 v46, v40, v45
	s_waitcnt lgkmcnt(2)
	ds_bpermute_b32 v48, v40, v44
	s_waitcnt lgkmcnt(2)
	ds_bpermute_b32 v47, v40, v43
	s_mov_b32 s4, exec_lo
	s_waitcnt lgkmcnt(2)
	v_cmp_lt_f32_e64 s3, v45, v46
	v_cmpx_nlt_f32_e32 v45, v46
	s_cbranch_execz .LBB228_24
; %bb.23:                               ;   in Loop: Header=BB228_10 Depth=1
	v_cmp_eq_f32_e64 s0, v45, v46
	s_waitcnt lgkmcnt(0)
	v_cmp_lt_i32_e64 s1, v47, v43
	s_delay_alu instid0(VALU_DEP_1) | instskip(SKIP_2) | instid1(SALU_CYCLE_1)
	s_and_b32 s0, s0, s1
	s_and_not1_b32 s1, s3, exec_lo
	s_and_b32 s0, s0, exec_lo
	s_or_b32 s3, s1, s0
.LBB228_24:                             ;   in Loop: Header=BB228_10 Depth=1
	s_or_b32 exec_lo, exec_lo, s4
	s_delay_alu instid0(VALU_DEP_2)
	s_and_saveexec_b32 s0, s3
	s_cbranch_execz .LBB228_26
; %bb.25:                               ;   in Loop: Header=BB228_10 Depth=1
	s_waitcnt lgkmcnt(1)
	v_dual_mov_b32 v44, v48 :: v_dual_mov_b32 v45, v46
	s_waitcnt lgkmcnt(0)
	v_mov_b32_e32 v43, v47
.LBB228_26:                             ;   in Loop: Header=BB228_10 Depth=1
	s_or_b32 exec_lo, exec_lo, s0
	s_waitcnt lgkmcnt(1)
	ds_bpermute_b32 v48, v41, v45
	ds_bpermute_b32 v46, v41, v44
	s_waitcnt lgkmcnt(2)
	ds_bpermute_b32 v47, v41, v43
	s_mov_b32 s4, exec_lo
	s_waitcnt lgkmcnt(2)
	v_cmp_lt_f32_e64 s3, v45, v48
	v_cmpx_nlt_f32_e32 v45, v48
	s_cbranch_execnz .LBB228_30
; %bb.27:                               ;   in Loop: Header=BB228_10 Depth=1
	s_or_b32 exec_lo, exec_lo, s4
	s_delay_alu instid0(VALU_DEP_2)
	s_and_saveexec_b32 s0, s3
	s_cbranch_execnz .LBB228_31
.LBB228_28:                             ;   in Loop: Header=BB228_10 Depth=1
	s_or_b32 exec_lo, exec_lo, s0
	s_and_saveexec_b32 s3, s2
	s_cbranch_execnz .LBB228_32
.LBB228_29:                             ;   in Loop: Header=BB228_10 Depth=1
	s_or_b32 exec_lo, exec_lo, s3
	s_add_i32 s10, s10, 1
	s_delay_alu instid0(SALU_CYCLE_1)
	s_cmp_ge_i32 s10, s12
	s_cbranch_scc1 .LBB228_9
	s_branch .LBB228_33
.LBB228_30:                             ;   in Loop: Header=BB228_10 Depth=1
	v_cmp_eq_f32_e64 s0, v45, v48
	s_waitcnt lgkmcnt(0)
	v_cmp_lt_i32_e64 s1, v47, v43
	s_delay_alu instid0(VALU_DEP_1) | instskip(SKIP_2) | instid1(SALU_CYCLE_1)
	s_and_b32 s0, s0, s1
	s_and_not1_b32 s1, s3, exec_lo
	s_and_b32 s0, s0, exec_lo
	s_or_b32 s3, s1, s0
	s_or_b32 exec_lo, exec_lo, s4
	s_and_saveexec_b32 s0, s3
	s_cbranch_execz .LBB228_28
.LBB228_31:                             ;   in Loop: Header=BB228_10 Depth=1
	s_waitcnt lgkmcnt(0)
	v_dual_mov_b32 v43, v47 :: v_dual_mov_b32 v44, v46
	s_or_b32 exec_lo, exec_lo, s0
	s_and_saveexec_b32 s3, s2
	s_cbranch_execz .LBB228_29
.LBB228_32:                             ;   in Loop: Header=BB228_10 Depth=1
	s_delay_alu instid0(VALU_DEP_1)
	v_dual_add_f32 v52, v36, v44 :: v_dual_add_nc_u32 v45, s10, v35
	v_cmp_le_i32_e64 s0, s13, v43
	v_cmp_gt_i32_e64 s1, s14, v43
	s_waitcnt lgkmcnt(0)
	v_subrev_nc_u32_e32 v47, s13, v43
	v_ashrrev_i32_e32 v46, 31, v45
	v_cndmask_b32_e32 v36, v36, v52, vcc_lo
	s_and_b32 s0, s0, s1
	s_delay_alu instid0(SALU_CYCLE_1) | instskip(NEXT) | instid1(VALU_DEP_2)
	s_and_b32 s0, s23, s0
	v_lshlrev_b64 v[45:46], 2, v[45:46]
	v_cndmask_b32_e64 v51, 0x200, v47, s0
	s_delay_alu instid0(VALU_DEP_2) | instskip(NEXT) | instid1(VALU_DEP_1)
	v_add_co_u32 v47, s0, s20, v45
	v_add_co_ci_u32_e64 v48, s0, s21, v46, s0
	v_add_co_u32 v49, s0, s16, v45
	s_delay_alu instid0(VALU_DEP_1) | instskip(SKIP_1) | instid1(VALU_DEP_1)
	v_add_co_ci_u32_e64 v50, s0, s17, v46, s0
	v_add_co_u32 v45, s0, s18, v45
	v_add_co_ci_u32_e64 v46, s0, s19, v46, s0
	global_store_b32 v[47:48], v44, off
	global_store_b32 v[49:50], v51, off
	global_store_b32 v[45:46], v42, off
	s_or_b32 exec_lo, exec_lo, s3
	s_add_i32 s10, s10, 1
	s_delay_alu instid0(SALU_CYCLE_1)
	s_cmp_ge_i32 s10, s12
	s_cbranch_scc1 .LBB228_9
.LBB228_33:                             ;   in Loop: Header=BB228_10 Depth=1
	v_ashrrev_i32_e32 v44, 31, v43
	s_mov_b32 s1, exec_lo
	s_delay_alu instid0(VALU_DEP_1) | instskip(NEXT) | instid1(VALU_DEP_1)
	v_lshrrev_b32_e32 v45, 30, v44
	v_add_nc_u32_e32 v45, v43, v45
	s_waitcnt lgkmcnt(1)
	s_delay_alu instid0(VALU_DEP_1) | instskip(SKIP_1) | instid1(VALU_DEP_2)
	v_ashrrev_i32_e32 v46, 31, v45
	v_ashrrev_i32_e32 v45, 2, v45
	v_lshrrev_b32_e32 v46, 27, v46
	s_delay_alu instid0(VALU_DEP_1) | instskip(NEXT) | instid1(VALU_DEP_1)
	v_add_nc_u32_e32 v46, v45, v46
	v_and_b32_e32 v46, 0xffffffe0, v46
	s_delay_alu instid0(VALU_DEP_1) | instskip(NEXT) | instid1(VALU_DEP_1)
	v_sub_nc_u32_e32 v46, v45, v46
	v_cmpx_eq_u32_e64 v33, v46
	s_cbranch_execz .LBB228_8
; %bb.34:                               ;   in Loop: Header=BB228_10 Depth=1
	v_lshrrev_b32_e32 v44, 25, v44
	v_lshlrev_b32_e32 v45, 2, v45
	s_delay_alu instid0(VALU_DEP_2) | instskip(NEXT) | instid1(VALU_DEP_2)
	v_add_nc_u32_e32 v44, v43, v44
	v_sub_nc_u32_e32 v43, v43, v45
	s_delay_alu instid0(VALU_DEP_2) | instskip(NEXT) | instid1(VALU_DEP_1)
	v_ashrrev_i32_e32 v44, 7, v44
	v_lshl_add_u32 v43, v44, 2, v43
	s_delay_alu instid0(VALU_DEP_1) | instskip(NEXT) | instid1(VALU_DEP_1)
	v_cmp_ne_u32_e64 s0, 15, v43
	v_cndmask_b32_e64 v31, 0xc61c4000, v31, s0
	v_cmp_ne_u32_e64 s0, 14, v43
	s_delay_alu instid0(VALU_DEP_1) | instskip(SKIP_1) | instid1(VALU_DEP_1)
	v_cndmask_b32_e64 v30, 0xc61c4000, v30, s0
	v_cmp_ne_u32_e64 s0, 13, v43
	v_cndmask_b32_e64 v29, 0xc61c4000, v29, s0
	v_cmp_ne_u32_e64 s0, 12, v43
	s_delay_alu instid0(VALU_DEP_1) | instskip(SKIP_1) | instid1(VALU_DEP_1)
	v_cndmask_b32_e64 v28, 0xc61c4000, v28, s0
	;; [unrolled: 5-line block ×7, first 2 shown]
	v_cmp_ne_u32_e64 s0, 1, v43
	v_cndmask_b32_e64 v17, 0xc61c4000, v17, s0
	v_cmp_ne_u32_e64 s0, 0, v43
	s_delay_alu instid0(VALU_DEP_1)
	v_cndmask_b32_e64 v16, 0xc61c4000, v16, s0
	s_branch .LBB228_8
.LBB228_35:
                                        ; implicit-def: $vgpr16_vgpr17_vgpr18_vgpr19_vgpr20_vgpr21_vgpr22_vgpr23_vgpr24_vgpr25_vgpr26_vgpr27_vgpr28_vgpr29_vgpr30_vgpr31
	s_and_not1_b32 vcc_lo, exec_lo, s17
	s_cbranch_vccz .LBB228_5
	s_branch .LBB228_6
.LBB228_36:
	v_mov_b32_e32 v36, 0
.LBB228_37:
	v_cmp_eq_u32_e64 s0, 0, v33
	s_delay_alu instid0(VALU_DEP_1) | instskip(NEXT) | instid1(SALU_CYCLE_1)
	s_and_b32 s0, s0, vcc_lo
	s_and_b32 exec_lo, exec_lo, s0
	s_cbranch_execz .LBB228_41
; %bb.38:
	s_and_not1_b32 vcc_lo, exec_lo, s9
	s_cbranch_vccnz .LBB228_41
; %bb.39:
	v_mul_lo_u32 v0, v32, s12
	v_cmp_lt_f32_e32 vcc_lo, 0, v36
	v_cndmask_b32_e32 v2, 1.0, v36, vcc_lo
	s_delay_alu instid0(VALU_DEP_3) | instskip(NEXT) | instid1(VALU_DEP_1)
	v_ashrrev_i32_e32 v1, 31, v0
	v_lshlrev_b64 v[0:1], 2, v[0:1]
	s_delay_alu instid0(VALU_DEP_1) | instskip(NEXT) | instid1(VALU_DEP_2)
	v_add_co_u32 v0, vcc_lo, s20, v0
	v_add_co_ci_u32_e32 v1, vcc_lo, s21, v1, vcc_lo
	.p2align	6
.LBB228_40:                             ; =>This Inner Loop Header: Depth=1
	global_load_b32 v3, v[0:1], off
	s_add_i32 s12, s12, -1
	s_delay_alu instid0(SALU_CYCLE_1) | instskip(SKIP_3) | instid1(VALU_DEP_2)
	s_cmp_lg_u32 s12, 0
	s_waitcnt vmcnt(0)
	v_div_scale_f32 v4, null, v2, v2, v3
	v_div_scale_f32 v7, vcc_lo, v3, v2, v3
	v_rcp_f32_e32 v5, v4
	s_waitcnt_depctr 0xfff
	v_fma_f32 v6, -v4, v5, 1.0
	s_delay_alu instid0(VALU_DEP_1) | instskip(NEXT) | instid1(VALU_DEP_1)
	v_fmac_f32_e32 v5, v6, v5
	v_mul_f32_e32 v6, v7, v5
	s_delay_alu instid0(VALU_DEP_1) | instskip(NEXT) | instid1(VALU_DEP_1)
	v_fma_f32 v8, -v4, v6, v7
	v_fmac_f32_e32 v6, v8, v5
	s_delay_alu instid0(VALU_DEP_1) | instskip(NEXT) | instid1(VALU_DEP_1)
	v_fma_f32 v4, -v4, v6, v7
	v_div_fmas_f32 v4, v4, v5, v6
	s_delay_alu instid0(VALU_DEP_1)
	v_div_fixup_f32 v3, v4, v2, v3
	global_store_b32 v[0:1], v3, off
	v_add_co_u32 v0, vcc_lo, v0, 4
	v_add_co_ci_u32_e32 v1, vcc_lo, 0, v1, vcc_lo
	s_cbranch_scc1 .LBB228_40
.LBB228_41:
	s_nop 0
	s_sendmsg sendmsg(MSG_DEALLOC_VGPRS)
	s_endpgm
	.section	.rodata,"a",@progbits
	.p2align	6, 0x0
	.amdhsa_kernel _ZN4vllm3moe10topkGatingILi16ELi512ELi4ELi16ELi32EjfLNS0_11ScoringFuncE1EEEvPKT5_PKbPfiPT4_PiiiibPKf
		.amdhsa_group_segment_fixed_size 0
		.amdhsa_private_segment_fixed_size 0
		.amdhsa_kernarg_size 72
		.amdhsa_user_sgpr_count 15
		.amdhsa_user_sgpr_dispatch_ptr 0
		.amdhsa_user_sgpr_queue_ptr 0
		.amdhsa_user_sgpr_kernarg_segment_ptr 1
		.amdhsa_user_sgpr_dispatch_id 0
		.amdhsa_user_sgpr_private_segment_size 0
		.amdhsa_wavefront_size32 1
		.amdhsa_uses_dynamic_stack 0
		.amdhsa_enable_private_segment 0
		.amdhsa_system_sgpr_workgroup_id_x 1
		.amdhsa_system_sgpr_workgroup_id_y 0
		.amdhsa_system_sgpr_workgroup_id_z 0
		.amdhsa_system_sgpr_workgroup_info 0
		.amdhsa_system_vgpr_workitem_id 1
		.amdhsa_next_free_vgpr 92
		.amdhsa_next_free_sgpr 24
		.amdhsa_reserve_vcc 1
		.amdhsa_float_round_mode_32 0
		.amdhsa_float_round_mode_16_64 0
		.amdhsa_float_denorm_mode_32 3
		.amdhsa_float_denorm_mode_16_64 3
		.amdhsa_dx10_clamp 1
		.amdhsa_ieee_mode 1
		.amdhsa_fp16_overflow 0
		.amdhsa_workgroup_processor_mode 1
		.amdhsa_memory_ordered 1
		.amdhsa_forward_progress 0
		.amdhsa_shared_vgpr_count 0
		.amdhsa_exception_fp_ieee_invalid_op 0
		.amdhsa_exception_fp_denorm_src 0
		.amdhsa_exception_fp_ieee_div_zero 0
		.amdhsa_exception_fp_ieee_overflow 0
		.amdhsa_exception_fp_ieee_underflow 0
		.amdhsa_exception_fp_ieee_inexact 0
		.amdhsa_exception_int_div_zero 0
	.end_amdhsa_kernel
	.section	.text._ZN4vllm3moe10topkGatingILi16ELi512ELi4ELi16ELi32EjfLNS0_11ScoringFuncE1EEEvPKT5_PKbPfiPT4_PiiiibPKf,"axG",@progbits,_ZN4vllm3moe10topkGatingILi16ELi512ELi4ELi16ELi32EjfLNS0_11ScoringFuncE1EEEvPKT5_PKbPfiPT4_PiiiibPKf,comdat
.Lfunc_end228:
	.size	_ZN4vllm3moe10topkGatingILi16ELi512ELi4ELi16ELi32EjfLNS0_11ScoringFuncE1EEEvPKT5_PKbPfiPT4_PiiiibPKf, .Lfunc_end228-_ZN4vllm3moe10topkGatingILi16ELi512ELi4ELi16ELi32EjfLNS0_11ScoringFuncE1EEEvPKT5_PKbPfiPT4_PiiiibPKf
                                        ; -- End function
	.section	.AMDGPU.csdata,"",@progbits
; Kernel info:
; codeLenInByte = 4700
; NumSgprs: 26
; NumVgprs: 92
; ScratchSize: 0
; MemoryBound: 0
; FloatMode: 240
; IeeeMode: 1
; LDSByteSize: 0 bytes/workgroup (compile time only)
; SGPRBlocks: 3
; VGPRBlocks: 11
; NumSGPRsForWavesPerEU: 26
; NumVGPRsForWavesPerEU: 92
; Occupancy: 16
; WaveLimiterHint : 1
; COMPUTE_PGM_RSRC2:SCRATCH_EN: 0
; COMPUTE_PGM_RSRC2:USER_SGPR: 15
; COMPUTE_PGM_RSRC2:TRAP_HANDLER: 0
; COMPUTE_PGM_RSRC2:TGID_X_EN: 1
; COMPUTE_PGM_RSRC2:TGID_Y_EN: 0
; COMPUTE_PGM_RSRC2:TGID_Z_EN: 0
; COMPUTE_PGM_RSRC2:TIDIG_COMP_CNT: 1
	.section	.text._ZN4vllm3moe10topkGatingILi1ELi1ELi4ELi4ELi64ElfLNS0_11ScoringFuncE1EEEvPKT5_PKbPfiPT4_PiiiibPKf,"axG",@progbits,_ZN4vllm3moe10topkGatingILi1ELi1ELi4ELi4ELi64ElfLNS0_11ScoringFuncE1EEEvPKT5_PKbPfiPT4_PiiiibPKf,comdat
	.protected	_ZN4vllm3moe10topkGatingILi1ELi1ELi4ELi4ELi64ElfLNS0_11ScoringFuncE1EEEvPKT5_PKbPfiPT4_PiiiibPKf ; -- Begin function _ZN4vllm3moe10topkGatingILi1ELi1ELi4ELi4ELi64ElfLNS0_11ScoringFuncE1EEEvPKT5_PKbPfiPT4_PiiiibPKf
	.globl	_ZN4vllm3moe10topkGatingILi1ELi1ELi4ELi4ELi64ElfLNS0_11ScoringFuncE1EEEvPKT5_PKbPfiPT4_PiiiibPKf
	.p2align	8
	.type	_ZN4vllm3moe10topkGatingILi1ELi1ELi4ELi4ELi64ElfLNS0_11ScoringFuncE1EEEvPKT5_PKbPfiPT4_PiiiibPKf,@function
_ZN4vllm3moe10topkGatingILi1ELi1ELi4ELi4ELi64ElfLNS0_11ScoringFuncE1EEEvPKT5_PKbPfiPT4_PiiiibPKf: ; @_ZN4vllm3moe10topkGatingILi1ELi1ELi4ELi4ELi64ElfLNS0_11ScoringFuncE1EEEvPKT5_PKbPfiPT4_PiiiibPKf
; %bb.0:
	s_load_b32 s3, s[0:1], 0x18
	v_bfe_u32 v1, v0, 10, 10
	v_and_b32_e32 v0, 0x3ff, v0
	s_lshl_b32 s2, s15, 8
	s_delay_alu instid0(VALU_DEP_2) | instskip(NEXT) | instid1(VALU_DEP_1)
	v_lshlrev_b32_e32 v1, 6, v1
	v_add3_u32 v0, v1, v0, s2
	s_mov_b32 s2, exec_lo
	s_waitcnt lgkmcnt(0)
	s_delay_alu instid0(VALU_DEP_1)
	v_cmpx_gt_i32_e64 s3, v0
	s_cbranch_execz .LBB229_12
; %bb.1:
	s_clause 0x1
	s_load_b128 s[8:11], s[0:1], 0x0
	s_load_b64 s[12:13], s[0:1], 0x10
	v_ashrrev_i32_e32 v1, 31, v0
	s_waitcnt lgkmcnt(0)
	s_cmp_eq_u64 s[10:11], 0
	s_cbranch_scc1 .LBB229_3
; %bb.2:
	v_add_co_u32 v2, vcc_lo, s10, v0
	v_add_co_ci_u32_e32 v3, vcc_lo, s11, v1, vcc_lo
	global_load_u8 v2, v[2:3], off
	s_waitcnt vmcnt(0)
	v_and_b32_e32 v2, 1, v2
	s_delay_alu instid0(VALU_DEP_1) | instskip(SKIP_1) | instid1(SALU_CYCLE_1)
	v_cmp_eq_u32_e32 vcc_lo, 1, v2
	s_xor_b32 s2, vcc_lo, -1
	s_or_not1_b32 s14, s2, exec_lo
	s_branch .LBB229_4
.LBB229_3:
	s_mov_b32 s14, -1
.LBB229_4:
	s_load_b128 s[4:7], s[0:1], 0x30
	s_waitcnt lgkmcnt(0)
	s_bitcmp1_b32 s7, 0
	s_cselect_b32 s2, -1, 0
	s_cmp_gt_i32 s4, 0
	s_cselect_b32 s7, -1, 0
	s_cmp_lt_i32 s4, 1
	s_cbranch_scc1 .LBB229_8
; %bb.5:
	v_lshlrev_b64 v[1:2], 2, v[0:1]
	v_mul_lo_u32 v3, v0, s4
	s_cmp_lt_i32 s5, 1
	v_mov_b32_e32 v9, 0
	s_delay_alu instid0(VALU_DEP_3) | instskip(NEXT) | instid1(VALU_DEP_4)
	v_add_co_u32 v1, vcc_lo, s8, v1
	v_add_co_ci_u32_e32 v2, vcc_lo, s9, v2, vcc_lo
	s_load_b128 s[8:11], s[0:1], 0x20
	s_delay_alu instid0(VALU_DEP_4)
	v_ashrrev_i32_e32 v4, 31, v3
	s_cselect_b32 s0, -1, 0
	global_load_b32 v1, v[1:2], off
	s_cmp_gt_i32 s6, 0
	v_lshlrev_b64 v[5:6], 3, v[3:4]
	s_cselect_b32 s1, -1, 0
	v_lshlrev_b64 v[7:8], 2, v[3:4]
	s_sub_i32 s5, 0, s5
	s_and_b32 s0, s0, s1
	s_ashr_i32 s1, s5, 31
	s_and_b32 s0, s14, s0
	s_delay_alu instid0(SALU_CYCLE_1) | instskip(SKIP_2) | instid1(VALU_DEP_1)
	v_cndmask_b32_e64 v2, 0, s1, s0
	s_waitcnt vmcnt(0)
	v_mul_f32_e32 v1, 0xbfb8aa3b, v1
	v_exp_f32_e32 v1, v1
	s_waitcnt_depctr 0xfff
	v_add_f32_e32 v10, 1.0, v1
	s_delay_alu instid0(VALU_DEP_1) | instskip(SKIP_1) | instid1(VALU_DEP_2)
	v_div_scale_f32 v11, null, v10, v10, 1.0
	v_div_scale_f32 v13, vcc_lo, 1.0, v10, 1.0
	v_rcp_f32_e32 v12, v11
	s_waitcnt_depctr 0xfff
	v_fma_f32 v1, -v11, v12, 1.0
	s_delay_alu instid0(VALU_DEP_1) | instskip(NEXT) | instid1(VALU_DEP_1)
	v_fmac_f32_e32 v12, v1, v12
	v_mul_f32_e32 v14, v13, v12
	s_delay_alu instid0(VALU_DEP_1) | instskip(NEXT) | instid1(VALU_DEP_1)
	v_fma_f32 v1, -v11, v14, v13
	v_fmac_f32_e32 v14, v1, v12
	v_cndmask_b32_e64 v1, 1, s5, s0
	v_add_co_u32 v3, s0, s12, v7
	s_delay_alu instid0(VALU_DEP_1) | instskip(NEXT) | instid1(VALU_DEP_4)
	v_add_co_ci_u32_e64 v4, s0, s13, v8, s0
	v_fma_f32 v11, -v11, v14, v13
	s_mov_b32 s0, s4
	s_delay_alu instid0(VALU_DEP_1) | instskip(SKIP_3) | instid1(VALU_DEP_3)
	v_div_fmas_f32 v11, v11, v12, v14
	s_waitcnt lgkmcnt(0)
	v_add_co_u32 v5, vcc_lo, s8, v5
	v_add_co_ci_u32_e32 v6, vcc_lo, s9, v6, vcc_lo
	v_div_fixup_f32 v10, v11, v10, 1.0
	v_mov_b32_e32 v11, v0
	v_add_co_u32 v7, vcc_lo, s10, v7
	v_add_co_ci_u32_e32 v8, vcc_lo, s11, v8, vcc_lo
	s_delay_alu instid0(VALU_DEP_4)
	v_cmp_class_f32_e64 vcc_lo, v10, 0x1f8
	v_cndmask_b32_e32 v10, 0, v10, vcc_lo
	.p2align	6
.LBB229_6:                              ; =>This Inner Loop Header: Depth=1
	global_store_b32 v[3:4], v10, off
	global_store_b64 v[5:6], v[1:2], off
	global_store_b32 v[7:8], v11, off
	v_add_co_u32 v3, vcc_lo, v3, 4
	v_add_co_ci_u32_e32 v4, vcc_lo, 0, v4, vcc_lo
	v_dual_add_f32 v12, v9, v10 :: v_dual_add_nc_u32 v11, s3, v11
	v_add_co_u32 v5, vcc_lo, v5, 8
	v_add_co_ci_u32_e32 v6, vcc_lo, 0, v6, vcc_lo
	v_add_co_u32 v7, vcc_lo, v7, 4
	s_delay_alu instid0(VALU_DEP_4) | instskip(SKIP_2) | instid1(SALU_CYCLE_1)
	v_cndmask_b32_e64 v9, v9, v12, s2
	v_add_co_ci_u32_e32 v8, vcc_lo, 0, v8, vcc_lo
	s_add_i32 s0, s0, -1
	s_cmp_lg_u32 s0, 0
	s_cbranch_scc1 .LBB229_6
; %bb.7:
	s_and_not1_b32 vcc_lo, exec_lo, s2
	s_cbranch_vccz .LBB229_9
	s_branch .LBB229_12
.LBB229_8:
	v_mov_b32_e32 v9, 0
	s_and_not1_b32 vcc_lo, exec_lo, s2
	s_cbranch_vccnz .LBB229_12
.LBB229_9:
	s_and_not1_b32 vcc_lo, exec_lo, s7
	s_cbranch_vccnz .LBB229_12
; %bb.10:
	v_mul_lo_u32 v0, v0, s4
	v_cmp_lt_f32_e32 vcc_lo, 0, v9
	v_cndmask_b32_e32 v2, 1.0, v9, vcc_lo
	s_delay_alu instid0(VALU_DEP_3) | instskip(NEXT) | instid1(VALU_DEP_1)
	v_ashrrev_i32_e32 v1, 31, v0
	v_lshlrev_b64 v[0:1], 2, v[0:1]
	s_delay_alu instid0(VALU_DEP_1) | instskip(NEXT) | instid1(VALU_DEP_2)
	v_add_co_u32 v0, vcc_lo, s12, v0
	v_add_co_ci_u32_e32 v1, vcc_lo, s13, v1, vcc_lo
	.p2align	6
.LBB229_11:                             ; =>This Inner Loop Header: Depth=1
	global_load_b32 v3, v[0:1], off
	s_add_i32 s4, s4, -1
	s_delay_alu instid0(SALU_CYCLE_1) | instskip(SKIP_3) | instid1(VALU_DEP_2)
	s_cmp_lg_u32 s4, 0
	s_waitcnt vmcnt(0)
	v_div_scale_f32 v4, null, v2, v2, v3
	v_div_scale_f32 v7, vcc_lo, v3, v2, v3
	v_rcp_f32_e32 v5, v4
	s_waitcnt_depctr 0xfff
	v_fma_f32 v6, -v4, v5, 1.0
	s_delay_alu instid0(VALU_DEP_1) | instskip(NEXT) | instid1(VALU_DEP_1)
	v_fmac_f32_e32 v5, v6, v5
	v_mul_f32_e32 v6, v7, v5
	s_delay_alu instid0(VALU_DEP_1) | instskip(NEXT) | instid1(VALU_DEP_1)
	v_fma_f32 v8, -v4, v6, v7
	v_fmac_f32_e32 v6, v8, v5
	s_delay_alu instid0(VALU_DEP_1) | instskip(NEXT) | instid1(VALU_DEP_1)
	v_fma_f32 v4, -v4, v6, v7
	v_div_fmas_f32 v4, v4, v5, v6
	s_delay_alu instid0(VALU_DEP_1)
	v_div_fixup_f32 v3, v4, v2, v3
	global_store_b32 v[0:1], v3, off
	v_add_co_u32 v0, vcc_lo, v0, 4
	v_add_co_ci_u32_e32 v1, vcc_lo, 0, v1, vcc_lo
	s_cbranch_scc1 .LBB229_11
.LBB229_12:
	s_nop 0
	s_sendmsg sendmsg(MSG_DEALLOC_VGPRS)
	s_endpgm
	.section	.rodata,"a",@progbits
	.p2align	6, 0x0
	.amdhsa_kernel _ZN4vllm3moe10topkGatingILi1ELi1ELi4ELi4ELi64ElfLNS0_11ScoringFuncE1EEEvPKT5_PKbPfiPT4_PiiiibPKf
		.amdhsa_group_segment_fixed_size 0
		.amdhsa_private_segment_fixed_size 0
		.amdhsa_kernarg_size 72
		.amdhsa_user_sgpr_count 15
		.amdhsa_user_sgpr_dispatch_ptr 0
		.amdhsa_user_sgpr_queue_ptr 0
		.amdhsa_user_sgpr_kernarg_segment_ptr 1
		.amdhsa_user_sgpr_dispatch_id 0
		.amdhsa_user_sgpr_private_segment_size 0
		.amdhsa_wavefront_size32 1
		.amdhsa_uses_dynamic_stack 0
		.amdhsa_enable_private_segment 0
		.amdhsa_system_sgpr_workgroup_id_x 1
		.amdhsa_system_sgpr_workgroup_id_y 0
		.amdhsa_system_sgpr_workgroup_id_z 0
		.amdhsa_system_sgpr_workgroup_info 0
		.amdhsa_system_vgpr_workitem_id 1
		.amdhsa_next_free_vgpr 15
		.amdhsa_next_free_sgpr 16
		.amdhsa_reserve_vcc 1
		.amdhsa_float_round_mode_32 0
		.amdhsa_float_round_mode_16_64 0
		.amdhsa_float_denorm_mode_32 3
		.amdhsa_float_denorm_mode_16_64 3
		.amdhsa_dx10_clamp 1
		.amdhsa_ieee_mode 1
		.amdhsa_fp16_overflow 0
		.amdhsa_workgroup_processor_mode 1
		.amdhsa_memory_ordered 1
		.amdhsa_forward_progress 0
		.amdhsa_shared_vgpr_count 0
		.amdhsa_exception_fp_ieee_invalid_op 0
		.amdhsa_exception_fp_denorm_src 0
		.amdhsa_exception_fp_ieee_div_zero 0
		.amdhsa_exception_fp_ieee_overflow 0
		.amdhsa_exception_fp_ieee_underflow 0
		.amdhsa_exception_fp_ieee_inexact 0
		.amdhsa_exception_int_div_zero 0
	.end_amdhsa_kernel
	.section	.text._ZN4vllm3moe10topkGatingILi1ELi1ELi4ELi4ELi64ElfLNS0_11ScoringFuncE1EEEvPKT5_PKbPfiPT4_PiiiibPKf,"axG",@progbits,_ZN4vllm3moe10topkGatingILi1ELi1ELi4ELi4ELi64ElfLNS0_11ScoringFuncE1EEEvPKT5_PKbPfiPT4_PiiiibPKf,comdat
.Lfunc_end229:
	.size	_ZN4vllm3moe10topkGatingILi1ELi1ELi4ELi4ELi64ElfLNS0_11ScoringFuncE1EEEvPKT5_PKbPfiPT4_PiiiibPKf, .Lfunc_end229-_ZN4vllm3moe10topkGatingILi1ELi1ELi4ELi4ELi64ElfLNS0_11ScoringFuncE1EEEvPKT5_PKbPfiPT4_PiiiibPKf
                                        ; -- End function
	.section	.AMDGPU.csdata,"",@progbits
; Kernel info:
; codeLenInByte = 836
; NumSgprs: 18
; NumVgprs: 15
; ScratchSize: 0
; MemoryBound: 0
; FloatMode: 240
; IeeeMode: 1
; LDSByteSize: 0 bytes/workgroup (compile time only)
; SGPRBlocks: 2
; VGPRBlocks: 1
; NumSGPRsForWavesPerEU: 18
; NumVGPRsForWavesPerEU: 15
; Occupancy: 16
; WaveLimiterHint : 0
; COMPUTE_PGM_RSRC2:SCRATCH_EN: 0
; COMPUTE_PGM_RSRC2:USER_SGPR: 15
; COMPUTE_PGM_RSRC2:TRAP_HANDLER: 0
; COMPUTE_PGM_RSRC2:TGID_X_EN: 1
; COMPUTE_PGM_RSRC2:TGID_Y_EN: 0
; COMPUTE_PGM_RSRC2:TGID_Z_EN: 0
; COMPUTE_PGM_RSRC2:TIDIG_COMP_CNT: 1
	.section	.text._ZN4vllm3moe10topkGatingILi1ELi1ELi4ELi4ELi32ElfLNS0_11ScoringFuncE1EEEvPKT5_PKbPfiPT4_PiiiibPKf,"axG",@progbits,_ZN4vllm3moe10topkGatingILi1ELi1ELi4ELi4ELi32ElfLNS0_11ScoringFuncE1EEEvPKT5_PKbPfiPT4_PiiiibPKf,comdat
	.protected	_ZN4vllm3moe10topkGatingILi1ELi1ELi4ELi4ELi32ElfLNS0_11ScoringFuncE1EEEvPKT5_PKbPfiPT4_PiiiibPKf ; -- Begin function _ZN4vllm3moe10topkGatingILi1ELi1ELi4ELi4ELi32ElfLNS0_11ScoringFuncE1EEEvPKT5_PKbPfiPT4_PiiiibPKf
	.globl	_ZN4vllm3moe10topkGatingILi1ELi1ELi4ELi4ELi32ElfLNS0_11ScoringFuncE1EEEvPKT5_PKbPfiPT4_PiiiibPKf
	.p2align	8
	.type	_ZN4vllm3moe10topkGatingILi1ELi1ELi4ELi4ELi32ElfLNS0_11ScoringFuncE1EEEvPKT5_PKbPfiPT4_PiiiibPKf,@function
_ZN4vllm3moe10topkGatingILi1ELi1ELi4ELi4ELi32ElfLNS0_11ScoringFuncE1EEEvPKT5_PKbPfiPT4_PiiiibPKf: ; @_ZN4vllm3moe10topkGatingILi1ELi1ELi4ELi4ELi32ElfLNS0_11ScoringFuncE1EEEvPKT5_PKbPfiPT4_PiiiibPKf
; %bb.0:
	s_load_b32 s3, s[0:1], 0x18
	v_bfe_u32 v1, v0, 10, 10
	v_and_b32_e32 v0, 0x3ff, v0
	s_lshl_b32 s2, s15, 7
	s_delay_alu instid0(VALU_DEP_2) | instskip(NEXT) | instid1(VALU_DEP_1)
	v_lshlrev_b32_e32 v1, 5, v1
	v_add3_u32 v0, v1, v0, s2
	s_mov_b32 s2, exec_lo
	s_waitcnt lgkmcnt(0)
	s_delay_alu instid0(VALU_DEP_1)
	v_cmpx_gt_i32_e64 s3, v0
	s_cbranch_execz .LBB230_12
; %bb.1:
	s_clause 0x1
	s_load_b128 s[8:11], s[0:1], 0x0
	s_load_b64 s[12:13], s[0:1], 0x10
	v_ashrrev_i32_e32 v1, 31, v0
	s_waitcnt lgkmcnt(0)
	s_cmp_eq_u64 s[10:11], 0
	s_cbranch_scc1 .LBB230_3
; %bb.2:
	v_add_co_u32 v2, vcc_lo, s10, v0
	v_add_co_ci_u32_e32 v3, vcc_lo, s11, v1, vcc_lo
	global_load_u8 v2, v[2:3], off
	s_waitcnt vmcnt(0)
	v_and_b32_e32 v2, 1, v2
	s_delay_alu instid0(VALU_DEP_1) | instskip(SKIP_1) | instid1(SALU_CYCLE_1)
	v_cmp_eq_u32_e32 vcc_lo, 1, v2
	s_xor_b32 s2, vcc_lo, -1
	s_or_not1_b32 s14, s2, exec_lo
	s_branch .LBB230_4
.LBB230_3:
	s_mov_b32 s14, -1
.LBB230_4:
	s_load_b128 s[4:7], s[0:1], 0x30
	s_waitcnt lgkmcnt(0)
	s_bitcmp1_b32 s7, 0
	s_cselect_b32 s2, -1, 0
	s_cmp_gt_i32 s4, 0
	s_cselect_b32 s7, -1, 0
	s_cmp_lt_i32 s4, 1
	s_cbranch_scc1 .LBB230_8
; %bb.5:
	v_lshlrev_b64 v[1:2], 2, v[0:1]
	v_mul_lo_u32 v3, v0, s4
	s_cmp_lt_i32 s5, 1
	v_mov_b32_e32 v9, 0
	s_delay_alu instid0(VALU_DEP_3) | instskip(NEXT) | instid1(VALU_DEP_4)
	v_add_co_u32 v1, vcc_lo, s8, v1
	v_add_co_ci_u32_e32 v2, vcc_lo, s9, v2, vcc_lo
	s_load_b128 s[8:11], s[0:1], 0x20
	s_delay_alu instid0(VALU_DEP_4)
	v_ashrrev_i32_e32 v4, 31, v3
	s_cselect_b32 s0, -1, 0
	global_load_b32 v1, v[1:2], off
	s_cmp_gt_i32 s6, 0
	v_lshlrev_b64 v[5:6], 3, v[3:4]
	s_cselect_b32 s1, -1, 0
	v_lshlrev_b64 v[7:8], 2, v[3:4]
	s_sub_i32 s5, 0, s5
	s_and_b32 s0, s0, s1
	s_ashr_i32 s1, s5, 31
	s_and_b32 s0, s14, s0
	s_delay_alu instid0(SALU_CYCLE_1) | instskip(SKIP_2) | instid1(VALU_DEP_1)
	v_cndmask_b32_e64 v2, 0, s1, s0
	s_waitcnt vmcnt(0)
	v_mul_f32_e32 v1, 0xbfb8aa3b, v1
	v_exp_f32_e32 v1, v1
	s_waitcnt_depctr 0xfff
	v_add_f32_e32 v10, 1.0, v1
	s_delay_alu instid0(VALU_DEP_1) | instskip(SKIP_1) | instid1(VALU_DEP_2)
	v_div_scale_f32 v11, null, v10, v10, 1.0
	v_div_scale_f32 v13, vcc_lo, 1.0, v10, 1.0
	v_rcp_f32_e32 v12, v11
	s_waitcnt_depctr 0xfff
	v_fma_f32 v1, -v11, v12, 1.0
	s_delay_alu instid0(VALU_DEP_1) | instskip(NEXT) | instid1(VALU_DEP_1)
	v_fmac_f32_e32 v12, v1, v12
	v_mul_f32_e32 v14, v13, v12
	s_delay_alu instid0(VALU_DEP_1) | instskip(NEXT) | instid1(VALU_DEP_1)
	v_fma_f32 v1, -v11, v14, v13
	v_fmac_f32_e32 v14, v1, v12
	v_cndmask_b32_e64 v1, 1, s5, s0
	v_add_co_u32 v3, s0, s12, v7
	s_delay_alu instid0(VALU_DEP_1) | instskip(NEXT) | instid1(VALU_DEP_4)
	v_add_co_ci_u32_e64 v4, s0, s13, v8, s0
	v_fma_f32 v11, -v11, v14, v13
	s_mov_b32 s0, s4
	s_delay_alu instid0(VALU_DEP_1) | instskip(SKIP_3) | instid1(VALU_DEP_3)
	v_div_fmas_f32 v11, v11, v12, v14
	s_waitcnt lgkmcnt(0)
	v_add_co_u32 v5, vcc_lo, s8, v5
	v_add_co_ci_u32_e32 v6, vcc_lo, s9, v6, vcc_lo
	v_div_fixup_f32 v10, v11, v10, 1.0
	v_mov_b32_e32 v11, v0
	v_add_co_u32 v7, vcc_lo, s10, v7
	v_add_co_ci_u32_e32 v8, vcc_lo, s11, v8, vcc_lo
	s_delay_alu instid0(VALU_DEP_4)
	v_cmp_class_f32_e64 vcc_lo, v10, 0x1f8
	v_cndmask_b32_e32 v10, 0, v10, vcc_lo
	.p2align	6
.LBB230_6:                              ; =>This Inner Loop Header: Depth=1
	global_store_b32 v[3:4], v10, off
	global_store_b64 v[5:6], v[1:2], off
	global_store_b32 v[7:8], v11, off
	v_add_co_u32 v3, vcc_lo, v3, 4
	v_add_co_ci_u32_e32 v4, vcc_lo, 0, v4, vcc_lo
	v_dual_add_f32 v12, v9, v10 :: v_dual_add_nc_u32 v11, s3, v11
	v_add_co_u32 v5, vcc_lo, v5, 8
	v_add_co_ci_u32_e32 v6, vcc_lo, 0, v6, vcc_lo
	v_add_co_u32 v7, vcc_lo, v7, 4
	s_delay_alu instid0(VALU_DEP_4) | instskip(SKIP_2) | instid1(SALU_CYCLE_1)
	v_cndmask_b32_e64 v9, v9, v12, s2
	v_add_co_ci_u32_e32 v8, vcc_lo, 0, v8, vcc_lo
	s_add_i32 s0, s0, -1
	s_cmp_lg_u32 s0, 0
	s_cbranch_scc1 .LBB230_6
; %bb.7:
	s_and_not1_b32 vcc_lo, exec_lo, s2
	s_cbranch_vccz .LBB230_9
	s_branch .LBB230_12
.LBB230_8:
	v_mov_b32_e32 v9, 0
	s_and_not1_b32 vcc_lo, exec_lo, s2
	s_cbranch_vccnz .LBB230_12
.LBB230_9:
	s_and_not1_b32 vcc_lo, exec_lo, s7
	s_cbranch_vccnz .LBB230_12
; %bb.10:
	v_mul_lo_u32 v0, v0, s4
	v_cmp_lt_f32_e32 vcc_lo, 0, v9
	v_cndmask_b32_e32 v2, 1.0, v9, vcc_lo
	s_delay_alu instid0(VALU_DEP_3) | instskip(NEXT) | instid1(VALU_DEP_1)
	v_ashrrev_i32_e32 v1, 31, v0
	v_lshlrev_b64 v[0:1], 2, v[0:1]
	s_delay_alu instid0(VALU_DEP_1) | instskip(NEXT) | instid1(VALU_DEP_2)
	v_add_co_u32 v0, vcc_lo, s12, v0
	v_add_co_ci_u32_e32 v1, vcc_lo, s13, v1, vcc_lo
	.p2align	6
.LBB230_11:                             ; =>This Inner Loop Header: Depth=1
	global_load_b32 v3, v[0:1], off
	s_add_i32 s4, s4, -1
	s_delay_alu instid0(SALU_CYCLE_1) | instskip(SKIP_3) | instid1(VALU_DEP_2)
	s_cmp_lg_u32 s4, 0
	s_waitcnt vmcnt(0)
	v_div_scale_f32 v4, null, v2, v2, v3
	v_div_scale_f32 v7, vcc_lo, v3, v2, v3
	v_rcp_f32_e32 v5, v4
	s_waitcnt_depctr 0xfff
	v_fma_f32 v6, -v4, v5, 1.0
	s_delay_alu instid0(VALU_DEP_1) | instskip(NEXT) | instid1(VALU_DEP_1)
	v_fmac_f32_e32 v5, v6, v5
	v_mul_f32_e32 v6, v7, v5
	s_delay_alu instid0(VALU_DEP_1) | instskip(NEXT) | instid1(VALU_DEP_1)
	v_fma_f32 v8, -v4, v6, v7
	v_fmac_f32_e32 v6, v8, v5
	s_delay_alu instid0(VALU_DEP_1) | instskip(NEXT) | instid1(VALU_DEP_1)
	v_fma_f32 v4, -v4, v6, v7
	v_div_fmas_f32 v4, v4, v5, v6
	s_delay_alu instid0(VALU_DEP_1)
	v_div_fixup_f32 v3, v4, v2, v3
	global_store_b32 v[0:1], v3, off
	v_add_co_u32 v0, vcc_lo, v0, 4
	v_add_co_ci_u32_e32 v1, vcc_lo, 0, v1, vcc_lo
	s_cbranch_scc1 .LBB230_11
.LBB230_12:
	s_nop 0
	s_sendmsg sendmsg(MSG_DEALLOC_VGPRS)
	s_endpgm
	.section	.rodata,"a",@progbits
	.p2align	6, 0x0
	.amdhsa_kernel _ZN4vllm3moe10topkGatingILi1ELi1ELi4ELi4ELi32ElfLNS0_11ScoringFuncE1EEEvPKT5_PKbPfiPT4_PiiiibPKf
		.amdhsa_group_segment_fixed_size 0
		.amdhsa_private_segment_fixed_size 0
		.amdhsa_kernarg_size 72
		.amdhsa_user_sgpr_count 15
		.amdhsa_user_sgpr_dispatch_ptr 0
		.amdhsa_user_sgpr_queue_ptr 0
		.amdhsa_user_sgpr_kernarg_segment_ptr 1
		.amdhsa_user_sgpr_dispatch_id 0
		.amdhsa_user_sgpr_private_segment_size 0
		.amdhsa_wavefront_size32 1
		.amdhsa_uses_dynamic_stack 0
		.amdhsa_enable_private_segment 0
		.amdhsa_system_sgpr_workgroup_id_x 1
		.amdhsa_system_sgpr_workgroup_id_y 0
		.amdhsa_system_sgpr_workgroup_id_z 0
		.amdhsa_system_sgpr_workgroup_info 0
		.amdhsa_system_vgpr_workitem_id 1
		.amdhsa_next_free_vgpr 15
		.amdhsa_next_free_sgpr 16
		.amdhsa_reserve_vcc 1
		.amdhsa_float_round_mode_32 0
		.amdhsa_float_round_mode_16_64 0
		.amdhsa_float_denorm_mode_32 3
		.amdhsa_float_denorm_mode_16_64 3
		.amdhsa_dx10_clamp 1
		.amdhsa_ieee_mode 1
		.amdhsa_fp16_overflow 0
		.amdhsa_workgroup_processor_mode 1
		.amdhsa_memory_ordered 1
		.amdhsa_forward_progress 0
		.amdhsa_shared_vgpr_count 0
		.amdhsa_exception_fp_ieee_invalid_op 0
		.amdhsa_exception_fp_denorm_src 0
		.amdhsa_exception_fp_ieee_div_zero 0
		.amdhsa_exception_fp_ieee_overflow 0
		.amdhsa_exception_fp_ieee_underflow 0
		.amdhsa_exception_fp_ieee_inexact 0
		.amdhsa_exception_int_div_zero 0
	.end_amdhsa_kernel
	.section	.text._ZN4vllm3moe10topkGatingILi1ELi1ELi4ELi4ELi32ElfLNS0_11ScoringFuncE1EEEvPKT5_PKbPfiPT4_PiiiibPKf,"axG",@progbits,_ZN4vllm3moe10topkGatingILi1ELi1ELi4ELi4ELi32ElfLNS0_11ScoringFuncE1EEEvPKT5_PKbPfiPT4_PiiiibPKf,comdat
.Lfunc_end230:
	.size	_ZN4vllm3moe10topkGatingILi1ELi1ELi4ELi4ELi32ElfLNS0_11ScoringFuncE1EEEvPKT5_PKbPfiPT4_PiiiibPKf, .Lfunc_end230-_ZN4vllm3moe10topkGatingILi1ELi1ELi4ELi4ELi32ElfLNS0_11ScoringFuncE1EEEvPKT5_PKbPfiPT4_PiiiibPKf
                                        ; -- End function
	.section	.AMDGPU.csdata,"",@progbits
; Kernel info:
; codeLenInByte = 836
; NumSgprs: 18
; NumVgprs: 15
; ScratchSize: 0
; MemoryBound: 0
; FloatMode: 240
; IeeeMode: 1
; LDSByteSize: 0 bytes/workgroup (compile time only)
; SGPRBlocks: 2
; VGPRBlocks: 1
; NumSGPRsForWavesPerEU: 18
; NumVGPRsForWavesPerEU: 15
; Occupancy: 16
; WaveLimiterHint : 0
; COMPUTE_PGM_RSRC2:SCRATCH_EN: 0
; COMPUTE_PGM_RSRC2:USER_SGPR: 15
; COMPUTE_PGM_RSRC2:TRAP_HANDLER: 0
; COMPUTE_PGM_RSRC2:TGID_X_EN: 1
; COMPUTE_PGM_RSRC2:TGID_Y_EN: 0
; COMPUTE_PGM_RSRC2:TGID_Z_EN: 0
; COMPUTE_PGM_RSRC2:TIDIG_COMP_CNT: 1
	.section	.text._ZN4vllm3moe10topkGatingILi2ELi2ELi4ELi8ELi64ElfLNS0_11ScoringFuncE1EEEvPKT5_PKbPfiPT4_PiiiibPKf,"axG",@progbits,_ZN4vllm3moe10topkGatingILi2ELi2ELi4ELi8ELi64ElfLNS0_11ScoringFuncE1EEEvPKT5_PKbPfiPT4_PiiiibPKf,comdat
	.protected	_ZN4vllm3moe10topkGatingILi2ELi2ELi4ELi8ELi64ElfLNS0_11ScoringFuncE1EEEvPKT5_PKbPfiPT4_PiiiibPKf ; -- Begin function _ZN4vllm3moe10topkGatingILi2ELi2ELi4ELi8ELi64ElfLNS0_11ScoringFuncE1EEEvPKT5_PKbPfiPT4_PiiiibPKf
	.globl	_ZN4vllm3moe10topkGatingILi2ELi2ELi4ELi8ELi64ElfLNS0_11ScoringFuncE1EEEvPKT5_PKbPfiPT4_PiiiibPKf
	.p2align	8
	.type	_ZN4vllm3moe10topkGatingILi2ELi2ELi4ELi8ELi64ElfLNS0_11ScoringFuncE1EEEvPKT5_PKbPfiPT4_PiiiibPKf,@function
_ZN4vllm3moe10topkGatingILi2ELi2ELi4ELi8ELi64ElfLNS0_11ScoringFuncE1EEEvPKT5_PKbPfiPT4_PiiiibPKf: ; @_ZN4vllm3moe10topkGatingILi2ELi2ELi4ELi8ELi64ElfLNS0_11ScoringFuncE1EEEvPKT5_PKbPfiPT4_PiiiibPKf
; %bb.0:
	s_load_b32 s3, s[0:1], 0x18
	v_bfe_u32 v1, v0, 10, 10
	v_and_b32_e32 v0, 0x3ff, v0
	s_lshl_b32 s2, s15, 8
	s_delay_alu instid0(VALU_DEP_2) | instskip(NEXT) | instid1(VALU_DEP_1)
	v_lshlrev_b32_e32 v1, 6, v1
	v_add3_u32 v10, v1, v0, s2
	s_mov_b32 s2, exec_lo
	s_waitcnt lgkmcnt(0)
	s_delay_alu instid0(VALU_DEP_1)
	v_cmpx_gt_i32_e64 s3, v10
	s_cbranch_execz .LBB231_14
; %bb.1:
	s_clause 0x1
	s_load_b128 s[4:7], s[0:1], 0x0
	s_load_b64 s[8:9], s[0:1], 0x10
	s_waitcnt lgkmcnt(0)
	s_cmp_eq_u64 s[6:7], 0
	s_cbranch_scc1 .LBB231_3
; %bb.2:
	v_ashrrev_i32_e32 v1, 31, v10
	v_add_co_u32 v0, vcc_lo, s6, v10
	s_delay_alu instid0(VALU_DEP_2) | instskip(SKIP_3) | instid1(VALU_DEP_1)
	v_add_co_ci_u32_e32 v1, vcc_lo, s7, v1, vcc_lo
	global_load_u8 v0, v[0:1], off
	s_waitcnt vmcnt(0)
	v_and_b32_e32 v0, 1, v0
	v_cmp_eq_u32_e32 vcc_lo, 1, v0
	s_xor_b32 s2, vcc_lo, -1
	s_delay_alu instid0(SALU_CYCLE_1)
	s_or_not1_b32 s10, s2, exec_lo
	s_branch .LBB231_4
.LBB231_3:
	s_mov_b32 s10, -1
.LBB231_4:
	v_lshlrev_b32_e32 v0, 1, v10
	s_delay_alu instid0(VALU_DEP_1) | instskip(NEXT) | instid1(VALU_DEP_1)
	v_ashrrev_i32_e32 v1, 31, v0
	v_lshlrev_b64 v[0:1], 2, v[0:1]
	s_delay_alu instid0(VALU_DEP_1) | instskip(NEXT) | instid1(VALU_DEP_2)
	v_add_co_u32 v0, vcc_lo, s4, v0
	v_add_co_ci_u32_e32 v1, vcc_lo, s5, v1, vcc_lo
	s_load_b64 s[4:5], s[0:1], 0x40
	global_load_b64 v[0:1], v[0:1], off
	s_waitcnt lgkmcnt(0)
	s_cmp_eq_u64 s[4:5], 0
	s_waitcnt vmcnt(0)
	v_mul_f32_e32 v1, 0xbfb8aa3b, v1
	s_delay_alu instid0(VALU_DEP_1) | instskip(SKIP_2) | instid1(VALU_DEP_1)
	v_exp_f32_e32 v1, v1
	s_waitcnt_depctr 0xfff
	v_dual_mul_f32 v0, 0xbfb8aa3b, v0 :: v_dual_add_f32 v1, 1.0, v1
	v_exp_f32_e32 v0, v0
	s_delay_alu instid0(VALU_DEP_1) | instskip(NEXT) | instid1(VALU_DEP_1)
	v_div_scale_f32 v3, null, v1, v1, 1.0
	v_rcp_f32_e32 v5, v3
	s_waitcnt_depctr 0xfff
	v_fma_f32 v7, -v3, v5, 1.0
	s_delay_alu instid0(VALU_DEP_1) | instskip(NEXT) | instid1(VALU_DEP_1)
	v_dual_add_f32 v0, 1.0, v0 :: v_dual_fmac_f32 v5, v7, v5
	v_div_scale_f32 v2, null, v0, v0, 1.0
	v_div_scale_f32 v8, vcc_lo, 1.0, v0, 1.0
	s_delay_alu instid0(VALU_DEP_2) | instskip(SKIP_2) | instid1(VALU_DEP_1)
	v_rcp_f32_e32 v4, v2
	s_waitcnt_depctr 0xfff
	v_fma_f32 v6, -v2, v4, 1.0
	v_fmac_f32_e32 v4, v6, v4
	v_div_scale_f32 v6, s2, 1.0, v1, 1.0
	s_delay_alu instid0(VALU_DEP_1) | instskip(NEXT) | instid1(VALU_DEP_1)
	v_mul_f32_e32 v9, v6, v5
	v_fma_f32 v12, -v3, v9, v6
	s_delay_alu instid0(VALU_DEP_1) | instskip(SKIP_1) | instid1(VALU_DEP_2)
	v_fmac_f32_e32 v9, v12, v5
	v_mul_f32_e32 v7, v8, v4
	v_fma_f32 v3, -v3, v9, v6
	s_delay_alu instid0(VALU_DEP_2) | instskip(NEXT) | instid1(VALU_DEP_1)
	v_fma_f32 v11, -v2, v7, v8
	v_fmac_f32_e32 v7, v11, v4
	s_delay_alu instid0(VALU_DEP_1) | instskip(NEXT) | instid1(VALU_DEP_1)
	v_fma_f32 v2, -v2, v7, v8
	v_div_fmas_f32 v2, v2, v4, v7
	s_mov_b32 vcc_lo, s2
	v_div_fmas_f32 v3, v3, v5, v9
	s_delay_alu instid0(VALU_DEP_2) | instskip(NEXT) | instid1(VALU_DEP_2)
	v_div_fixup_f32 v0, v2, v0, 1.0
	v_div_fixup_f32 v1, v3, v1, 1.0
	s_delay_alu instid0(VALU_DEP_2) | instskip(SKIP_1) | instid1(VALU_DEP_3)
	v_cmp_class_f32_e64 vcc_lo, v0, 0x1f8
	v_cndmask_b32_e32 v0, 0, v0, vcc_lo
	v_cmp_class_f32_e64 vcc_lo, v1, 0x1f8
	v_cndmask_b32_e32 v1, 0, v1, vcc_lo
	s_delay_alu instid0(VALU_DEP_1)
	v_dual_mov_b32 v3, v1 :: v_dual_mov_b32 v2, v0
	s_cbranch_scc1 .LBB231_6
; %bb.5:
	s_load_b64 s[4:5], s[4:5], 0x0
	s_waitcnt lgkmcnt(0)
	v_dual_add_f32 v2, s4, v0 :: v_dual_add_f32 v3, s5, v1
.LBB231_6:
	s_load_b128 s[4:7], s[0:1], 0x30
	s_waitcnt lgkmcnt(0)
	s_bitcmp1_b32 s7, 0
	s_cselect_b32 vcc_lo, -1, 0
	s_cmp_gt_i32 s4, 0
	s_cselect_b32 s7, -1, 0
	s_cmp_lt_i32 s4, 1
	s_cbranch_scc1 .LBB231_10
; %bb.7:
	v_mul_lo_u32 v4, v10, s4
	s_load_b128 s[12:15], s[0:1], 0x20
	v_dual_mov_b32 v11, 0 :: v_dual_mov_b32 v12, v10
	s_mov_b32 s11, 0
	s_delay_alu instid0(VALU_DEP_2) | instskip(NEXT) | instid1(VALU_DEP_1)
	v_ashrrev_i32_e32 v5, 31, v4
	v_lshlrev_b64 v[8:9], 2, v[4:5]
	v_lshlrev_b64 v[6:7], 3, v[4:5]
	s_delay_alu instid0(VALU_DEP_2) | instskip(NEXT) | instid1(VALU_DEP_1)
	v_add_co_u32 v4, s0, s8, v8
	v_add_co_ci_u32_e64 v5, s0, s9, v9, s0
	s_waitcnt lgkmcnt(0)
	s_delay_alu instid0(VALU_DEP_3) | instskip(NEXT) | instid1(VALU_DEP_1)
	v_add_co_u32 v6, s0, s12, v6
	v_add_co_ci_u32_e64 v7, s0, s13, v7, s0
	v_add_co_u32 v8, s0, s14, v8
	s_delay_alu instid0(VALU_DEP_1)
	v_add_co_ci_u32_e64 v9, s0, s15, v9, s0
.LBB231_8:                              ; =>This Inner Loop Header: Depth=1
	v_cmp_gt_f32_e64 s0, v3, v2
	global_store_b32 v[8:9], v12, off
	v_add_co_u32 v8, s1, v8, 4
	s_delay_alu instid0(VALU_DEP_1)
	v_add_co_ci_u32_e64 v9, s1, 0, v9, s1
	v_cndmask_b32_e64 v13, 0, 1, s0
	v_cndmask_b32_e64 v14, v0, v1, s0
	;; [unrolled: 1-line block ×4, first 2 shown]
	s_add_i32 s11, s11, 1
	v_cmp_le_i32_e64 s1, s5, v13
	v_cmp_gt_i32_e64 s2, s6, v13
	v_subrev_nc_u32_e32 v13, s5, v13
	global_store_b32 v[4:5], v14, off
	v_add_co_u32 v4, s0, v4, 4
	s_and_b32 s1, s1, s2
	v_ashrrev_i32_e32 v17, 31, v13
	v_add_co_ci_u32_e64 v5, s0, 0, v5, s0
	s_and_b32 s0, s10, s1
	v_add_f32_e32 v18, v11, v14
	s_delay_alu instid0(VALU_DEP_3) | instskip(SKIP_2) | instid1(VALU_DEP_3)
	v_cndmask_b32_e64 v14, 0, v17, s0
	v_cndmask_b32_e64 v13, 2, v13, s0
	s_cmp_lt_i32 s11, s4
	v_dual_cndmask_b32 v11, v11, v18 :: v_dual_add_nc_u32 v12, s3, v12
	s_cselect_b32 s0, -1, 0
	global_store_b64 v[6:7], v[13:14], off
	v_cndmask_b32_e64 v3, v3, v16, s0
	v_cndmask_b32_e64 v2, v2, v15, s0
	v_add_co_u32 v6, s0, v6, 8
	s_delay_alu instid0(VALU_DEP_1)
	v_add_co_ci_u32_e64 v7, s0, 0, v7, s0
	s_cmp_eq_u32 s4, s11
	s_cbranch_scc0 .LBB231_8
; %bb.9:
	s_and_b32 vcc_lo, exec_lo, vcc_lo
	s_cbranch_vccnz .LBB231_11
	s_branch .LBB231_14
.LBB231_10:
	v_mov_b32_e32 v11, 0
	s_and_b32 vcc_lo, exec_lo, vcc_lo
	s_cbranch_vccz .LBB231_14
.LBB231_11:
	s_and_not1_b32 vcc_lo, exec_lo, s7
	s_cbranch_vccnz .LBB231_14
; %bb.12:
	v_mul_lo_u32 v0, v10, s4
	v_cmp_lt_f32_e32 vcc_lo, 0, v11
	v_cndmask_b32_e32 v2, 1.0, v11, vcc_lo
	s_delay_alu instid0(VALU_DEP_3) | instskip(NEXT) | instid1(VALU_DEP_1)
	v_ashrrev_i32_e32 v1, 31, v0
	v_lshlrev_b64 v[0:1], 2, v[0:1]
	s_delay_alu instid0(VALU_DEP_1) | instskip(NEXT) | instid1(VALU_DEP_2)
	v_add_co_u32 v0, vcc_lo, s8, v0
	v_add_co_ci_u32_e32 v1, vcc_lo, s9, v1, vcc_lo
	.p2align	6
.LBB231_13:                             ; =>This Inner Loop Header: Depth=1
	global_load_b32 v3, v[0:1], off
	s_add_i32 s4, s4, -1
	s_delay_alu instid0(SALU_CYCLE_1) | instskip(SKIP_3) | instid1(VALU_DEP_2)
	s_cmp_lg_u32 s4, 0
	s_waitcnt vmcnt(0)
	v_div_scale_f32 v4, null, v2, v2, v3
	v_div_scale_f32 v7, vcc_lo, v3, v2, v3
	v_rcp_f32_e32 v5, v4
	s_waitcnt_depctr 0xfff
	v_fma_f32 v6, -v4, v5, 1.0
	s_delay_alu instid0(VALU_DEP_1) | instskip(NEXT) | instid1(VALU_DEP_1)
	v_fmac_f32_e32 v5, v6, v5
	v_mul_f32_e32 v6, v7, v5
	s_delay_alu instid0(VALU_DEP_1) | instskip(NEXT) | instid1(VALU_DEP_1)
	v_fma_f32 v8, -v4, v6, v7
	v_fmac_f32_e32 v6, v8, v5
	s_delay_alu instid0(VALU_DEP_1) | instskip(NEXT) | instid1(VALU_DEP_1)
	v_fma_f32 v4, -v4, v6, v7
	v_div_fmas_f32 v4, v4, v5, v6
	s_delay_alu instid0(VALU_DEP_1)
	v_div_fixup_f32 v3, v4, v2, v3
	global_store_b32 v[0:1], v3, off
	v_add_co_u32 v0, vcc_lo, v0, 4
	v_add_co_ci_u32_e32 v1, vcc_lo, 0, v1, vcc_lo
	s_cbranch_scc1 .LBB231_13
.LBB231_14:
	s_nop 0
	s_sendmsg sendmsg(MSG_DEALLOC_VGPRS)
	s_endpgm
	.section	.rodata,"a",@progbits
	.p2align	6, 0x0
	.amdhsa_kernel _ZN4vllm3moe10topkGatingILi2ELi2ELi4ELi8ELi64ElfLNS0_11ScoringFuncE1EEEvPKT5_PKbPfiPT4_PiiiibPKf
		.amdhsa_group_segment_fixed_size 0
		.amdhsa_private_segment_fixed_size 0
		.amdhsa_kernarg_size 72
		.amdhsa_user_sgpr_count 15
		.amdhsa_user_sgpr_dispatch_ptr 0
		.amdhsa_user_sgpr_queue_ptr 0
		.amdhsa_user_sgpr_kernarg_segment_ptr 1
		.amdhsa_user_sgpr_dispatch_id 0
		.amdhsa_user_sgpr_private_segment_size 0
		.amdhsa_wavefront_size32 1
		.amdhsa_uses_dynamic_stack 0
		.amdhsa_enable_private_segment 0
		.amdhsa_system_sgpr_workgroup_id_x 1
		.amdhsa_system_sgpr_workgroup_id_y 0
		.amdhsa_system_sgpr_workgroup_id_z 0
		.amdhsa_system_sgpr_workgroup_info 0
		.amdhsa_system_vgpr_workitem_id 1
		.amdhsa_next_free_vgpr 19
		.amdhsa_next_free_sgpr 16
		.amdhsa_reserve_vcc 1
		.amdhsa_float_round_mode_32 0
		.amdhsa_float_round_mode_16_64 0
		.amdhsa_float_denorm_mode_32 3
		.amdhsa_float_denorm_mode_16_64 3
		.amdhsa_dx10_clamp 1
		.amdhsa_ieee_mode 1
		.amdhsa_fp16_overflow 0
		.amdhsa_workgroup_processor_mode 1
		.amdhsa_memory_ordered 1
		.amdhsa_forward_progress 0
		.amdhsa_shared_vgpr_count 0
		.amdhsa_exception_fp_ieee_invalid_op 0
		.amdhsa_exception_fp_denorm_src 0
		.amdhsa_exception_fp_ieee_div_zero 0
		.amdhsa_exception_fp_ieee_overflow 0
		.amdhsa_exception_fp_ieee_underflow 0
		.amdhsa_exception_fp_ieee_inexact 0
		.amdhsa_exception_int_div_zero 0
	.end_amdhsa_kernel
	.section	.text._ZN4vllm3moe10topkGatingILi2ELi2ELi4ELi8ELi64ElfLNS0_11ScoringFuncE1EEEvPKT5_PKbPfiPT4_PiiiibPKf,"axG",@progbits,_ZN4vllm3moe10topkGatingILi2ELi2ELi4ELi8ELi64ElfLNS0_11ScoringFuncE1EEEvPKT5_PKbPfiPT4_PiiiibPKf,comdat
.Lfunc_end231:
	.size	_ZN4vllm3moe10topkGatingILi2ELi2ELi4ELi8ELi64ElfLNS0_11ScoringFuncE1EEEvPKT5_PKbPfiPT4_PiiiibPKf, .Lfunc_end231-_ZN4vllm3moe10topkGatingILi2ELi2ELi4ELi8ELi64ElfLNS0_11ScoringFuncE1EEEvPKT5_PKbPfiPT4_PiiiibPKf
                                        ; -- End function
	.section	.AMDGPU.csdata,"",@progbits
; Kernel info:
; codeLenInByte = 1136
; NumSgprs: 18
; NumVgprs: 19
; ScratchSize: 0
; MemoryBound: 0
; FloatMode: 240
; IeeeMode: 1
; LDSByteSize: 0 bytes/workgroup (compile time only)
; SGPRBlocks: 2
; VGPRBlocks: 2
; NumSGPRsForWavesPerEU: 18
; NumVGPRsForWavesPerEU: 19
; Occupancy: 16
; WaveLimiterHint : 0
; COMPUTE_PGM_RSRC2:SCRATCH_EN: 0
; COMPUTE_PGM_RSRC2:USER_SGPR: 15
; COMPUTE_PGM_RSRC2:TRAP_HANDLER: 0
; COMPUTE_PGM_RSRC2:TGID_X_EN: 1
; COMPUTE_PGM_RSRC2:TGID_Y_EN: 0
; COMPUTE_PGM_RSRC2:TGID_Z_EN: 0
; COMPUTE_PGM_RSRC2:TIDIG_COMP_CNT: 1
	.section	.text._ZN4vllm3moe10topkGatingILi2ELi2ELi4ELi8ELi32ElfLNS0_11ScoringFuncE1EEEvPKT5_PKbPfiPT4_PiiiibPKf,"axG",@progbits,_ZN4vllm3moe10topkGatingILi2ELi2ELi4ELi8ELi32ElfLNS0_11ScoringFuncE1EEEvPKT5_PKbPfiPT4_PiiiibPKf,comdat
	.protected	_ZN4vllm3moe10topkGatingILi2ELi2ELi4ELi8ELi32ElfLNS0_11ScoringFuncE1EEEvPKT5_PKbPfiPT4_PiiiibPKf ; -- Begin function _ZN4vllm3moe10topkGatingILi2ELi2ELi4ELi8ELi32ElfLNS0_11ScoringFuncE1EEEvPKT5_PKbPfiPT4_PiiiibPKf
	.globl	_ZN4vllm3moe10topkGatingILi2ELi2ELi4ELi8ELi32ElfLNS0_11ScoringFuncE1EEEvPKT5_PKbPfiPT4_PiiiibPKf
	.p2align	8
	.type	_ZN4vllm3moe10topkGatingILi2ELi2ELi4ELi8ELi32ElfLNS0_11ScoringFuncE1EEEvPKT5_PKbPfiPT4_PiiiibPKf,@function
_ZN4vllm3moe10topkGatingILi2ELi2ELi4ELi8ELi32ElfLNS0_11ScoringFuncE1EEEvPKT5_PKbPfiPT4_PiiiibPKf: ; @_ZN4vllm3moe10topkGatingILi2ELi2ELi4ELi8ELi32ElfLNS0_11ScoringFuncE1EEEvPKT5_PKbPfiPT4_PiiiibPKf
; %bb.0:
	s_load_b32 s3, s[0:1], 0x18
	v_bfe_u32 v1, v0, 10, 10
	v_and_b32_e32 v0, 0x3ff, v0
	s_lshl_b32 s2, s15, 7
	s_delay_alu instid0(VALU_DEP_2) | instskip(NEXT) | instid1(VALU_DEP_1)
	v_lshlrev_b32_e32 v1, 5, v1
	v_add3_u32 v10, v1, v0, s2
	s_mov_b32 s2, exec_lo
	s_waitcnt lgkmcnt(0)
	s_delay_alu instid0(VALU_DEP_1)
	v_cmpx_gt_i32_e64 s3, v10
	s_cbranch_execz .LBB232_14
; %bb.1:
	s_clause 0x1
	s_load_b128 s[4:7], s[0:1], 0x0
	s_load_b64 s[8:9], s[0:1], 0x10
	s_waitcnt lgkmcnt(0)
	s_cmp_eq_u64 s[6:7], 0
	s_cbranch_scc1 .LBB232_3
; %bb.2:
	v_ashrrev_i32_e32 v1, 31, v10
	v_add_co_u32 v0, vcc_lo, s6, v10
	s_delay_alu instid0(VALU_DEP_2) | instskip(SKIP_3) | instid1(VALU_DEP_1)
	v_add_co_ci_u32_e32 v1, vcc_lo, s7, v1, vcc_lo
	global_load_u8 v0, v[0:1], off
	s_waitcnt vmcnt(0)
	v_and_b32_e32 v0, 1, v0
	v_cmp_eq_u32_e32 vcc_lo, 1, v0
	s_xor_b32 s2, vcc_lo, -1
	s_delay_alu instid0(SALU_CYCLE_1)
	s_or_not1_b32 s10, s2, exec_lo
	s_branch .LBB232_4
.LBB232_3:
	s_mov_b32 s10, -1
.LBB232_4:
	v_lshlrev_b32_e32 v0, 1, v10
	s_delay_alu instid0(VALU_DEP_1) | instskip(NEXT) | instid1(VALU_DEP_1)
	v_ashrrev_i32_e32 v1, 31, v0
	v_lshlrev_b64 v[0:1], 2, v[0:1]
	s_delay_alu instid0(VALU_DEP_1) | instskip(NEXT) | instid1(VALU_DEP_2)
	v_add_co_u32 v0, vcc_lo, s4, v0
	v_add_co_ci_u32_e32 v1, vcc_lo, s5, v1, vcc_lo
	s_load_b64 s[4:5], s[0:1], 0x40
	global_load_b64 v[0:1], v[0:1], off
	s_waitcnt lgkmcnt(0)
	s_cmp_eq_u64 s[4:5], 0
	s_waitcnt vmcnt(0)
	v_mul_f32_e32 v1, 0xbfb8aa3b, v1
	s_delay_alu instid0(VALU_DEP_1) | instskip(SKIP_2) | instid1(VALU_DEP_1)
	v_exp_f32_e32 v1, v1
	s_waitcnt_depctr 0xfff
	v_dual_mul_f32 v0, 0xbfb8aa3b, v0 :: v_dual_add_f32 v1, 1.0, v1
	v_exp_f32_e32 v0, v0
	s_delay_alu instid0(VALU_DEP_1) | instskip(NEXT) | instid1(VALU_DEP_1)
	v_div_scale_f32 v3, null, v1, v1, 1.0
	v_rcp_f32_e32 v5, v3
	s_waitcnt_depctr 0xfff
	v_fma_f32 v7, -v3, v5, 1.0
	s_delay_alu instid0(VALU_DEP_1) | instskip(NEXT) | instid1(VALU_DEP_1)
	v_dual_add_f32 v0, 1.0, v0 :: v_dual_fmac_f32 v5, v7, v5
	v_div_scale_f32 v2, null, v0, v0, 1.0
	v_div_scale_f32 v8, vcc_lo, 1.0, v0, 1.0
	s_delay_alu instid0(VALU_DEP_2) | instskip(SKIP_2) | instid1(VALU_DEP_1)
	v_rcp_f32_e32 v4, v2
	s_waitcnt_depctr 0xfff
	v_fma_f32 v6, -v2, v4, 1.0
	v_fmac_f32_e32 v4, v6, v4
	v_div_scale_f32 v6, s2, 1.0, v1, 1.0
	s_delay_alu instid0(VALU_DEP_1) | instskip(NEXT) | instid1(VALU_DEP_1)
	v_mul_f32_e32 v9, v6, v5
	v_fma_f32 v12, -v3, v9, v6
	s_delay_alu instid0(VALU_DEP_1) | instskip(SKIP_1) | instid1(VALU_DEP_2)
	v_fmac_f32_e32 v9, v12, v5
	v_mul_f32_e32 v7, v8, v4
	v_fma_f32 v3, -v3, v9, v6
	s_delay_alu instid0(VALU_DEP_2) | instskip(NEXT) | instid1(VALU_DEP_1)
	v_fma_f32 v11, -v2, v7, v8
	v_fmac_f32_e32 v7, v11, v4
	s_delay_alu instid0(VALU_DEP_1) | instskip(NEXT) | instid1(VALU_DEP_1)
	v_fma_f32 v2, -v2, v7, v8
	v_div_fmas_f32 v2, v2, v4, v7
	s_mov_b32 vcc_lo, s2
	v_div_fmas_f32 v3, v3, v5, v9
	s_delay_alu instid0(VALU_DEP_2) | instskip(NEXT) | instid1(VALU_DEP_2)
	v_div_fixup_f32 v0, v2, v0, 1.0
	v_div_fixup_f32 v1, v3, v1, 1.0
	s_delay_alu instid0(VALU_DEP_2) | instskip(SKIP_1) | instid1(VALU_DEP_3)
	v_cmp_class_f32_e64 vcc_lo, v0, 0x1f8
	v_cndmask_b32_e32 v0, 0, v0, vcc_lo
	v_cmp_class_f32_e64 vcc_lo, v1, 0x1f8
	v_cndmask_b32_e32 v1, 0, v1, vcc_lo
	s_delay_alu instid0(VALU_DEP_1)
	v_dual_mov_b32 v3, v1 :: v_dual_mov_b32 v2, v0
	s_cbranch_scc1 .LBB232_6
; %bb.5:
	s_load_b64 s[4:5], s[4:5], 0x0
	s_waitcnt lgkmcnt(0)
	v_dual_add_f32 v2, s4, v0 :: v_dual_add_f32 v3, s5, v1
.LBB232_6:
	s_load_b128 s[4:7], s[0:1], 0x30
	s_waitcnt lgkmcnt(0)
	s_bitcmp1_b32 s7, 0
	s_cselect_b32 vcc_lo, -1, 0
	s_cmp_gt_i32 s4, 0
	s_cselect_b32 s7, -1, 0
	s_cmp_lt_i32 s4, 1
	s_cbranch_scc1 .LBB232_10
; %bb.7:
	v_mul_lo_u32 v4, v10, s4
	s_load_b128 s[12:15], s[0:1], 0x20
	v_dual_mov_b32 v11, 0 :: v_dual_mov_b32 v12, v10
	s_mov_b32 s11, 0
	s_delay_alu instid0(VALU_DEP_2) | instskip(NEXT) | instid1(VALU_DEP_1)
	v_ashrrev_i32_e32 v5, 31, v4
	v_lshlrev_b64 v[8:9], 2, v[4:5]
	v_lshlrev_b64 v[6:7], 3, v[4:5]
	s_delay_alu instid0(VALU_DEP_2) | instskip(NEXT) | instid1(VALU_DEP_1)
	v_add_co_u32 v4, s0, s8, v8
	v_add_co_ci_u32_e64 v5, s0, s9, v9, s0
	s_waitcnt lgkmcnt(0)
	s_delay_alu instid0(VALU_DEP_3) | instskip(NEXT) | instid1(VALU_DEP_1)
	v_add_co_u32 v6, s0, s12, v6
	v_add_co_ci_u32_e64 v7, s0, s13, v7, s0
	v_add_co_u32 v8, s0, s14, v8
	s_delay_alu instid0(VALU_DEP_1)
	v_add_co_ci_u32_e64 v9, s0, s15, v9, s0
.LBB232_8:                              ; =>This Inner Loop Header: Depth=1
	v_cmp_gt_f32_e64 s0, v3, v2
	global_store_b32 v[8:9], v12, off
	v_add_co_u32 v8, s1, v8, 4
	s_delay_alu instid0(VALU_DEP_1)
	v_add_co_ci_u32_e64 v9, s1, 0, v9, s1
	v_cndmask_b32_e64 v13, 0, 1, s0
	v_cndmask_b32_e64 v14, v0, v1, s0
	;; [unrolled: 1-line block ×4, first 2 shown]
	s_add_i32 s11, s11, 1
	v_cmp_le_i32_e64 s1, s5, v13
	v_cmp_gt_i32_e64 s2, s6, v13
	v_subrev_nc_u32_e32 v13, s5, v13
	global_store_b32 v[4:5], v14, off
	v_add_co_u32 v4, s0, v4, 4
	s_and_b32 s1, s1, s2
	v_ashrrev_i32_e32 v17, 31, v13
	v_add_co_ci_u32_e64 v5, s0, 0, v5, s0
	s_and_b32 s0, s10, s1
	v_add_f32_e32 v18, v11, v14
	s_delay_alu instid0(VALU_DEP_3) | instskip(SKIP_2) | instid1(VALU_DEP_3)
	v_cndmask_b32_e64 v14, 0, v17, s0
	v_cndmask_b32_e64 v13, 2, v13, s0
	s_cmp_lt_i32 s11, s4
	v_dual_cndmask_b32 v11, v11, v18 :: v_dual_add_nc_u32 v12, s3, v12
	s_cselect_b32 s0, -1, 0
	global_store_b64 v[6:7], v[13:14], off
	v_cndmask_b32_e64 v3, v3, v16, s0
	v_cndmask_b32_e64 v2, v2, v15, s0
	v_add_co_u32 v6, s0, v6, 8
	s_delay_alu instid0(VALU_DEP_1)
	v_add_co_ci_u32_e64 v7, s0, 0, v7, s0
	s_cmp_eq_u32 s4, s11
	s_cbranch_scc0 .LBB232_8
; %bb.9:
	s_and_b32 vcc_lo, exec_lo, vcc_lo
	s_cbranch_vccnz .LBB232_11
	s_branch .LBB232_14
.LBB232_10:
	v_mov_b32_e32 v11, 0
	s_and_b32 vcc_lo, exec_lo, vcc_lo
	s_cbranch_vccz .LBB232_14
.LBB232_11:
	s_and_not1_b32 vcc_lo, exec_lo, s7
	s_cbranch_vccnz .LBB232_14
; %bb.12:
	v_mul_lo_u32 v0, v10, s4
	v_cmp_lt_f32_e32 vcc_lo, 0, v11
	v_cndmask_b32_e32 v2, 1.0, v11, vcc_lo
	s_delay_alu instid0(VALU_DEP_3) | instskip(NEXT) | instid1(VALU_DEP_1)
	v_ashrrev_i32_e32 v1, 31, v0
	v_lshlrev_b64 v[0:1], 2, v[0:1]
	s_delay_alu instid0(VALU_DEP_1) | instskip(NEXT) | instid1(VALU_DEP_2)
	v_add_co_u32 v0, vcc_lo, s8, v0
	v_add_co_ci_u32_e32 v1, vcc_lo, s9, v1, vcc_lo
	.p2align	6
.LBB232_13:                             ; =>This Inner Loop Header: Depth=1
	global_load_b32 v3, v[0:1], off
	s_add_i32 s4, s4, -1
	s_delay_alu instid0(SALU_CYCLE_1) | instskip(SKIP_3) | instid1(VALU_DEP_2)
	s_cmp_lg_u32 s4, 0
	s_waitcnt vmcnt(0)
	v_div_scale_f32 v4, null, v2, v2, v3
	v_div_scale_f32 v7, vcc_lo, v3, v2, v3
	v_rcp_f32_e32 v5, v4
	s_waitcnt_depctr 0xfff
	v_fma_f32 v6, -v4, v5, 1.0
	s_delay_alu instid0(VALU_DEP_1) | instskip(NEXT) | instid1(VALU_DEP_1)
	v_fmac_f32_e32 v5, v6, v5
	v_mul_f32_e32 v6, v7, v5
	s_delay_alu instid0(VALU_DEP_1) | instskip(NEXT) | instid1(VALU_DEP_1)
	v_fma_f32 v8, -v4, v6, v7
	v_fmac_f32_e32 v6, v8, v5
	s_delay_alu instid0(VALU_DEP_1) | instskip(NEXT) | instid1(VALU_DEP_1)
	v_fma_f32 v4, -v4, v6, v7
	v_div_fmas_f32 v4, v4, v5, v6
	s_delay_alu instid0(VALU_DEP_1)
	v_div_fixup_f32 v3, v4, v2, v3
	global_store_b32 v[0:1], v3, off
	v_add_co_u32 v0, vcc_lo, v0, 4
	v_add_co_ci_u32_e32 v1, vcc_lo, 0, v1, vcc_lo
	s_cbranch_scc1 .LBB232_13
.LBB232_14:
	s_nop 0
	s_sendmsg sendmsg(MSG_DEALLOC_VGPRS)
	s_endpgm
	.section	.rodata,"a",@progbits
	.p2align	6, 0x0
	.amdhsa_kernel _ZN4vllm3moe10topkGatingILi2ELi2ELi4ELi8ELi32ElfLNS0_11ScoringFuncE1EEEvPKT5_PKbPfiPT4_PiiiibPKf
		.amdhsa_group_segment_fixed_size 0
		.amdhsa_private_segment_fixed_size 0
		.amdhsa_kernarg_size 72
		.amdhsa_user_sgpr_count 15
		.amdhsa_user_sgpr_dispatch_ptr 0
		.amdhsa_user_sgpr_queue_ptr 0
		.amdhsa_user_sgpr_kernarg_segment_ptr 1
		.amdhsa_user_sgpr_dispatch_id 0
		.amdhsa_user_sgpr_private_segment_size 0
		.amdhsa_wavefront_size32 1
		.amdhsa_uses_dynamic_stack 0
		.amdhsa_enable_private_segment 0
		.amdhsa_system_sgpr_workgroup_id_x 1
		.amdhsa_system_sgpr_workgroup_id_y 0
		.amdhsa_system_sgpr_workgroup_id_z 0
		.amdhsa_system_sgpr_workgroup_info 0
		.amdhsa_system_vgpr_workitem_id 1
		.amdhsa_next_free_vgpr 19
		.amdhsa_next_free_sgpr 16
		.amdhsa_reserve_vcc 1
		.amdhsa_float_round_mode_32 0
		.amdhsa_float_round_mode_16_64 0
		.amdhsa_float_denorm_mode_32 3
		.amdhsa_float_denorm_mode_16_64 3
		.amdhsa_dx10_clamp 1
		.amdhsa_ieee_mode 1
		.amdhsa_fp16_overflow 0
		.amdhsa_workgroup_processor_mode 1
		.amdhsa_memory_ordered 1
		.amdhsa_forward_progress 0
		.amdhsa_shared_vgpr_count 0
		.amdhsa_exception_fp_ieee_invalid_op 0
		.amdhsa_exception_fp_denorm_src 0
		.amdhsa_exception_fp_ieee_div_zero 0
		.amdhsa_exception_fp_ieee_overflow 0
		.amdhsa_exception_fp_ieee_underflow 0
		.amdhsa_exception_fp_ieee_inexact 0
		.amdhsa_exception_int_div_zero 0
	.end_amdhsa_kernel
	.section	.text._ZN4vllm3moe10topkGatingILi2ELi2ELi4ELi8ELi32ElfLNS0_11ScoringFuncE1EEEvPKT5_PKbPfiPT4_PiiiibPKf,"axG",@progbits,_ZN4vllm3moe10topkGatingILi2ELi2ELi4ELi8ELi32ElfLNS0_11ScoringFuncE1EEEvPKT5_PKbPfiPT4_PiiiibPKf,comdat
.Lfunc_end232:
	.size	_ZN4vllm3moe10topkGatingILi2ELi2ELi4ELi8ELi32ElfLNS0_11ScoringFuncE1EEEvPKT5_PKbPfiPT4_PiiiibPKf, .Lfunc_end232-_ZN4vllm3moe10topkGatingILi2ELi2ELi4ELi8ELi32ElfLNS0_11ScoringFuncE1EEEvPKT5_PKbPfiPT4_PiiiibPKf
                                        ; -- End function
	.section	.AMDGPU.csdata,"",@progbits
; Kernel info:
; codeLenInByte = 1136
; NumSgprs: 18
; NumVgprs: 19
; ScratchSize: 0
; MemoryBound: 0
; FloatMode: 240
; IeeeMode: 1
; LDSByteSize: 0 bytes/workgroup (compile time only)
; SGPRBlocks: 2
; VGPRBlocks: 2
; NumSGPRsForWavesPerEU: 18
; NumVGPRsForWavesPerEU: 19
; Occupancy: 16
; WaveLimiterHint : 0
; COMPUTE_PGM_RSRC2:SCRATCH_EN: 0
; COMPUTE_PGM_RSRC2:USER_SGPR: 15
; COMPUTE_PGM_RSRC2:TRAP_HANDLER: 0
; COMPUTE_PGM_RSRC2:TGID_X_EN: 1
; COMPUTE_PGM_RSRC2:TGID_Y_EN: 0
; COMPUTE_PGM_RSRC2:TGID_Z_EN: 0
; COMPUTE_PGM_RSRC2:TIDIG_COMP_CNT: 1
	.section	.text._ZN4vllm3moe10topkGatingILi4ELi4ELi4ELi16ELi64ElfLNS0_11ScoringFuncE1EEEvPKT5_PKbPfiPT4_PiiiibPKf,"axG",@progbits,_ZN4vllm3moe10topkGatingILi4ELi4ELi4ELi16ELi64ElfLNS0_11ScoringFuncE1EEEvPKT5_PKbPfiPT4_PiiiibPKf,comdat
	.protected	_ZN4vllm3moe10topkGatingILi4ELi4ELi4ELi16ELi64ElfLNS0_11ScoringFuncE1EEEvPKT5_PKbPfiPT4_PiiiibPKf ; -- Begin function _ZN4vllm3moe10topkGatingILi4ELi4ELi4ELi16ELi64ElfLNS0_11ScoringFuncE1EEEvPKT5_PKbPfiPT4_PiiiibPKf
	.globl	_ZN4vllm3moe10topkGatingILi4ELi4ELi4ELi16ELi64ElfLNS0_11ScoringFuncE1EEEvPKT5_PKbPfiPT4_PiiiibPKf
	.p2align	8
	.type	_ZN4vllm3moe10topkGatingILi4ELi4ELi4ELi16ELi64ElfLNS0_11ScoringFuncE1EEEvPKT5_PKbPfiPT4_PiiiibPKf,@function
_ZN4vllm3moe10topkGatingILi4ELi4ELi4ELi16ELi64ElfLNS0_11ScoringFuncE1EEEvPKT5_PKbPfiPT4_PiiiibPKf: ; @_ZN4vllm3moe10topkGatingILi4ELi4ELi4ELi16ELi64ElfLNS0_11ScoringFuncE1EEEvPKT5_PKbPfiPT4_PiiiibPKf
; %bb.0:
	s_load_b32 s10, s[0:1], 0x18
	v_bfe_u32 v1, v0, 10, 10
	v_and_b32_e32 v0, 0x3ff, v0
	s_lshl_b32 s2, s15, 8
	s_delay_alu instid0(VALU_DEP_2) | instskip(NEXT) | instid1(VALU_DEP_1)
	v_lshlrev_b32_e32 v1, 6, v1
	v_add3_u32 v14, v1, v0, s2
	s_mov_b32 s2, exec_lo
	s_waitcnt lgkmcnt(0)
	s_delay_alu instid0(VALU_DEP_1)
	v_cmpx_gt_i32_e64 s10, v14
	s_cbranch_execz .LBB233_15
; %bb.1:
	s_clause 0x1
	s_load_b128 s[4:7], s[0:1], 0x0
	s_load_b64 s[8:9], s[0:1], 0x10
	s_mov_b32 s12, -1
	s_mov_b32 s11, -1
	s_waitcnt lgkmcnt(0)
	s_cmp_eq_u64 s[6:7], 0
	s_cbranch_scc1 .LBB233_3
; %bb.2:
	v_ashrrev_i32_e32 v1, 31, v14
	v_add_co_u32 v0, vcc_lo, s6, v14
	s_delay_alu instid0(VALU_DEP_2) | instskip(SKIP_3) | instid1(VALU_DEP_1)
	v_add_co_ci_u32_e32 v1, vcc_lo, s7, v1, vcc_lo
	global_load_u8 v0, v[0:1], off
	s_waitcnt vmcnt(0)
	v_and_b32_e32 v0, 1, v0
	v_cmp_eq_u32_e32 vcc_lo, 1, v0
	s_xor_b32 s2, vcc_lo, -1
	s_delay_alu instid0(SALU_CYCLE_1)
	s_or_not1_b32 s11, s2, exec_lo
.LBB233_3:
	v_lshlrev_b32_e32 v0, 2, v14
	s_load_b64 s[6:7], s[0:1], 0x40
	s_delay_alu instid0(VALU_DEP_1) | instskip(NEXT) | instid1(VALU_DEP_1)
	v_ashrrev_i32_e32 v1, 31, v0
	v_lshlrev_b64 v[0:1], 2, v[0:1]
	s_delay_alu instid0(VALU_DEP_1) | instskip(NEXT) | instid1(VALU_DEP_2)
	v_add_co_u32 v0, vcc_lo, s4, v0
	v_add_co_ci_u32_e32 v1, vcc_lo, s5, v1, vcc_lo
	s_waitcnt lgkmcnt(0)
	s_cmp_eq_u64 s[6:7], 0
	global_load_b128 v[0:3], v[0:1], off
	s_waitcnt vmcnt(0)
	v_dual_mul_f32 v1, 0xbfb8aa3b, v1 :: v_dual_mul_f32 v0, 0xbfb8aa3b, v0
	v_mul_f32_e32 v3, 0xbfb8aa3b, v3
	s_delay_alu instid0(VALU_DEP_2) | instskip(SKIP_1) | instid1(VALU_DEP_3)
	v_exp_f32_e32 v1, v1
	v_mul_f32_e32 v2, 0xbfb8aa3b, v2
	v_exp_f32_e32 v0, v0
	s_delay_alu instid0(VALU_DEP_2) | instskip(NEXT) | instid1(TRANS32_DEP_3)
	v_exp_f32_e32 v3, v3
	v_add_f32_e32 v1, 1.0, v1
	s_delay_alu instid0(VALU_DEP_2) | instskip(SKIP_3) | instid1(VALU_DEP_2)
	v_exp_f32_e32 v2, v2
	s_waitcnt_depctr 0xfff
	v_dual_add_f32 v0, 1.0, v0 :: v_dual_add_f32 v3, 1.0, v3
	v_div_scale_f32 v5, null, v1, v1, 1.0
	v_div_scale_f32 v4, null, v0, v0, 1.0
	s_delay_alu instid0(VALU_DEP_3) | instskip(NEXT) | instid1(VALU_DEP_3)
	v_div_scale_f32 v7, null, v3, v3, 1.0
	v_rcp_f32_e32 v9, v5
	s_delay_alu instid0(VALU_DEP_2) | instskip(SKIP_1) | instid1(VALU_DEP_2)
	v_rcp_f32_e32 v8, v4
	v_div_scale_f32 v13, s2, 1.0, v1, 1.0
	v_rcp_f32_e32 v11, v7
	v_div_scale_f32 v12, vcc_lo, 1.0, v0, 1.0
	v_div_scale_f32 v20, s4, 1.0, v3, 1.0
	s_delay_alu instid0(TRANS32_DEP_3) | instskip(SKIP_1) | instid1(TRANS32_DEP_2)
	v_fma_f32 v17, -v5, v9, 1.0
	v_add_f32_e32 v2, 1.0, v2
	v_fma_f32 v16, -v4, v8, 1.0
	s_waitcnt_depctr 0xfff
	v_fma_f32 v19, -v7, v11, 1.0
	v_fmac_f32_e32 v9, v17, v9
	v_div_scale_f32 v6, null, v2, v2, 1.0
	s_delay_alu instid0(VALU_DEP_3) | instskip(SKIP_1) | instid1(VALU_DEP_3)
	v_dual_fmac_f32 v8, v16, v8 :: v_dual_fmac_f32 v11, v19, v11
	v_div_scale_f32 v15, s3, 1.0, v2, 1.0
	v_rcp_f32_e32 v10, v6
	v_mul_f32_e32 v17, v13, v9
	s_delay_alu instid0(VALU_DEP_3) | instskip(NEXT) | instid1(VALU_DEP_2)
	v_mul_f32_e32 v19, v20, v11
	v_fma_f32 v22, -v5, v17, v13
	v_mul_f32_e32 v16, v12, v8
	s_delay_alu instid0(VALU_DEP_3) | instskip(SKIP_4) | instid1(VALU_DEP_3)
	v_fma_f32 v24, -v7, v19, v20
	s_waitcnt_depctr 0xfff
	v_fma_f32 v18, -v6, v10, 1.0
	v_fmac_f32_e32 v17, v22, v9
	v_fma_f32 v21, -v4, v16, v12
	v_dual_fmac_f32 v19, v24, v11 :: v_dual_fmac_f32 v10, v18, v10
	s_delay_alu instid0(VALU_DEP_3) | instskip(NEXT) | instid1(VALU_DEP_3)
	v_fma_f32 v5, -v5, v17, v13
	v_fmac_f32_e32 v16, v21, v8
	s_delay_alu instid0(VALU_DEP_3) | instskip(NEXT) | instid1(VALU_DEP_4)
	v_fma_f32 v7, -v7, v19, v20
	v_mul_f32_e32 v18, v15, v10
	s_delay_alu instid0(VALU_DEP_3) | instskip(NEXT) | instid1(VALU_DEP_2)
	v_fma_f32 v4, -v4, v16, v12
	v_fma_f32 v23, -v6, v18, v15
	s_delay_alu instid0(VALU_DEP_2) | instskip(SKIP_3) | instid1(VALU_DEP_2)
	v_div_fmas_f32 v4, v4, v8, v16
	s_mov_b32 vcc_lo, s2
	v_div_fmas_f32 v5, v5, v9, v17
	s_mov_b32 vcc_lo, s3
	v_div_fixup_f32 v0, v4, v0, 1.0
	s_delay_alu instid0(VALU_DEP_2) | instskip(SKIP_1) | instid1(VALU_DEP_1)
	v_div_fixup_f32 v1, v5, v1, 1.0
	v_fmac_f32_e32 v18, v23, v10
	v_fma_f32 v6, -v6, v18, v15
	s_delay_alu instid0(VALU_DEP_1) | instskip(SKIP_3) | instid1(VALU_DEP_3)
	v_div_fmas_f32 v6, v6, v10, v18
	s_mov_b32 vcc_lo, s4
	v_div_fmas_f32 v4, v7, v11, v19
	v_cmp_class_f32_e64 vcc_lo, v0, 0x1f8
	v_div_fixup_f32 v2, v6, v2, 1.0
	s_delay_alu instid0(VALU_DEP_3)
	v_div_fixup_f32 v3, v4, v3, 1.0
	v_cndmask_b32_e32 v0, 0, v0, vcc_lo
	v_cmp_class_f32_e64 vcc_lo, v1, 0x1f8
	v_cndmask_b32_e32 v1, 0, v1, vcc_lo
	v_cmp_class_f32_e64 vcc_lo, v2, 0x1f8
	;; [unrolled: 2-line block ×3, first 2 shown]
	v_cndmask_b32_e32 v3, 0, v3, vcc_lo
	s_cbranch_scc1 .LBB233_10
; %bb.4:
	s_load_b128 s[4:7], s[6:7], 0x0
	s_waitcnt lgkmcnt(0)
	v_dual_add_f32 v4, s4, v0 :: v_dual_add_f32 v5, s5, v1
	v_dual_add_f32 v6, s6, v2 :: v_dual_add_f32 v7, s7, v3
	s_cbranch_execnz .LBB233_6
.LBB233_5:
	v_dual_mov_b32 v7, v3 :: v_dual_mov_b32 v6, v2
	v_dual_mov_b32 v5, v1 :: v_dual_mov_b32 v4, v0
.LBB233_6:
	s_load_b128 s[4:7], s[0:1], 0x30
	s_waitcnt lgkmcnt(0)
	s_bitcmp1_b32 s7, 0
	s_mov_b32 s7, 0
	s_cselect_b32 vcc_lo, -1, 0
	s_cmp_gt_i32 s4, 0
	s_cselect_b32 s3, -1, 0
	s_cmp_lt_i32 s4, 1
	s_cbranch_scc1 .LBB233_11
; %bb.7:
	v_mul_lo_u32 v8, v14, s4
	s_load_b128 s[12:15], s[0:1], 0x20
	v_dual_mov_b32 v15, 0 :: v_dual_mov_b32 v16, v14
	s_delay_alu instid0(VALU_DEP_2) | instskip(NEXT) | instid1(VALU_DEP_1)
	v_ashrrev_i32_e32 v9, 31, v8
	v_lshlrev_b64 v[12:13], 2, v[8:9]
	v_lshlrev_b64 v[10:11], 3, v[8:9]
	s_delay_alu instid0(VALU_DEP_2) | instskip(NEXT) | instid1(VALU_DEP_1)
	v_add_co_u32 v8, s0, s8, v12
	v_add_co_ci_u32_e64 v9, s0, s9, v13, s0
	s_waitcnt lgkmcnt(0)
	s_delay_alu instid0(VALU_DEP_3) | instskip(NEXT) | instid1(VALU_DEP_1)
	v_add_co_u32 v10, s0, s12, v10
	v_add_co_ci_u32_e64 v11, s0, s13, v11, s0
	v_add_co_u32 v12, s0, s14, v12
	s_delay_alu instid0(VALU_DEP_1)
	v_add_co_ci_u32_e64 v13, s0, s15, v13, s0
.LBB233_8:                              ; =>This Inner Loop Header: Depth=1
	v_cmp_gt_f32_e64 s0, v5, v4
	global_store_b32 v[12:13], v16, off
	v_add_co_u32 v12, s1, v12, 4
	s_delay_alu instid0(VALU_DEP_1)
	v_add_co_ci_u32_e64 v13, s1, 0, v13, s1
	v_cndmask_b32_e64 v18, v4, v5, s0
	v_cndmask_b32_e64 v17, 0, 1, s0
	;; [unrolled: 1-line block ×3, first 2 shown]
	s_add_i32 s7, s7, 1
	v_add_nc_u32_e32 v16, s10, v16
	v_cmp_gt_f32_e64 s0, v6, v18
	s_delay_alu instid0(VALU_DEP_1) | instskip(SKIP_2) | instid1(VALU_DEP_3)
	v_cndmask_b32_e64 v18, v18, v6, s0
	v_cndmask_b32_e64 v17, v17, 2, s0
	;; [unrolled: 1-line block ×3, first 2 shown]
	v_cmp_gt_f32_e64 s0, v7, v18
	s_delay_alu instid0(VALU_DEP_1) | instskip(NEXT) | instid1(VALU_DEP_3)
	v_cndmask_b32_e64 v17, v17, 3, s0
	v_cndmask_b32_e64 v18, v19, v3, s0
	s_delay_alu instid0(VALU_DEP_2)
	v_cmp_ne_u32_e64 s2, 0, v17
	v_cmp_le_i32_e64 s0, s5, v17
	v_cmp_gt_i32_e64 s1, s6, v17
	v_subrev_nc_u32_e32 v19, s5, v17
	global_store_b32 v[8:9], v18, off
	v_cndmask_b32_e64 v20, 0xc61c4000, v4, s2
	v_cmp_ne_u32_e64 s2, 1, v17
	s_and_b32 s1, s0, s1
	v_add_co_u32 v8, s0, v8, 4
	s_delay_alu instid0(VALU_DEP_1) | instskip(NEXT) | instid1(VALU_DEP_3)
	v_add_co_ci_u32_e64 v9, s0, 0, v9, s0
	v_cndmask_b32_e64 v21, 0xc61c4000, v5, s2
	v_cmp_ne_u32_e64 s2, 2, v17
	s_and_b32 s0, s11, s1
	v_add_f32_e32 v24, v15, v18
	s_cmp_lt_i32 s7, s4
	s_delay_alu instid0(VALU_DEP_2) | instskip(SKIP_3) | instid1(VALU_DEP_3)
	v_cndmask_b32_e64 v22, 0xc61c4000, v6, s2
	v_cmp_ne_u32_e64 s2, 3, v17
	v_ashrrev_i32_e32 v17, 31, v19
	v_cndmask_b32_e32 v15, v15, v24, vcc_lo
	v_cndmask_b32_e64 v23, 0xc61c4000, v7, s2
	s_delay_alu instid0(VALU_DEP_3)
	v_cndmask_b32_e64 v18, 0, v17, s0
	v_cndmask_b32_e64 v17, 4, v19, s0
	s_cselect_b32 s0, -1, 0
	s_cmp_eq_u32 s4, s7
	v_cndmask_b32_e64 v7, v7, v23, s0
	v_cndmask_b32_e64 v6, v6, v22, s0
	;; [unrolled: 1-line block ×4, first 2 shown]
	global_store_b64 v[10:11], v[17:18], off
	v_add_co_u32 v10, s0, v10, 8
	s_delay_alu instid0(VALU_DEP_1)
	v_add_co_ci_u32_e64 v11, s0, 0, v11, s0
	s_cbranch_scc0 .LBB233_8
; %bb.9:
	s_and_b32 vcc_lo, exec_lo, vcc_lo
	s_cbranch_vccnz .LBB233_12
	s_branch .LBB233_15
.LBB233_10:
                                        ; implicit-def: $vgpr4_vgpr5_vgpr6_vgpr7
	s_and_not1_b32 vcc_lo, exec_lo, s12
	s_cbranch_vccz .LBB233_5
	s_branch .LBB233_6
.LBB233_11:
	v_mov_b32_e32 v15, 0
	s_and_b32 vcc_lo, exec_lo, vcc_lo
	s_cbranch_vccz .LBB233_15
.LBB233_12:
	s_and_not1_b32 vcc_lo, exec_lo, s3
	s_cbranch_vccnz .LBB233_15
; %bb.13:
	v_mul_lo_u32 v0, v14, s4
	v_cmp_lt_f32_e32 vcc_lo, 0, v15
	v_cndmask_b32_e32 v2, 1.0, v15, vcc_lo
	s_delay_alu instid0(VALU_DEP_3) | instskip(NEXT) | instid1(VALU_DEP_1)
	v_ashrrev_i32_e32 v1, 31, v0
	v_lshlrev_b64 v[0:1], 2, v[0:1]
	s_delay_alu instid0(VALU_DEP_1) | instskip(NEXT) | instid1(VALU_DEP_2)
	v_add_co_u32 v0, vcc_lo, s8, v0
	v_add_co_ci_u32_e32 v1, vcc_lo, s9, v1, vcc_lo
	.p2align	6
.LBB233_14:                             ; =>This Inner Loop Header: Depth=1
	global_load_b32 v3, v[0:1], off
	s_add_i32 s4, s4, -1
	s_delay_alu instid0(SALU_CYCLE_1) | instskip(SKIP_3) | instid1(VALU_DEP_2)
	s_cmp_lg_u32 s4, 0
	s_waitcnt vmcnt(0)
	v_div_scale_f32 v4, null, v2, v2, v3
	v_div_scale_f32 v7, vcc_lo, v3, v2, v3
	v_rcp_f32_e32 v5, v4
	s_waitcnt_depctr 0xfff
	v_fma_f32 v6, -v4, v5, 1.0
	s_delay_alu instid0(VALU_DEP_1) | instskip(NEXT) | instid1(VALU_DEP_1)
	v_fmac_f32_e32 v5, v6, v5
	v_mul_f32_e32 v6, v7, v5
	s_delay_alu instid0(VALU_DEP_1) | instskip(NEXT) | instid1(VALU_DEP_1)
	v_fma_f32 v8, -v4, v6, v7
	v_fmac_f32_e32 v6, v8, v5
	s_delay_alu instid0(VALU_DEP_1) | instskip(NEXT) | instid1(VALU_DEP_1)
	v_fma_f32 v4, -v4, v6, v7
	v_div_fmas_f32 v4, v4, v5, v6
	s_delay_alu instid0(VALU_DEP_1)
	v_div_fixup_f32 v3, v4, v2, v3
	global_store_b32 v[0:1], v3, off
	v_add_co_u32 v0, vcc_lo, v0, 4
	v_add_co_ci_u32_e32 v1, vcc_lo, 0, v1, vcc_lo
	s_cbranch_scc1 .LBB233_14
.LBB233_15:
	s_nop 0
	s_sendmsg sendmsg(MSG_DEALLOC_VGPRS)
	s_endpgm
	.section	.rodata,"a",@progbits
	.p2align	6, 0x0
	.amdhsa_kernel _ZN4vllm3moe10topkGatingILi4ELi4ELi4ELi16ELi64ElfLNS0_11ScoringFuncE1EEEvPKT5_PKbPfiPT4_PiiiibPKf
		.amdhsa_group_segment_fixed_size 0
		.amdhsa_private_segment_fixed_size 0
		.amdhsa_kernarg_size 72
		.amdhsa_user_sgpr_count 15
		.amdhsa_user_sgpr_dispatch_ptr 0
		.amdhsa_user_sgpr_queue_ptr 0
		.amdhsa_user_sgpr_kernarg_segment_ptr 1
		.amdhsa_user_sgpr_dispatch_id 0
		.amdhsa_user_sgpr_private_segment_size 0
		.amdhsa_wavefront_size32 1
		.amdhsa_uses_dynamic_stack 0
		.amdhsa_enable_private_segment 0
		.amdhsa_system_sgpr_workgroup_id_x 1
		.amdhsa_system_sgpr_workgroup_id_y 0
		.amdhsa_system_sgpr_workgroup_id_z 0
		.amdhsa_system_sgpr_workgroup_info 0
		.amdhsa_system_vgpr_workitem_id 1
		.amdhsa_next_free_vgpr 25
		.amdhsa_next_free_sgpr 16
		.amdhsa_reserve_vcc 1
		.amdhsa_float_round_mode_32 0
		.amdhsa_float_round_mode_16_64 0
		.amdhsa_float_denorm_mode_32 3
		.amdhsa_float_denorm_mode_16_64 3
		.amdhsa_dx10_clamp 1
		.amdhsa_ieee_mode 1
		.amdhsa_fp16_overflow 0
		.amdhsa_workgroup_processor_mode 1
		.amdhsa_memory_ordered 1
		.amdhsa_forward_progress 0
		.amdhsa_shared_vgpr_count 0
		.amdhsa_exception_fp_ieee_invalid_op 0
		.amdhsa_exception_fp_denorm_src 0
		.amdhsa_exception_fp_ieee_div_zero 0
		.amdhsa_exception_fp_ieee_overflow 0
		.amdhsa_exception_fp_ieee_underflow 0
		.amdhsa_exception_fp_ieee_inexact 0
		.amdhsa_exception_int_div_zero 0
	.end_amdhsa_kernel
	.section	.text._ZN4vllm3moe10topkGatingILi4ELi4ELi4ELi16ELi64ElfLNS0_11ScoringFuncE1EEEvPKT5_PKbPfiPT4_PiiiibPKf,"axG",@progbits,_ZN4vllm3moe10topkGatingILi4ELi4ELi4ELi16ELi64ElfLNS0_11ScoringFuncE1EEEvPKT5_PKbPfiPT4_PiiiibPKf,comdat
.Lfunc_end233:
	.size	_ZN4vllm3moe10topkGatingILi4ELi4ELi4ELi16ELi64ElfLNS0_11ScoringFuncE1EEEvPKT5_PKbPfiPT4_PiiiibPKf, .Lfunc_end233-_ZN4vllm3moe10topkGatingILi4ELi4ELi4ELi16ELi64ElfLNS0_11ScoringFuncE1EEEvPKT5_PKbPfiPT4_PiiiibPKf
                                        ; -- End function
	.section	.AMDGPU.csdata,"",@progbits
; Kernel info:
; codeLenInByte = 1556
; NumSgprs: 18
; NumVgprs: 25
; ScratchSize: 0
; MemoryBound: 0
; FloatMode: 240
; IeeeMode: 1
; LDSByteSize: 0 bytes/workgroup (compile time only)
; SGPRBlocks: 2
; VGPRBlocks: 3
; NumSGPRsForWavesPerEU: 18
; NumVGPRsForWavesPerEU: 25
; Occupancy: 16
; WaveLimiterHint : 0
; COMPUTE_PGM_RSRC2:SCRATCH_EN: 0
; COMPUTE_PGM_RSRC2:USER_SGPR: 15
; COMPUTE_PGM_RSRC2:TRAP_HANDLER: 0
; COMPUTE_PGM_RSRC2:TGID_X_EN: 1
; COMPUTE_PGM_RSRC2:TGID_Y_EN: 0
; COMPUTE_PGM_RSRC2:TGID_Z_EN: 0
; COMPUTE_PGM_RSRC2:TIDIG_COMP_CNT: 1
	.section	.text._ZN4vllm3moe10topkGatingILi4ELi4ELi4ELi16ELi32ElfLNS0_11ScoringFuncE1EEEvPKT5_PKbPfiPT4_PiiiibPKf,"axG",@progbits,_ZN4vllm3moe10topkGatingILi4ELi4ELi4ELi16ELi32ElfLNS0_11ScoringFuncE1EEEvPKT5_PKbPfiPT4_PiiiibPKf,comdat
	.protected	_ZN4vllm3moe10topkGatingILi4ELi4ELi4ELi16ELi32ElfLNS0_11ScoringFuncE1EEEvPKT5_PKbPfiPT4_PiiiibPKf ; -- Begin function _ZN4vllm3moe10topkGatingILi4ELi4ELi4ELi16ELi32ElfLNS0_11ScoringFuncE1EEEvPKT5_PKbPfiPT4_PiiiibPKf
	.globl	_ZN4vllm3moe10topkGatingILi4ELi4ELi4ELi16ELi32ElfLNS0_11ScoringFuncE1EEEvPKT5_PKbPfiPT4_PiiiibPKf
	.p2align	8
	.type	_ZN4vllm3moe10topkGatingILi4ELi4ELi4ELi16ELi32ElfLNS0_11ScoringFuncE1EEEvPKT5_PKbPfiPT4_PiiiibPKf,@function
_ZN4vllm3moe10topkGatingILi4ELi4ELi4ELi16ELi32ElfLNS0_11ScoringFuncE1EEEvPKT5_PKbPfiPT4_PiiiibPKf: ; @_ZN4vllm3moe10topkGatingILi4ELi4ELi4ELi16ELi32ElfLNS0_11ScoringFuncE1EEEvPKT5_PKbPfiPT4_PiiiibPKf
; %bb.0:
	s_load_b32 s10, s[0:1], 0x18
	v_bfe_u32 v1, v0, 10, 10
	v_and_b32_e32 v0, 0x3ff, v0
	s_lshl_b32 s2, s15, 7
	s_delay_alu instid0(VALU_DEP_2) | instskip(NEXT) | instid1(VALU_DEP_1)
	v_lshlrev_b32_e32 v1, 5, v1
	v_add3_u32 v14, v1, v0, s2
	s_mov_b32 s2, exec_lo
	s_waitcnt lgkmcnt(0)
	s_delay_alu instid0(VALU_DEP_1)
	v_cmpx_gt_i32_e64 s10, v14
	s_cbranch_execz .LBB234_15
; %bb.1:
	s_clause 0x1
	s_load_b128 s[4:7], s[0:1], 0x0
	s_load_b64 s[8:9], s[0:1], 0x10
	s_mov_b32 s12, -1
	s_mov_b32 s11, -1
	s_waitcnt lgkmcnt(0)
	s_cmp_eq_u64 s[6:7], 0
	s_cbranch_scc1 .LBB234_3
; %bb.2:
	v_ashrrev_i32_e32 v1, 31, v14
	v_add_co_u32 v0, vcc_lo, s6, v14
	s_delay_alu instid0(VALU_DEP_2) | instskip(SKIP_3) | instid1(VALU_DEP_1)
	v_add_co_ci_u32_e32 v1, vcc_lo, s7, v1, vcc_lo
	global_load_u8 v0, v[0:1], off
	s_waitcnt vmcnt(0)
	v_and_b32_e32 v0, 1, v0
	v_cmp_eq_u32_e32 vcc_lo, 1, v0
	s_xor_b32 s2, vcc_lo, -1
	s_delay_alu instid0(SALU_CYCLE_1)
	s_or_not1_b32 s11, s2, exec_lo
.LBB234_3:
	v_lshlrev_b32_e32 v0, 2, v14
	s_load_b64 s[6:7], s[0:1], 0x40
	s_delay_alu instid0(VALU_DEP_1) | instskip(NEXT) | instid1(VALU_DEP_1)
	v_ashrrev_i32_e32 v1, 31, v0
	v_lshlrev_b64 v[0:1], 2, v[0:1]
	s_delay_alu instid0(VALU_DEP_1) | instskip(NEXT) | instid1(VALU_DEP_2)
	v_add_co_u32 v0, vcc_lo, s4, v0
	v_add_co_ci_u32_e32 v1, vcc_lo, s5, v1, vcc_lo
	s_waitcnt lgkmcnt(0)
	s_cmp_eq_u64 s[6:7], 0
	global_load_b128 v[0:3], v[0:1], off
	s_waitcnt vmcnt(0)
	v_dual_mul_f32 v1, 0xbfb8aa3b, v1 :: v_dual_mul_f32 v0, 0xbfb8aa3b, v0
	v_mul_f32_e32 v3, 0xbfb8aa3b, v3
	s_delay_alu instid0(VALU_DEP_2) | instskip(SKIP_1) | instid1(VALU_DEP_3)
	v_exp_f32_e32 v1, v1
	v_mul_f32_e32 v2, 0xbfb8aa3b, v2
	v_exp_f32_e32 v0, v0
	s_delay_alu instid0(VALU_DEP_2) | instskip(NEXT) | instid1(TRANS32_DEP_3)
	v_exp_f32_e32 v3, v3
	v_add_f32_e32 v1, 1.0, v1
	s_delay_alu instid0(VALU_DEP_2) | instskip(SKIP_3) | instid1(VALU_DEP_2)
	v_exp_f32_e32 v2, v2
	s_waitcnt_depctr 0xfff
	v_dual_add_f32 v0, 1.0, v0 :: v_dual_add_f32 v3, 1.0, v3
	v_div_scale_f32 v5, null, v1, v1, 1.0
	v_div_scale_f32 v4, null, v0, v0, 1.0
	s_delay_alu instid0(VALU_DEP_3) | instskip(NEXT) | instid1(VALU_DEP_3)
	v_div_scale_f32 v7, null, v3, v3, 1.0
	v_rcp_f32_e32 v9, v5
	s_delay_alu instid0(VALU_DEP_2) | instskip(SKIP_1) | instid1(VALU_DEP_2)
	v_rcp_f32_e32 v8, v4
	v_div_scale_f32 v13, s2, 1.0, v1, 1.0
	v_rcp_f32_e32 v11, v7
	v_div_scale_f32 v12, vcc_lo, 1.0, v0, 1.0
	v_div_scale_f32 v20, s4, 1.0, v3, 1.0
	s_delay_alu instid0(TRANS32_DEP_3) | instskip(SKIP_1) | instid1(TRANS32_DEP_2)
	v_fma_f32 v17, -v5, v9, 1.0
	v_add_f32_e32 v2, 1.0, v2
	v_fma_f32 v16, -v4, v8, 1.0
	s_waitcnt_depctr 0xfff
	v_fma_f32 v19, -v7, v11, 1.0
	v_fmac_f32_e32 v9, v17, v9
	v_div_scale_f32 v6, null, v2, v2, 1.0
	s_delay_alu instid0(VALU_DEP_3) | instskip(SKIP_1) | instid1(VALU_DEP_3)
	v_dual_fmac_f32 v8, v16, v8 :: v_dual_fmac_f32 v11, v19, v11
	v_div_scale_f32 v15, s3, 1.0, v2, 1.0
	v_rcp_f32_e32 v10, v6
	v_mul_f32_e32 v17, v13, v9
	s_delay_alu instid0(VALU_DEP_3) | instskip(NEXT) | instid1(VALU_DEP_2)
	v_mul_f32_e32 v19, v20, v11
	v_fma_f32 v22, -v5, v17, v13
	v_mul_f32_e32 v16, v12, v8
	s_delay_alu instid0(VALU_DEP_3) | instskip(SKIP_4) | instid1(VALU_DEP_3)
	v_fma_f32 v24, -v7, v19, v20
	s_waitcnt_depctr 0xfff
	v_fma_f32 v18, -v6, v10, 1.0
	v_fmac_f32_e32 v17, v22, v9
	v_fma_f32 v21, -v4, v16, v12
	v_dual_fmac_f32 v19, v24, v11 :: v_dual_fmac_f32 v10, v18, v10
	s_delay_alu instid0(VALU_DEP_3) | instskip(NEXT) | instid1(VALU_DEP_3)
	v_fma_f32 v5, -v5, v17, v13
	v_fmac_f32_e32 v16, v21, v8
	s_delay_alu instid0(VALU_DEP_3) | instskip(NEXT) | instid1(VALU_DEP_4)
	v_fma_f32 v7, -v7, v19, v20
	v_mul_f32_e32 v18, v15, v10
	s_delay_alu instid0(VALU_DEP_3) | instskip(NEXT) | instid1(VALU_DEP_2)
	v_fma_f32 v4, -v4, v16, v12
	v_fma_f32 v23, -v6, v18, v15
	s_delay_alu instid0(VALU_DEP_2) | instskip(SKIP_3) | instid1(VALU_DEP_2)
	v_div_fmas_f32 v4, v4, v8, v16
	s_mov_b32 vcc_lo, s2
	v_div_fmas_f32 v5, v5, v9, v17
	s_mov_b32 vcc_lo, s3
	v_div_fixup_f32 v0, v4, v0, 1.0
	s_delay_alu instid0(VALU_DEP_2) | instskip(SKIP_1) | instid1(VALU_DEP_1)
	v_div_fixup_f32 v1, v5, v1, 1.0
	v_fmac_f32_e32 v18, v23, v10
	v_fma_f32 v6, -v6, v18, v15
	s_delay_alu instid0(VALU_DEP_1) | instskip(SKIP_3) | instid1(VALU_DEP_3)
	v_div_fmas_f32 v6, v6, v10, v18
	s_mov_b32 vcc_lo, s4
	v_div_fmas_f32 v4, v7, v11, v19
	v_cmp_class_f32_e64 vcc_lo, v0, 0x1f8
	v_div_fixup_f32 v2, v6, v2, 1.0
	s_delay_alu instid0(VALU_DEP_3)
	v_div_fixup_f32 v3, v4, v3, 1.0
	v_cndmask_b32_e32 v0, 0, v0, vcc_lo
	v_cmp_class_f32_e64 vcc_lo, v1, 0x1f8
	v_cndmask_b32_e32 v1, 0, v1, vcc_lo
	v_cmp_class_f32_e64 vcc_lo, v2, 0x1f8
	v_cndmask_b32_e32 v2, 0, v2, vcc_lo
	v_cmp_class_f32_e64 vcc_lo, v3, 0x1f8
	v_cndmask_b32_e32 v3, 0, v3, vcc_lo
	s_cbranch_scc1 .LBB234_10
; %bb.4:
	s_load_b128 s[4:7], s[6:7], 0x0
	s_waitcnt lgkmcnt(0)
	v_dual_add_f32 v4, s4, v0 :: v_dual_add_f32 v5, s5, v1
	v_dual_add_f32 v6, s6, v2 :: v_dual_add_f32 v7, s7, v3
	s_cbranch_execnz .LBB234_6
.LBB234_5:
	v_dual_mov_b32 v7, v3 :: v_dual_mov_b32 v6, v2
	v_dual_mov_b32 v5, v1 :: v_dual_mov_b32 v4, v0
.LBB234_6:
	s_load_b128 s[4:7], s[0:1], 0x30
	s_waitcnt lgkmcnt(0)
	s_bitcmp1_b32 s7, 0
	s_mov_b32 s7, 0
	s_cselect_b32 vcc_lo, -1, 0
	s_cmp_gt_i32 s4, 0
	s_cselect_b32 s3, -1, 0
	s_cmp_lt_i32 s4, 1
	s_cbranch_scc1 .LBB234_11
; %bb.7:
	v_mul_lo_u32 v8, v14, s4
	s_load_b128 s[12:15], s[0:1], 0x20
	v_dual_mov_b32 v15, 0 :: v_dual_mov_b32 v16, v14
	s_delay_alu instid0(VALU_DEP_2) | instskip(NEXT) | instid1(VALU_DEP_1)
	v_ashrrev_i32_e32 v9, 31, v8
	v_lshlrev_b64 v[12:13], 2, v[8:9]
	v_lshlrev_b64 v[10:11], 3, v[8:9]
	s_delay_alu instid0(VALU_DEP_2) | instskip(NEXT) | instid1(VALU_DEP_1)
	v_add_co_u32 v8, s0, s8, v12
	v_add_co_ci_u32_e64 v9, s0, s9, v13, s0
	s_waitcnt lgkmcnt(0)
	s_delay_alu instid0(VALU_DEP_3) | instskip(NEXT) | instid1(VALU_DEP_1)
	v_add_co_u32 v10, s0, s12, v10
	v_add_co_ci_u32_e64 v11, s0, s13, v11, s0
	v_add_co_u32 v12, s0, s14, v12
	s_delay_alu instid0(VALU_DEP_1)
	v_add_co_ci_u32_e64 v13, s0, s15, v13, s0
.LBB234_8:                              ; =>This Inner Loop Header: Depth=1
	v_cmp_gt_f32_e64 s0, v5, v4
	global_store_b32 v[12:13], v16, off
	v_add_co_u32 v12, s1, v12, 4
	s_delay_alu instid0(VALU_DEP_1)
	v_add_co_ci_u32_e64 v13, s1, 0, v13, s1
	v_cndmask_b32_e64 v18, v4, v5, s0
	v_cndmask_b32_e64 v17, 0, 1, s0
	;; [unrolled: 1-line block ×3, first 2 shown]
	s_add_i32 s7, s7, 1
	v_add_nc_u32_e32 v16, s10, v16
	v_cmp_gt_f32_e64 s0, v6, v18
	s_delay_alu instid0(VALU_DEP_1) | instskip(SKIP_2) | instid1(VALU_DEP_3)
	v_cndmask_b32_e64 v18, v18, v6, s0
	v_cndmask_b32_e64 v17, v17, 2, s0
	v_cndmask_b32_e64 v19, v19, v2, s0
	v_cmp_gt_f32_e64 s0, v7, v18
	s_delay_alu instid0(VALU_DEP_1) | instskip(NEXT) | instid1(VALU_DEP_3)
	v_cndmask_b32_e64 v17, v17, 3, s0
	v_cndmask_b32_e64 v18, v19, v3, s0
	s_delay_alu instid0(VALU_DEP_2)
	v_cmp_ne_u32_e64 s2, 0, v17
	v_cmp_le_i32_e64 s0, s5, v17
	v_cmp_gt_i32_e64 s1, s6, v17
	v_subrev_nc_u32_e32 v19, s5, v17
	global_store_b32 v[8:9], v18, off
	v_cndmask_b32_e64 v20, 0xc61c4000, v4, s2
	v_cmp_ne_u32_e64 s2, 1, v17
	s_and_b32 s1, s0, s1
	v_add_co_u32 v8, s0, v8, 4
	s_delay_alu instid0(VALU_DEP_1) | instskip(NEXT) | instid1(VALU_DEP_3)
	v_add_co_ci_u32_e64 v9, s0, 0, v9, s0
	v_cndmask_b32_e64 v21, 0xc61c4000, v5, s2
	v_cmp_ne_u32_e64 s2, 2, v17
	s_and_b32 s0, s11, s1
	v_add_f32_e32 v24, v15, v18
	s_cmp_lt_i32 s7, s4
	s_delay_alu instid0(VALU_DEP_2) | instskip(SKIP_3) | instid1(VALU_DEP_3)
	v_cndmask_b32_e64 v22, 0xc61c4000, v6, s2
	v_cmp_ne_u32_e64 s2, 3, v17
	v_ashrrev_i32_e32 v17, 31, v19
	v_cndmask_b32_e32 v15, v15, v24, vcc_lo
	v_cndmask_b32_e64 v23, 0xc61c4000, v7, s2
	s_delay_alu instid0(VALU_DEP_3)
	v_cndmask_b32_e64 v18, 0, v17, s0
	v_cndmask_b32_e64 v17, 4, v19, s0
	s_cselect_b32 s0, -1, 0
	s_cmp_eq_u32 s4, s7
	v_cndmask_b32_e64 v7, v7, v23, s0
	v_cndmask_b32_e64 v6, v6, v22, s0
	;; [unrolled: 1-line block ×4, first 2 shown]
	global_store_b64 v[10:11], v[17:18], off
	v_add_co_u32 v10, s0, v10, 8
	s_delay_alu instid0(VALU_DEP_1)
	v_add_co_ci_u32_e64 v11, s0, 0, v11, s0
	s_cbranch_scc0 .LBB234_8
; %bb.9:
	s_and_b32 vcc_lo, exec_lo, vcc_lo
	s_cbranch_vccnz .LBB234_12
	s_branch .LBB234_15
.LBB234_10:
                                        ; implicit-def: $vgpr4_vgpr5_vgpr6_vgpr7
	s_and_not1_b32 vcc_lo, exec_lo, s12
	s_cbranch_vccz .LBB234_5
	s_branch .LBB234_6
.LBB234_11:
	v_mov_b32_e32 v15, 0
	s_and_b32 vcc_lo, exec_lo, vcc_lo
	s_cbranch_vccz .LBB234_15
.LBB234_12:
	s_and_not1_b32 vcc_lo, exec_lo, s3
	s_cbranch_vccnz .LBB234_15
; %bb.13:
	v_mul_lo_u32 v0, v14, s4
	v_cmp_lt_f32_e32 vcc_lo, 0, v15
	v_cndmask_b32_e32 v2, 1.0, v15, vcc_lo
	s_delay_alu instid0(VALU_DEP_3) | instskip(NEXT) | instid1(VALU_DEP_1)
	v_ashrrev_i32_e32 v1, 31, v0
	v_lshlrev_b64 v[0:1], 2, v[0:1]
	s_delay_alu instid0(VALU_DEP_1) | instskip(NEXT) | instid1(VALU_DEP_2)
	v_add_co_u32 v0, vcc_lo, s8, v0
	v_add_co_ci_u32_e32 v1, vcc_lo, s9, v1, vcc_lo
	.p2align	6
.LBB234_14:                             ; =>This Inner Loop Header: Depth=1
	global_load_b32 v3, v[0:1], off
	s_add_i32 s4, s4, -1
	s_delay_alu instid0(SALU_CYCLE_1) | instskip(SKIP_3) | instid1(VALU_DEP_2)
	s_cmp_lg_u32 s4, 0
	s_waitcnt vmcnt(0)
	v_div_scale_f32 v4, null, v2, v2, v3
	v_div_scale_f32 v7, vcc_lo, v3, v2, v3
	v_rcp_f32_e32 v5, v4
	s_waitcnt_depctr 0xfff
	v_fma_f32 v6, -v4, v5, 1.0
	s_delay_alu instid0(VALU_DEP_1) | instskip(NEXT) | instid1(VALU_DEP_1)
	v_fmac_f32_e32 v5, v6, v5
	v_mul_f32_e32 v6, v7, v5
	s_delay_alu instid0(VALU_DEP_1) | instskip(NEXT) | instid1(VALU_DEP_1)
	v_fma_f32 v8, -v4, v6, v7
	v_fmac_f32_e32 v6, v8, v5
	s_delay_alu instid0(VALU_DEP_1) | instskip(NEXT) | instid1(VALU_DEP_1)
	v_fma_f32 v4, -v4, v6, v7
	v_div_fmas_f32 v4, v4, v5, v6
	s_delay_alu instid0(VALU_DEP_1)
	v_div_fixup_f32 v3, v4, v2, v3
	global_store_b32 v[0:1], v3, off
	v_add_co_u32 v0, vcc_lo, v0, 4
	v_add_co_ci_u32_e32 v1, vcc_lo, 0, v1, vcc_lo
	s_cbranch_scc1 .LBB234_14
.LBB234_15:
	s_nop 0
	s_sendmsg sendmsg(MSG_DEALLOC_VGPRS)
	s_endpgm
	.section	.rodata,"a",@progbits
	.p2align	6, 0x0
	.amdhsa_kernel _ZN4vllm3moe10topkGatingILi4ELi4ELi4ELi16ELi32ElfLNS0_11ScoringFuncE1EEEvPKT5_PKbPfiPT4_PiiiibPKf
		.amdhsa_group_segment_fixed_size 0
		.amdhsa_private_segment_fixed_size 0
		.amdhsa_kernarg_size 72
		.amdhsa_user_sgpr_count 15
		.amdhsa_user_sgpr_dispatch_ptr 0
		.amdhsa_user_sgpr_queue_ptr 0
		.amdhsa_user_sgpr_kernarg_segment_ptr 1
		.amdhsa_user_sgpr_dispatch_id 0
		.amdhsa_user_sgpr_private_segment_size 0
		.amdhsa_wavefront_size32 1
		.amdhsa_uses_dynamic_stack 0
		.amdhsa_enable_private_segment 0
		.amdhsa_system_sgpr_workgroup_id_x 1
		.amdhsa_system_sgpr_workgroup_id_y 0
		.amdhsa_system_sgpr_workgroup_id_z 0
		.amdhsa_system_sgpr_workgroup_info 0
		.amdhsa_system_vgpr_workitem_id 1
		.amdhsa_next_free_vgpr 25
		.amdhsa_next_free_sgpr 16
		.amdhsa_reserve_vcc 1
		.amdhsa_float_round_mode_32 0
		.amdhsa_float_round_mode_16_64 0
		.amdhsa_float_denorm_mode_32 3
		.amdhsa_float_denorm_mode_16_64 3
		.amdhsa_dx10_clamp 1
		.amdhsa_ieee_mode 1
		.amdhsa_fp16_overflow 0
		.amdhsa_workgroup_processor_mode 1
		.amdhsa_memory_ordered 1
		.amdhsa_forward_progress 0
		.amdhsa_shared_vgpr_count 0
		.amdhsa_exception_fp_ieee_invalid_op 0
		.amdhsa_exception_fp_denorm_src 0
		.amdhsa_exception_fp_ieee_div_zero 0
		.amdhsa_exception_fp_ieee_overflow 0
		.amdhsa_exception_fp_ieee_underflow 0
		.amdhsa_exception_fp_ieee_inexact 0
		.amdhsa_exception_int_div_zero 0
	.end_amdhsa_kernel
	.section	.text._ZN4vllm3moe10topkGatingILi4ELi4ELi4ELi16ELi32ElfLNS0_11ScoringFuncE1EEEvPKT5_PKbPfiPT4_PiiiibPKf,"axG",@progbits,_ZN4vllm3moe10topkGatingILi4ELi4ELi4ELi16ELi32ElfLNS0_11ScoringFuncE1EEEvPKT5_PKbPfiPT4_PiiiibPKf,comdat
.Lfunc_end234:
	.size	_ZN4vllm3moe10topkGatingILi4ELi4ELi4ELi16ELi32ElfLNS0_11ScoringFuncE1EEEvPKT5_PKbPfiPT4_PiiiibPKf, .Lfunc_end234-_ZN4vllm3moe10topkGatingILi4ELi4ELi4ELi16ELi32ElfLNS0_11ScoringFuncE1EEEvPKT5_PKbPfiPT4_PiiiibPKf
                                        ; -- End function
	.section	.AMDGPU.csdata,"",@progbits
; Kernel info:
; codeLenInByte = 1556
; NumSgprs: 18
; NumVgprs: 25
; ScratchSize: 0
; MemoryBound: 0
; FloatMode: 240
; IeeeMode: 1
; LDSByteSize: 0 bytes/workgroup (compile time only)
; SGPRBlocks: 2
; VGPRBlocks: 3
; NumSGPRsForWavesPerEU: 18
; NumVGPRsForWavesPerEU: 25
; Occupancy: 16
; WaveLimiterHint : 0
; COMPUTE_PGM_RSRC2:SCRATCH_EN: 0
; COMPUTE_PGM_RSRC2:USER_SGPR: 15
; COMPUTE_PGM_RSRC2:TRAP_HANDLER: 0
; COMPUTE_PGM_RSRC2:TGID_X_EN: 1
; COMPUTE_PGM_RSRC2:TGID_Y_EN: 0
; COMPUTE_PGM_RSRC2:TGID_Z_EN: 0
; COMPUTE_PGM_RSRC2:TIDIG_COMP_CNT: 1
	.section	.text._ZN4vllm3moe10topkGatingILi4ELi8ELi4ELi16ELi64ElfLNS0_11ScoringFuncE1EEEvPKT5_PKbPfiPT4_PiiiibPKf,"axG",@progbits,_ZN4vllm3moe10topkGatingILi4ELi8ELi4ELi16ELi64ElfLNS0_11ScoringFuncE1EEEvPKT5_PKbPfiPT4_PiiiibPKf,comdat
	.protected	_ZN4vllm3moe10topkGatingILi4ELi8ELi4ELi16ELi64ElfLNS0_11ScoringFuncE1EEEvPKT5_PKbPfiPT4_PiiiibPKf ; -- Begin function _ZN4vllm3moe10topkGatingILi4ELi8ELi4ELi16ELi64ElfLNS0_11ScoringFuncE1EEEvPKT5_PKbPfiPT4_PiiiibPKf
	.globl	_ZN4vllm3moe10topkGatingILi4ELi8ELi4ELi16ELi64ElfLNS0_11ScoringFuncE1EEEvPKT5_PKbPfiPT4_PiiiibPKf
	.p2align	8
	.type	_ZN4vllm3moe10topkGatingILi4ELi8ELi4ELi16ELi64ElfLNS0_11ScoringFuncE1EEEvPKT5_PKbPfiPT4_PiiiibPKf,@function
_ZN4vllm3moe10topkGatingILi4ELi8ELi4ELi16ELi64ElfLNS0_11ScoringFuncE1EEEvPKT5_PKbPfiPT4_PiiiibPKf: ; @_ZN4vllm3moe10topkGatingILi4ELi8ELi4ELi16ELi64ElfLNS0_11ScoringFuncE1EEEvPKT5_PKbPfiPT4_PiiiibPKf
; %bb.0:
	s_load_b32 s14, s[0:1], 0x18
	v_bfe_u32 v1, v0, 10, 10
	v_and_b32_e32 v0, 0x3ff, v0
	s_lshl_b32 s2, s15, 7
	s_delay_alu instid0(VALU_DEP_2) | instskip(NEXT) | instid1(VALU_DEP_2)
	v_lshlrev_b32_e32 v1, 5, v1
	v_lshrrev_b32_e32 v2, 1, v0
	s_delay_alu instid0(VALU_DEP_1) | instskip(SKIP_2) | instid1(VALU_DEP_1)
	v_add3_u32 v8, s2, v1, v2
	s_mov_b32 s2, exec_lo
	s_waitcnt lgkmcnt(0)
	v_cmpx_gt_i32_e64 s14, v8
	s_cbranch_execz .LBB235_25
; %bb.1:
	s_clause 0x1
	s_load_b128 s[4:7], s[0:1], 0x0
	s_load_b64 s[12:13], s[0:1], 0x10
	s_mov_b32 s8, -1
	s_mov_b32 s15, -1
	s_waitcnt lgkmcnt(0)
	s_cmp_eq_u64 s[6:7], 0
	s_cbranch_scc1 .LBB235_3
; %bb.2:
	v_ashrrev_i32_e32 v2, 31, v8
	v_add_co_u32 v1, vcc_lo, s6, v8
	s_delay_alu instid0(VALU_DEP_2) | instskip(SKIP_3) | instid1(VALU_DEP_1)
	v_add_co_ci_u32_e32 v2, vcc_lo, s7, v2, vcc_lo
	global_load_u8 v1, v[1:2], off
	s_waitcnt vmcnt(0)
	v_and_b32_e32 v1, 1, v1
	v_cmp_eq_u32_e32 vcc_lo, 1, v1
	s_xor_b32 s2, vcc_lo, -1
	s_delay_alu instid0(SALU_CYCLE_1)
	s_or_not1_b32 s15, s2, exec_lo
.LBB235_3:
	v_lshlrev_b32_e32 v1, 3, v8
	v_and_b32_e32 v9, 1, v0
	s_load_b64 s[6:7], s[0:1], 0x40
	s_delay_alu instid0(VALU_DEP_2) | instskip(NEXT) | instid1(VALU_DEP_1)
	v_ashrrev_i32_e32 v2, 31, v1
	v_lshlrev_b64 v[0:1], 2, v[1:2]
	s_delay_alu instid0(VALU_DEP_3) | instskip(NEXT) | instid1(VALU_DEP_2)
	v_lshlrev_b32_e32 v2, 4, v9
	v_add_co_u32 v0, vcc_lo, s4, v0
	s_delay_alu instid0(VALU_DEP_3) | instskip(NEXT) | instid1(VALU_DEP_2)
	v_add_co_ci_u32_e32 v1, vcc_lo, s5, v1, vcc_lo
	v_add_co_u32 v0, vcc_lo, v0, v2
	s_delay_alu instid0(VALU_DEP_2)
	v_add_co_ci_u32_e32 v1, vcc_lo, 0, v1, vcc_lo
	s_waitcnt lgkmcnt(0)
	s_cmp_eq_u64 s[6:7], 0
	global_load_b128 v[0:3], v[0:1], off
	s_waitcnt vmcnt(0)
	v_dual_mul_f32 v3, 0xbfb8aa3b, v3 :: v_dual_mul_f32 v0, 0xbfb8aa3b, v0
	v_dual_mul_f32 v1, 0xbfb8aa3b, v1 :: v_dual_mul_f32 v2, 0xbfb8aa3b, v2
	s_delay_alu instid0(VALU_DEP_2) | instskip(NEXT) | instid1(VALU_DEP_2)
	v_exp_f32_e32 v3, v3
	v_exp_f32_e32 v0, v0
	s_delay_alu instid0(VALU_DEP_1) | instskip(NEXT) | instid1(VALU_DEP_1)
	v_exp_f32_e32 v1, v1
	v_exp_f32_e32 v2, v2
	s_waitcnt_depctr 0xfff
	v_dual_add_f32 v0, 1.0, v0 :: v_dual_add_f32 v1, 1.0, v1
	v_add_f32_e32 v2, 1.0, v2
	s_delay_alu instid0(VALU_DEP_2) | instskip(NEXT) | instid1(VALU_DEP_3)
	v_div_scale_f32 v4, null, v0, v0, 1.0
	v_div_scale_f32 v5, null, v1, v1, 1.0
	s_delay_alu instid0(VALU_DEP_3) | instskip(NEXT) | instid1(VALU_DEP_3)
	v_div_scale_f32 v6, null, v2, v2, 1.0
	v_rcp_f32_e32 v11, v4
	s_delay_alu instid0(VALU_DEP_2) | instskip(SKIP_1) | instid1(VALU_DEP_2)
	v_rcp_f32_e32 v12, v5
	v_div_scale_f32 v15, vcc_lo, 1.0, v0, 1.0
	v_rcp_f32_e32 v13, v6
	v_div_scale_f32 v16, s2, 1.0, v1, 1.0
	v_div_scale_f32 v17, s3, 1.0, v2, 1.0
	s_delay_alu instid0(TRANS32_DEP_3) | instskip(SKIP_4) | instid1(VALU_DEP_3)
	v_fma_f32 v10, -v4, v11, 1.0
	s_waitcnt_depctr 0xfff
	v_fma_f32 v18, -v5, v12, 1.0
	v_add_f32_e32 v3, 1.0, v3
	v_fma_f32 v19, -v6, v13, 1.0
	v_fmac_f32_e32 v12, v18, v12
	s_delay_alu instid0(VALU_DEP_3) | instskip(SKIP_1) | instid1(VALU_DEP_2)
	v_div_scale_f32 v7, null, v3, v3, 1.0
	v_div_scale_f32 v21, s4, 1.0, v3, 1.0
	v_rcp_f32_e32 v14, v7
	s_waitcnt_depctr 0xfff
	v_fma_f32 v20, -v7, v14, 1.0
	s_delay_alu instid0(VALU_DEP_1) | instskip(NEXT) | instid1(VALU_DEP_1)
	v_dual_fmac_f32 v11, v10, v11 :: v_dual_fmac_f32 v14, v20, v14
	v_mul_f32_e32 v18, v15, v11
	v_fmac_f32_e32 v13, v19, v13
	s_delay_alu instid0(VALU_DEP_3) | instskip(NEXT) | instid1(VALU_DEP_3)
	v_dual_mul_f32 v19, v16, v12 :: v_dual_mul_f32 v22, v21, v14
	v_fma_f32 v10, -v4, v18, v15
	s_delay_alu instid0(VALU_DEP_2) | instskip(NEXT) | instid1(VALU_DEP_4)
	v_fma_f32 v23, -v5, v19, v16
	v_mul_f32_e32 v20, v17, v13
	s_delay_alu instid0(VALU_DEP_4) | instskip(NEXT) | instid1(VALU_DEP_4)
	v_fma_f32 v25, -v7, v22, v21
	v_fmac_f32_e32 v18, v10, v11
	s_delay_alu instid0(VALU_DEP_4) | instskip(NEXT) | instid1(VALU_DEP_4)
	v_dual_fmac_f32 v19, v23, v12 :: v_dual_lshlrev_b32 v10, 2, v9
	v_fma_f32 v24, -v6, v20, v17
	s_delay_alu instid0(VALU_DEP_4) | instskip(NEXT) | instid1(VALU_DEP_4)
	v_fmac_f32_e32 v22, v25, v14
	v_fma_f32 v4, -v4, v18, v15
	s_delay_alu instid0(VALU_DEP_4) | instskip(NEXT) | instid1(VALU_DEP_4)
	v_fma_f32 v5, -v5, v19, v16
	v_fmac_f32_e32 v20, v24, v13
	s_delay_alu instid0(VALU_DEP_4) | instskip(NEXT) | instid1(VALU_DEP_4)
	v_fma_f32 v7, -v7, v22, v21
	v_div_fmas_f32 v4, v4, v11, v18
	s_mov_b32 vcc_lo, s2
	s_delay_alu instid0(VALU_DEP_3) | instskip(SKIP_1) | instid1(VALU_DEP_3)
	v_fma_f32 v6, -v6, v20, v17
	v_div_fmas_f32 v5, v5, v12, v19
	v_div_fixup_f32 v0, v4, v0, 1.0
	s_mov_b32 vcc_lo, s3
	s_delay_alu instid0(VALU_DEP_3)
	v_div_fmas_f32 v6, v6, v13, v20
	s_mov_b32 vcc_lo, s4
	v_div_fixup_f32 v1, v5, v1, 1.0
	v_div_fmas_f32 v4, v7, v14, v22
	v_cmp_class_f32_e64 vcc_lo, v0, 0x1f8
	v_div_fixup_f32 v2, v6, v2, 1.0
	s_delay_alu instid0(VALU_DEP_3)
	v_div_fixup_f32 v3, v4, v3, 1.0
	v_cndmask_b32_e32 v0, 0, v0, vcc_lo
	v_cmp_class_f32_e64 vcc_lo, v1, 0x1f8
	v_cndmask_b32_e32 v1, 0, v1, vcc_lo
	v_cmp_class_f32_e64 vcc_lo, v2, 0x1f8
	;; [unrolled: 2-line block ×3, first 2 shown]
	v_cndmask_b32_e32 v3, 0, v3, vcc_lo
	s_cbranch_scc1 .LBB235_19
; %bb.4:
	v_lshlrev_b32_e32 v4, 2, v10
	global_load_b128 v[4:7], v4, s[6:7]
	s_waitcnt vmcnt(0)
	v_dual_add_f32 v5, v5, v1 :: v_dual_add_f32 v4, v4, v0
	v_dual_add_f32 v7, v7, v3 :: v_dual_add_f32 v6, v6, v2
	s_cbranch_execnz .LBB235_6
.LBB235_5:
	v_dual_mov_b32 v7, v3 :: v_dual_mov_b32 v6, v2
	v_dual_mov_b32 v5, v1 :: v_dual_mov_b32 v4, v0
.LBB235_6:
	s_load_b128 s[4:7], s[0:1], 0x30
	v_cmp_eq_u32_e64 s2, 0, v9
	s_waitcnt lgkmcnt(0)
	s_bitcmp1_b32 s7, 0
	s_mov_b32 s7, 0
	s_cselect_b32 vcc_lo, -1, 0
	s_cmp_gt_i32 s4, 0
	s_cselect_b32 s3, -1, 0
	s_cmp_lt_i32 s4, 1
	s_cbranch_scc1 .LBB235_20
; %bb.7:
	v_mbcnt_lo_u32_b32 v11, -1, 0
	s_load_b128 s[8:11], s[0:1], 0x20
	v_mov_b32_e32 v14, v8
	s_delay_alu instid0(VALU_DEP_2) | instskip(SKIP_1) | instid1(VALU_DEP_2)
	v_and_b32_e32 v12, 30, v11
	v_xor_b32_e32 v13, 1, v11
	v_add_nc_u32_e32 v12, 2, v12
	s_delay_alu instid0(VALU_DEP_1) | instskip(SKIP_1) | instid1(VALU_DEP_2)
	v_cmp_lt_i32_e64 s0, v13, v12
	v_mul_lo_u32 v12, v8, s4
	v_cndmask_b32_e64 v13, v11, v13, s0
	v_mov_b32_e32 v11, 0
	s_delay_alu instid0(VALU_DEP_2)
	v_lshlrev_b32_e32 v13, 2, v13
	s_branch .LBB235_10
.LBB235_8:                              ;   in Loop: Header=BB235_10 Depth=1
	s_or_b32 exec_lo, exec_lo, s1
.LBB235_9:                              ;   in Loop: Header=BB235_10 Depth=1
	v_add_nc_u32_e32 v14, s14, v14
	s_cmp_eq_u32 s4, s7
	s_cbranch_scc1 .LBB235_21
.LBB235_10:                             ; =>This Inner Loop Header: Depth=1
	v_cmp_gt_f32_e64 s0, v5, v4
	s_mov_b32 s17, exec_lo
	s_delay_alu instid0(VALU_DEP_1) | instskip(SKIP_2) | instid1(VALU_DEP_3)
	v_cndmask_b32_e64 v16, v4, v5, s0
	v_cndmask_b32_e64 v15, 0, 1, s0
	;; [unrolled: 1-line block ×3, first 2 shown]
	v_cmp_gt_f32_e64 s1, v6, v16
	s_delay_alu instid0(VALU_DEP_1) | instskip(NEXT) | instid1(VALU_DEP_4)
	v_cndmask_b32_e64 v16, v16, v6, s1
	v_cndmask_b32_e64 v15, v15, 2, s1
	s_delay_alu instid0(VALU_DEP_4) | instskip(NEXT) | instid1(VALU_DEP_3)
	v_cndmask_b32_e64 v17, v17, v2, s1
	v_cmp_gt_f32_e64 s0, v7, v16
	s_delay_alu instid0(VALU_DEP_1) | instskip(SKIP_1) | instid1(VALU_DEP_4)
	v_cndmask_b32_e64 v15, v15, 3, s0
	v_cndmask_b32_e64 v19, v16, v7, s0
	;; [unrolled: 1-line block ×3, first 2 shown]
	s_delay_alu instid0(VALU_DEP_3)
	v_or_b32_e32 v15, v10, v15
	ds_bpermute_b32 v20, v13, v19
	ds_bpermute_b32 v17, v13, v16
	;; [unrolled: 1-line block ×3, first 2 shown]
	s_waitcnt lgkmcnt(0)
	v_cmp_lt_f32_e64 s16, v19, v20
	v_cmpx_nlt_f32_e32 v19, v20
	s_cbranch_execnz .LBB235_14
; %bb.11:                               ;   in Loop: Header=BB235_10 Depth=1
	s_or_b32 exec_lo, exec_lo, s17
	s_delay_alu instid0(VALU_DEP_2)
	s_and_saveexec_b32 s0, s16
	s_cbranch_execnz .LBB235_15
.LBB235_12:                             ;   in Loop: Header=BB235_10 Depth=1
	s_or_b32 exec_lo, exec_lo, s0
	s_and_saveexec_b32 s16, s2
	s_cbranch_execnz .LBB235_16
.LBB235_13:                             ;   in Loop: Header=BB235_10 Depth=1
	s_or_b32 exec_lo, exec_lo, s16
	s_add_i32 s7, s7, 1
	s_delay_alu instid0(SALU_CYCLE_1)
	s_cmp_ge_i32 s7, s4
	s_cbranch_scc1 .LBB235_9
	s_branch .LBB235_17
.LBB235_14:                             ;   in Loop: Header=BB235_10 Depth=1
	v_cmp_eq_f32_e64 s0, v19, v20
	v_cmp_lt_i32_e64 s1, v18, v15
	s_delay_alu instid0(VALU_DEP_1) | instskip(SKIP_2) | instid1(SALU_CYCLE_1)
	s_and_b32 s0, s0, s1
	s_and_not1_b32 s1, s16, exec_lo
	s_and_b32 s0, s0, exec_lo
	s_or_b32 s16, s1, s0
	s_or_b32 exec_lo, exec_lo, s17
	s_and_saveexec_b32 s0, s16
	s_cbranch_execz .LBB235_12
.LBB235_15:                             ;   in Loop: Header=BB235_10 Depth=1
	v_dual_mov_b32 v15, v18 :: v_dual_mov_b32 v16, v17
	s_or_b32 exec_lo, exec_lo, s0
	s_and_saveexec_b32 s16, s2
	s_cbranch_execz .LBB235_13
.LBB235_16:                             ;   in Loop: Header=BB235_10 Depth=1
	v_add_nc_u32_e32 v17, s7, v12
	v_subrev_nc_u32_e32 v21, s5, v15
	v_cmp_le_i32_e64 s0, s5, v15
	v_cmp_gt_i32_e64 s1, s6, v15
	v_add_f32_e32 v25, v11, v16
	v_ashrrev_i32_e32 v18, 31, v17
	v_ashrrev_i32_e32 v22, 31, v21
	s_delay_alu instid0(VALU_DEP_4) | instskip(NEXT) | instid1(VALU_DEP_3)
	s_and_b32 s0, s0, s1
	v_cndmask_b32_e32 v11, v11, v25, vcc_lo
	s_delay_alu instid0(VALU_DEP_3) | instskip(SKIP_2) | instid1(SALU_CYCLE_1)
	v_lshlrev_b64 v[19:20], 2, v[17:18]
	v_lshlrev_b64 v[17:18], 3, v[17:18]
	s_and_b32 s0, s15, s0
	v_cndmask_b32_e64 v22, 0, v22, s0
	v_cndmask_b32_e64 v21, 8, v21, s0
	s_delay_alu instid0(VALU_DEP_4) | instskip(NEXT) | instid1(VALU_DEP_1)
	v_add_co_u32 v23, s0, s12, v19
	v_add_co_ci_u32_e64 v24, s0, s13, v20, s0
	v_add_co_u32 v17, s0, s8, v17
	s_delay_alu instid0(VALU_DEP_1) | instskip(SKIP_1) | instid1(VALU_DEP_1)
	v_add_co_ci_u32_e64 v18, s0, s9, v18, s0
	v_add_co_u32 v19, s0, s10, v19
	v_add_co_ci_u32_e64 v20, s0, s11, v20, s0
	global_store_b32 v[23:24], v16, off
	global_store_b64 v[17:18], v[21:22], off
	global_store_b32 v[19:20], v14, off
	s_or_b32 exec_lo, exec_lo, s16
	s_add_i32 s7, s7, 1
	s_delay_alu instid0(SALU_CYCLE_1)
	s_cmp_ge_i32 s7, s4
	s_cbranch_scc1 .LBB235_9
.LBB235_17:                             ;   in Loop: Header=BB235_10 Depth=1
	v_ashrrev_i32_e32 v17, 31, v15
	s_mov_b32 s1, exec_lo
	s_delay_alu instid0(VALU_DEP_1) | instskip(NEXT) | instid1(VALU_DEP_1)
	v_lshrrev_b32_e32 v16, 30, v17
	v_add_nc_u32_e32 v18, v15, v16
	s_delay_alu instid0(VALU_DEP_1) | instskip(SKIP_1) | instid1(VALU_DEP_1)
	v_ashrrev_i32_e32 v16, 2, v18
	v_lshrrev_b32_e32 v18, 31, v18
	v_add_nc_u32_e32 v18, v16, v18
	s_delay_alu instid0(VALU_DEP_1) | instskip(NEXT) | instid1(VALU_DEP_1)
	v_and_b32_e32 v18, -2, v18
	v_sub_nc_u32_e32 v18, v16, v18
	s_delay_alu instid0(VALU_DEP_1)
	v_cmpx_eq_u32_e64 v9, v18
	s_cbranch_execz .LBB235_8
; %bb.18:                               ;   in Loop: Header=BB235_10 Depth=1
	v_lshrrev_b32_e32 v17, 29, v17
	v_lshlrev_b32_e32 v16, 2, v16
	s_delay_alu instid0(VALU_DEP_2) | instskip(NEXT) | instid1(VALU_DEP_2)
	v_add_nc_u32_e32 v17, v15, v17
	v_sub_nc_u32_e32 v15, v15, v16
	s_delay_alu instid0(VALU_DEP_2) | instskip(NEXT) | instid1(VALU_DEP_1)
	v_ashrrev_i32_e32 v16, 3, v17
	v_lshl_add_u32 v15, v16, 2, v15
	s_delay_alu instid0(VALU_DEP_1) | instskip(NEXT) | instid1(VALU_DEP_1)
	v_cmp_ne_u32_e64 s0, 3, v15
	v_cndmask_b32_e64 v7, 0xc61c4000, v7, s0
	v_cmp_ne_u32_e64 s0, 2, v15
	s_delay_alu instid0(VALU_DEP_1) | instskip(SKIP_1) | instid1(VALU_DEP_1)
	v_cndmask_b32_e64 v6, 0xc61c4000, v6, s0
	v_cmp_ne_u32_e64 s0, 1, v15
	v_cndmask_b32_e64 v5, 0xc61c4000, v5, s0
	v_cmp_ne_u32_e64 s0, 0, v15
	s_delay_alu instid0(VALU_DEP_1)
	v_cndmask_b32_e64 v4, 0xc61c4000, v4, s0
	s_branch .LBB235_8
.LBB235_19:
                                        ; implicit-def: $vgpr4_vgpr5_vgpr6_vgpr7
	s_and_not1_b32 vcc_lo, exec_lo, s8
	s_cbranch_vccz .LBB235_5
	s_branch .LBB235_6
.LBB235_20:
	v_mov_b32_e32 v11, 0
.LBB235_21:
	v_cmp_eq_u32_e64 s0, 0, v9
	s_delay_alu instid0(VALU_DEP_1) | instskip(NEXT) | instid1(SALU_CYCLE_1)
	s_and_b32 s0, s0, vcc_lo
	s_and_b32 exec_lo, exec_lo, s0
	s_cbranch_execz .LBB235_25
; %bb.22:
	s_and_not1_b32 vcc_lo, exec_lo, s3
	s_cbranch_vccnz .LBB235_25
; %bb.23:
	v_mul_lo_u32 v0, v8, s4
	v_cmp_lt_f32_e32 vcc_lo, 0, v11
	v_cndmask_b32_e32 v2, 1.0, v11, vcc_lo
	s_delay_alu instid0(VALU_DEP_3) | instskip(NEXT) | instid1(VALU_DEP_1)
	v_ashrrev_i32_e32 v1, 31, v0
	v_lshlrev_b64 v[0:1], 2, v[0:1]
	s_delay_alu instid0(VALU_DEP_1) | instskip(NEXT) | instid1(VALU_DEP_2)
	v_add_co_u32 v0, vcc_lo, s12, v0
	v_add_co_ci_u32_e32 v1, vcc_lo, s13, v1, vcc_lo
	.p2align	6
.LBB235_24:                             ; =>This Inner Loop Header: Depth=1
	global_load_b32 v3, v[0:1], off
	s_add_i32 s4, s4, -1
	s_delay_alu instid0(SALU_CYCLE_1) | instskip(SKIP_3) | instid1(VALU_DEP_2)
	s_cmp_lg_u32 s4, 0
	s_waitcnt vmcnt(0)
	v_div_scale_f32 v4, null, v2, v2, v3
	v_div_scale_f32 v7, vcc_lo, v3, v2, v3
	v_rcp_f32_e32 v5, v4
	s_waitcnt_depctr 0xfff
	v_fma_f32 v6, -v4, v5, 1.0
	s_delay_alu instid0(VALU_DEP_1) | instskip(NEXT) | instid1(VALU_DEP_1)
	v_fmac_f32_e32 v5, v6, v5
	v_mul_f32_e32 v6, v7, v5
	s_delay_alu instid0(VALU_DEP_1) | instskip(NEXT) | instid1(VALU_DEP_1)
	v_fma_f32 v8, -v4, v6, v7
	v_fmac_f32_e32 v6, v8, v5
	s_delay_alu instid0(VALU_DEP_1) | instskip(NEXT) | instid1(VALU_DEP_1)
	v_fma_f32 v4, -v4, v6, v7
	v_div_fmas_f32 v4, v4, v5, v6
	s_delay_alu instid0(VALU_DEP_1)
	v_div_fixup_f32 v3, v4, v2, v3
	global_store_b32 v[0:1], v3, off
	v_add_co_u32 v0, vcc_lo, v0, 4
	v_add_co_ci_u32_e32 v1, vcc_lo, 0, v1, vcc_lo
	s_cbranch_scc1 .LBB235_24
.LBB235_25:
	s_nop 0
	s_sendmsg sendmsg(MSG_DEALLOC_VGPRS)
	s_endpgm
	.section	.rodata,"a",@progbits
	.p2align	6, 0x0
	.amdhsa_kernel _ZN4vllm3moe10topkGatingILi4ELi8ELi4ELi16ELi64ElfLNS0_11ScoringFuncE1EEEvPKT5_PKbPfiPT4_PiiiibPKf
		.amdhsa_group_segment_fixed_size 0
		.amdhsa_private_segment_fixed_size 0
		.amdhsa_kernarg_size 72
		.amdhsa_user_sgpr_count 15
		.amdhsa_user_sgpr_dispatch_ptr 0
		.amdhsa_user_sgpr_queue_ptr 0
		.amdhsa_user_sgpr_kernarg_segment_ptr 1
		.amdhsa_user_sgpr_dispatch_id 0
		.amdhsa_user_sgpr_private_segment_size 0
		.amdhsa_wavefront_size32 1
		.amdhsa_uses_dynamic_stack 0
		.amdhsa_enable_private_segment 0
		.amdhsa_system_sgpr_workgroup_id_x 1
		.amdhsa_system_sgpr_workgroup_id_y 0
		.amdhsa_system_sgpr_workgroup_id_z 0
		.amdhsa_system_sgpr_workgroup_info 0
		.amdhsa_system_vgpr_workitem_id 1
		.amdhsa_next_free_vgpr 26
		.amdhsa_next_free_sgpr 18
		.amdhsa_reserve_vcc 1
		.amdhsa_float_round_mode_32 0
		.amdhsa_float_round_mode_16_64 0
		.amdhsa_float_denorm_mode_32 3
		.amdhsa_float_denorm_mode_16_64 3
		.amdhsa_dx10_clamp 1
		.amdhsa_ieee_mode 1
		.amdhsa_fp16_overflow 0
		.amdhsa_workgroup_processor_mode 1
		.amdhsa_memory_ordered 1
		.amdhsa_forward_progress 0
		.amdhsa_shared_vgpr_count 0
		.amdhsa_exception_fp_ieee_invalid_op 0
		.amdhsa_exception_fp_denorm_src 0
		.amdhsa_exception_fp_ieee_div_zero 0
		.amdhsa_exception_fp_ieee_overflow 0
		.amdhsa_exception_fp_ieee_underflow 0
		.amdhsa_exception_fp_ieee_inexact 0
		.amdhsa_exception_int_div_zero 0
	.end_amdhsa_kernel
	.section	.text._ZN4vllm3moe10topkGatingILi4ELi8ELi4ELi16ELi64ElfLNS0_11ScoringFuncE1EEEvPKT5_PKbPfiPT4_PiiiibPKf,"axG",@progbits,_ZN4vllm3moe10topkGatingILi4ELi8ELi4ELi16ELi64ElfLNS0_11ScoringFuncE1EEEvPKT5_PKbPfiPT4_PiiiibPKf,comdat
.Lfunc_end235:
	.size	_ZN4vllm3moe10topkGatingILi4ELi8ELi4ELi16ELi64ElfLNS0_11ScoringFuncE1EEEvPKT5_PKbPfiPT4_PiiiibPKf, .Lfunc_end235-_ZN4vllm3moe10topkGatingILi4ELi8ELi4ELi16ELi64ElfLNS0_11ScoringFuncE1EEEvPKT5_PKbPfiPT4_PiiiibPKf
                                        ; -- End function
	.section	.AMDGPU.csdata,"",@progbits
; Kernel info:
; codeLenInByte = 1884
; NumSgprs: 20
; NumVgprs: 26
; ScratchSize: 0
; MemoryBound: 0
; FloatMode: 240
; IeeeMode: 1
; LDSByteSize: 0 bytes/workgroup (compile time only)
; SGPRBlocks: 2
; VGPRBlocks: 3
; NumSGPRsForWavesPerEU: 20
; NumVGPRsForWavesPerEU: 26
; Occupancy: 16
; WaveLimiterHint : 0
; COMPUTE_PGM_RSRC2:SCRATCH_EN: 0
; COMPUTE_PGM_RSRC2:USER_SGPR: 15
; COMPUTE_PGM_RSRC2:TRAP_HANDLER: 0
; COMPUTE_PGM_RSRC2:TGID_X_EN: 1
; COMPUTE_PGM_RSRC2:TGID_Y_EN: 0
; COMPUTE_PGM_RSRC2:TGID_Z_EN: 0
; COMPUTE_PGM_RSRC2:TIDIG_COMP_CNT: 1
	.section	.text._ZN4vllm3moe10topkGatingILi4ELi8ELi4ELi16ELi32ElfLNS0_11ScoringFuncE1EEEvPKT5_PKbPfiPT4_PiiiibPKf,"axG",@progbits,_ZN4vllm3moe10topkGatingILi4ELi8ELi4ELi16ELi32ElfLNS0_11ScoringFuncE1EEEvPKT5_PKbPfiPT4_PiiiibPKf,comdat
	.protected	_ZN4vllm3moe10topkGatingILi4ELi8ELi4ELi16ELi32ElfLNS0_11ScoringFuncE1EEEvPKT5_PKbPfiPT4_PiiiibPKf ; -- Begin function _ZN4vllm3moe10topkGatingILi4ELi8ELi4ELi16ELi32ElfLNS0_11ScoringFuncE1EEEvPKT5_PKbPfiPT4_PiiiibPKf
	.globl	_ZN4vllm3moe10topkGatingILi4ELi8ELi4ELi16ELi32ElfLNS0_11ScoringFuncE1EEEvPKT5_PKbPfiPT4_PiiiibPKf
	.p2align	8
	.type	_ZN4vllm3moe10topkGatingILi4ELi8ELi4ELi16ELi32ElfLNS0_11ScoringFuncE1EEEvPKT5_PKbPfiPT4_PiiiibPKf,@function
_ZN4vllm3moe10topkGatingILi4ELi8ELi4ELi16ELi32ElfLNS0_11ScoringFuncE1EEEvPKT5_PKbPfiPT4_PiiiibPKf: ; @_ZN4vllm3moe10topkGatingILi4ELi8ELi4ELi16ELi32ElfLNS0_11ScoringFuncE1EEEvPKT5_PKbPfiPT4_PiiiibPKf
; %bb.0:
	s_load_b32 s14, s[0:1], 0x18
	v_bfe_u32 v1, v0, 10, 10
	v_and_b32_e32 v0, 0x3ff, v0
	s_lshl_b32 s2, s15, 6
	s_delay_alu instid0(VALU_DEP_2) | instskip(NEXT) | instid1(VALU_DEP_2)
	v_lshlrev_b32_e32 v1, 4, v1
	v_lshrrev_b32_e32 v2, 1, v0
	s_delay_alu instid0(VALU_DEP_1) | instskip(SKIP_2) | instid1(VALU_DEP_1)
	v_add3_u32 v8, s2, v1, v2
	s_mov_b32 s2, exec_lo
	s_waitcnt lgkmcnt(0)
	v_cmpx_gt_i32_e64 s14, v8
	s_cbranch_execz .LBB236_25
; %bb.1:
	s_clause 0x1
	s_load_b128 s[4:7], s[0:1], 0x0
	s_load_b64 s[12:13], s[0:1], 0x10
	s_mov_b32 s8, -1
	s_mov_b32 s15, -1
	s_waitcnt lgkmcnt(0)
	s_cmp_eq_u64 s[6:7], 0
	s_cbranch_scc1 .LBB236_3
; %bb.2:
	v_ashrrev_i32_e32 v2, 31, v8
	v_add_co_u32 v1, vcc_lo, s6, v8
	s_delay_alu instid0(VALU_DEP_2) | instskip(SKIP_3) | instid1(VALU_DEP_1)
	v_add_co_ci_u32_e32 v2, vcc_lo, s7, v2, vcc_lo
	global_load_u8 v1, v[1:2], off
	s_waitcnt vmcnt(0)
	v_and_b32_e32 v1, 1, v1
	v_cmp_eq_u32_e32 vcc_lo, 1, v1
	s_xor_b32 s2, vcc_lo, -1
	s_delay_alu instid0(SALU_CYCLE_1)
	s_or_not1_b32 s15, s2, exec_lo
.LBB236_3:
	v_lshlrev_b32_e32 v1, 3, v8
	v_and_b32_e32 v9, 1, v0
	s_load_b64 s[6:7], s[0:1], 0x40
	s_delay_alu instid0(VALU_DEP_2) | instskip(NEXT) | instid1(VALU_DEP_1)
	v_ashrrev_i32_e32 v2, 31, v1
	v_lshlrev_b64 v[0:1], 2, v[1:2]
	s_delay_alu instid0(VALU_DEP_3) | instskip(NEXT) | instid1(VALU_DEP_2)
	v_lshlrev_b32_e32 v2, 4, v9
	v_add_co_u32 v0, vcc_lo, s4, v0
	s_delay_alu instid0(VALU_DEP_3) | instskip(NEXT) | instid1(VALU_DEP_2)
	v_add_co_ci_u32_e32 v1, vcc_lo, s5, v1, vcc_lo
	v_add_co_u32 v0, vcc_lo, v0, v2
	s_delay_alu instid0(VALU_DEP_2)
	v_add_co_ci_u32_e32 v1, vcc_lo, 0, v1, vcc_lo
	s_waitcnt lgkmcnt(0)
	s_cmp_eq_u64 s[6:7], 0
	global_load_b128 v[0:3], v[0:1], off
	s_waitcnt vmcnt(0)
	v_dual_mul_f32 v3, 0xbfb8aa3b, v3 :: v_dual_mul_f32 v0, 0xbfb8aa3b, v0
	v_dual_mul_f32 v1, 0xbfb8aa3b, v1 :: v_dual_mul_f32 v2, 0xbfb8aa3b, v2
	s_delay_alu instid0(VALU_DEP_2) | instskip(NEXT) | instid1(VALU_DEP_2)
	v_exp_f32_e32 v3, v3
	v_exp_f32_e32 v0, v0
	s_delay_alu instid0(VALU_DEP_1) | instskip(NEXT) | instid1(VALU_DEP_1)
	v_exp_f32_e32 v1, v1
	v_exp_f32_e32 v2, v2
	s_waitcnt_depctr 0xfff
	v_dual_add_f32 v0, 1.0, v0 :: v_dual_add_f32 v1, 1.0, v1
	v_add_f32_e32 v2, 1.0, v2
	s_delay_alu instid0(VALU_DEP_2) | instskip(NEXT) | instid1(VALU_DEP_3)
	v_div_scale_f32 v4, null, v0, v0, 1.0
	v_div_scale_f32 v5, null, v1, v1, 1.0
	s_delay_alu instid0(VALU_DEP_3) | instskip(NEXT) | instid1(VALU_DEP_3)
	v_div_scale_f32 v6, null, v2, v2, 1.0
	v_rcp_f32_e32 v11, v4
	s_delay_alu instid0(VALU_DEP_2) | instskip(SKIP_1) | instid1(VALU_DEP_2)
	v_rcp_f32_e32 v12, v5
	v_div_scale_f32 v15, vcc_lo, 1.0, v0, 1.0
	v_rcp_f32_e32 v13, v6
	v_div_scale_f32 v16, s2, 1.0, v1, 1.0
	v_div_scale_f32 v17, s3, 1.0, v2, 1.0
	s_delay_alu instid0(TRANS32_DEP_3) | instskip(SKIP_4) | instid1(VALU_DEP_3)
	v_fma_f32 v10, -v4, v11, 1.0
	s_waitcnt_depctr 0xfff
	v_fma_f32 v18, -v5, v12, 1.0
	v_add_f32_e32 v3, 1.0, v3
	v_fma_f32 v19, -v6, v13, 1.0
	v_fmac_f32_e32 v12, v18, v12
	s_delay_alu instid0(VALU_DEP_3) | instskip(SKIP_1) | instid1(VALU_DEP_2)
	v_div_scale_f32 v7, null, v3, v3, 1.0
	v_div_scale_f32 v21, s4, 1.0, v3, 1.0
	v_rcp_f32_e32 v14, v7
	s_waitcnt_depctr 0xfff
	v_fma_f32 v20, -v7, v14, 1.0
	s_delay_alu instid0(VALU_DEP_1) | instskip(NEXT) | instid1(VALU_DEP_1)
	v_dual_fmac_f32 v11, v10, v11 :: v_dual_fmac_f32 v14, v20, v14
	v_mul_f32_e32 v18, v15, v11
	v_fmac_f32_e32 v13, v19, v13
	s_delay_alu instid0(VALU_DEP_3) | instskip(NEXT) | instid1(VALU_DEP_3)
	v_dual_mul_f32 v19, v16, v12 :: v_dual_mul_f32 v22, v21, v14
	v_fma_f32 v10, -v4, v18, v15
	s_delay_alu instid0(VALU_DEP_2) | instskip(NEXT) | instid1(VALU_DEP_4)
	v_fma_f32 v23, -v5, v19, v16
	v_mul_f32_e32 v20, v17, v13
	s_delay_alu instid0(VALU_DEP_4) | instskip(NEXT) | instid1(VALU_DEP_4)
	v_fma_f32 v25, -v7, v22, v21
	v_fmac_f32_e32 v18, v10, v11
	s_delay_alu instid0(VALU_DEP_4) | instskip(NEXT) | instid1(VALU_DEP_4)
	v_dual_fmac_f32 v19, v23, v12 :: v_dual_lshlrev_b32 v10, 2, v9
	v_fma_f32 v24, -v6, v20, v17
	s_delay_alu instid0(VALU_DEP_4) | instskip(NEXT) | instid1(VALU_DEP_4)
	v_fmac_f32_e32 v22, v25, v14
	v_fma_f32 v4, -v4, v18, v15
	s_delay_alu instid0(VALU_DEP_4) | instskip(NEXT) | instid1(VALU_DEP_4)
	v_fma_f32 v5, -v5, v19, v16
	v_fmac_f32_e32 v20, v24, v13
	s_delay_alu instid0(VALU_DEP_4) | instskip(NEXT) | instid1(VALU_DEP_4)
	v_fma_f32 v7, -v7, v22, v21
	v_div_fmas_f32 v4, v4, v11, v18
	s_mov_b32 vcc_lo, s2
	s_delay_alu instid0(VALU_DEP_3) | instskip(SKIP_1) | instid1(VALU_DEP_3)
	v_fma_f32 v6, -v6, v20, v17
	v_div_fmas_f32 v5, v5, v12, v19
	v_div_fixup_f32 v0, v4, v0, 1.0
	s_mov_b32 vcc_lo, s3
	s_delay_alu instid0(VALU_DEP_3)
	v_div_fmas_f32 v6, v6, v13, v20
	s_mov_b32 vcc_lo, s4
	v_div_fixup_f32 v1, v5, v1, 1.0
	v_div_fmas_f32 v4, v7, v14, v22
	v_cmp_class_f32_e64 vcc_lo, v0, 0x1f8
	v_div_fixup_f32 v2, v6, v2, 1.0
	s_delay_alu instid0(VALU_DEP_3)
	v_div_fixup_f32 v3, v4, v3, 1.0
	v_cndmask_b32_e32 v0, 0, v0, vcc_lo
	v_cmp_class_f32_e64 vcc_lo, v1, 0x1f8
	v_cndmask_b32_e32 v1, 0, v1, vcc_lo
	v_cmp_class_f32_e64 vcc_lo, v2, 0x1f8
	;; [unrolled: 2-line block ×3, first 2 shown]
	v_cndmask_b32_e32 v3, 0, v3, vcc_lo
	s_cbranch_scc1 .LBB236_19
; %bb.4:
	v_lshlrev_b32_e32 v4, 2, v10
	global_load_b128 v[4:7], v4, s[6:7]
	s_waitcnt vmcnt(0)
	v_dual_add_f32 v5, v5, v1 :: v_dual_add_f32 v4, v4, v0
	v_dual_add_f32 v7, v7, v3 :: v_dual_add_f32 v6, v6, v2
	s_cbranch_execnz .LBB236_6
.LBB236_5:
	v_dual_mov_b32 v7, v3 :: v_dual_mov_b32 v6, v2
	v_dual_mov_b32 v5, v1 :: v_dual_mov_b32 v4, v0
.LBB236_6:
	s_load_b128 s[4:7], s[0:1], 0x30
	v_cmp_eq_u32_e64 s2, 0, v9
	s_waitcnt lgkmcnt(0)
	s_bitcmp1_b32 s7, 0
	s_mov_b32 s7, 0
	s_cselect_b32 vcc_lo, -1, 0
	s_cmp_gt_i32 s4, 0
	s_cselect_b32 s3, -1, 0
	s_cmp_lt_i32 s4, 1
	s_cbranch_scc1 .LBB236_20
; %bb.7:
	v_mbcnt_lo_u32_b32 v11, -1, 0
	s_load_b128 s[8:11], s[0:1], 0x20
	v_mov_b32_e32 v14, v8
	s_delay_alu instid0(VALU_DEP_2) | instskip(SKIP_1) | instid1(VALU_DEP_2)
	v_and_b32_e32 v12, 30, v11
	v_xor_b32_e32 v13, 1, v11
	v_add_nc_u32_e32 v12, 2, v12
	s_delay_alu instid0(VALU_DEP_1) | instskip(SKIP_1) | instid1(VALU_DEP_2)
	v_cmp_lt_i32_e64 s0, v13, v12
	v_mul_lo_u32 v12, v8, s4
	v_cndmask_b32_e64 v13, v11, v13, s0
	v_mov_b32_e32 v11, 0
	s_delay_alu instid0(VALU_DEP_2)
	v_lshlrev_b32_e32 v13, 2, v13
	s_branch .LBB236_10
.LBB236_8:                              ;   in Loop: Header=BB236_10 Depth=1
	s_or_b32 exec_lo, exec_lo, s1
.LBB236_9:                              ;   in Loop: Header=BB236_10 Depth=1
	v_add_nc_u32_e32 v14, s14, v14
	s_cmp_eq_u32 s4, s7
	s_cbranch_scc1 .LBB236_21
.LBB236_10:                             ; =>This Inner Loop Header: Depth=1
	v_cmp_gt_f32_e64 s0, v5, v4
	s_mov_b32 s17, exec_lo
	s_delay_alu instid0(VALU_DEP_1) | instskip(SKIP_2) | instid1(VALU_DEP_3)
	v_cndmask_b32_e64 v16, v4, v5, s0
	v_cndmask_b32_e64 v15, 0, 1, s0
	;; [unrolled: 1-line block ×3, first 2 shown]
	v_cmp_gt_f32_e64 s1, v6, v16
	s_delay_alu instid0(VALU_DEP_1) | instskip(NEXT) | instid1(VALU_DEP_4)
	v_cndmask_b32_e64 v16, v16, v6, s1
	v_cndmask_b32_e64 v15, v15, 2, s1
	s_delay_alu instid0(VALU_DEP_4) | instskip(NEXT) | instid1(VALU_DEP_3)
	v_cndmask_b32_e64 v17, v17, v2, s1
	v_cmp_gt_f32_e64 s0, v7, v16
	s_delay_alu instid0(VALU_DEP_1) | instskip(SKIP_1) | instid1(VALU_DEP_4)
	v_cndmask_b32_e64 v15, v15, 3, s0
	v_cndmask_b32_e64 v19, v16, v7, s0
	;; [unrolled: 1-line block ×3, first 2 shown]
	s_delay_alu instid0(VALU_DEP_3)
	v_or_b32_e32 v15, v10, v15
	ds_bpermute_b32 v20, v13, v19
	ds_bpermute_b32 v17, v13, v16
	;; [unrolled: 1-line block ×3, first 2 shown]
	s_waitcnt lgkmcnt(0)
	v_cmp_lt_f32_e64 s16, v19, v20
	v_cmpx_nlt_f32_e32 v19, v20
	s_cbranch_execnz .LBB236_14
; %bb.11:                               ;   in Loop: Header=BB236_10 Depth=1
	s_or_b32 exec_lo, exec_lo, s17
	s_delay_alu instid0(VALU_DEP_2)
	s_and_saveexec_b32 s0, s16
	s_cbranch_execnz .LBB236_15
.LBB236_12:                             ;   in Loop: Header=BB236_10 Depth=1
	s_or_b32 exec_lo, exec_lo, s0
	s_and_saveexec_b32 s16, s2
	s_cbranch_execnz .LBB236_16
.LBB236_13:                             ;   in Loop: Header=BB236_10 Depth=1
	s_or_b32 exec_lo, exec_lo, s16
	s_add_i32 s7, s7, 1
	s_delay_alu instid0(SALU_CYCLE_1)
	s_cmp_ge_i32 s7, s4
	s_cbranch_scc1 .LBB236_9
	s_branch .LBB236_17
.LBB236_14:                             ;   in Loop: Header=BB236_10 Depth=1
	v_cmp_eq_f32_e64 s0, v19, v20
	v_cmp_lt_i32_e64 s1, v18, v15
	s_delay_alu instid0(VALU_DEP_1) | instskip(SKIP_2) | instid1(SALU_CYCLE_1)
	s_and_b32 s0, s0, s1
	s_and_not1_b32 s1, s16, exec_lo
	s_and_b32 s0, s0, exec_lo
	s_or_b32 s16, s1, s0
	s_or_b32 exec_lo, exec_lo, s17
	s_and_saveexec_b32 s0, s16
	s_cbranch_execz .LBB236_12
.LBB236_15:                             ;   in Loop: Header=BB236_10 Depth=1
	v_dual_mov_b32 v15, v18 :: v_dual_mov_b32 v16, v17
	s_or_b32 exec_lo, exec_lo, s0
	s_and_saveexec_b32 s16, s2
	s_cbranch_execz .LBB236_13
.LBB236_16:                             ;   in Loop: Header=BB236_10 Depth=1
	v_add_nc_u32_e32 v17, s7, v12
	v_subrev_nc_u32_e32 v21, s5, v15
	v_cmp_le_i32_e64 s0, s5, v15
	v_cmp_gt_i32_e64 s1, s6, v15
	v_add_f32_e32 v25, v11, v16
	v_ashrrev_i32_e32 v18, 31, v17
	v_ashrrev_i32_e32 v22, 31, v21
	s_delay_alu instid0(VALU_DEP_4) | instskip(NEXT) | instid1(VALU_DEP_3)
	s_and_b32 s0, s0, s1
	v_cndmask_b32_e32 v11, v11, v25, vcc_lo
	s_delay_alu instid0(VALU_DEP_3) | instskip(SKIP_2) | instid1(SALU_CYCLE_1)
	v_lshlrev_b64 v[19:20], 2, v[17:18]
	v_lshlrev_b64 v[17:18], 3, v[17:18]
	s_and_b32 s0, s15, s0
	v_cndmask_b32_e64 v22, 0, v22, s0
	v_cndmask_b32_e64 v21, 8, v21, s0
	s_delay_alu instid0(VALU_DEP_4) | instskip(NEXT) | instid1(VALU_DEP_1)
	v_add_co_u32 v23, s0, s12, v19
	v_add_co_ci_u32_e64 v24, s0, s13, v20, s0
	v_add_co_u32 v17, s0, s8, v17
	s_delay_alu instid0(VALU_DEP_1) | instskip(SKIP_1) | instid1(VALU_DEP_1)
	v_add_co_ci_u32_e64 v18, s0, s9, v18, s0
	v_add_co_u32 v19, s0, s10, v19
	v_add_co_ci_u32_e64 v20, s0, s11, v20, s0
	global_store_b32 v[23:24], v16, off
	global_store_b64 v[17:18], v[21:22], off
	global_store_b32 v[19:20], v14, off
	s_or_b32 exec_lo, exec_lo, s16
	s_add_i32 s7, s7, 1
	s_delay_alu instid0(SALU_CYCLE_1)
	s_cmp_ge_i32 s7, s4
	s_cbranch_scc1 .LBB236_9
.LBB236_17:                             ;   in Loop: Header=BB236_10 Depth=1
	v_ashrrev_i32_e32 v17, 31, v15
	s_mov_b32 s1, exec_lo
	s_delay_alu instid0(VALU_DEP_1) | instskip(NEXT) | instid1(VALU_DEP_1)
	v_lshrrev_b32_e32 v16, 30, v17
	v_add_nc_u32_e32 v18, v15, v16
	s_delay_alu instid0(VALU_DEP_1) | instskip(SKIP_1) | instid1(VALU_DEP_1)
	v_ashrrev_i32_e32 v16, 2, v18
	v_lshrrev_b32_e32 v18, 31, v18
	v_add_nc_u32_e32 v18, v16, v18
	s_delay_alu instid0(VALU_DEP_1) | instskip(NEXT) | instid1(VALU_DEP_1)
	v_and_b32_e32 v18, -2, v18
	v_sub_nc_u32_e32 v18, v16, v18
	s_delay_alu instid0(VALU_DEP_1)
	v_cmpx_eq_u32_e64 v9, v18
	s_cbranch_execz .LBB236_8
; %bb.18:                               ;   in Loop: Header=BB236_10 Depth=1
	v_lshrrev_b32_e32 v17, 29, v17
	v_lshlrev_b32_e32 v16, 2, v16
	s_delay_alu instid0(VALU_DEP_2) | instskip(NEXT) | instid1(VALU_DEP_2)
	v_add_nc_u32_e32 v17, v15, v17
	v_sub_nc_u32_e32 v15, v15, v16
	s_delay_alu instid0(VALU_DEP_2) | instskip(NEXT) | instid1(VALU_DEP_1)
	v_ashrrev_i32_e32 v16, 3, v17
	v_lshl_add_u32 v15, v16, 2, v15
	s_delay_alu instid0(VALU_DEP_1) | instskip(NEXT) | instid1(VALU_DEP_1)
	v_cmp_ne_u32_e64 s0, 3, v15
	v_cndmask_b32_e64 v7, 0xc61c4000, v7, s0
	v_cmp_ne_u32_e64 s0, 2, v15
	s_delay_alu instid0(VALU_DEP_1) | instskip(SKIP_1) | instid1(VALU_DEP_1)
	v_cndmask_b32_e64 v6, 0xc61c4000, v6, s0
	v_cmp_ne_u32_e64 s0, 1, v15
	v_cndmask_b32_e64 v5, 0xc61c4000, v5, s0
	v_cmp_ne_u32_e64 s0, 0, v15
	s_delay_alu instid0(VALU_DEP_1)
	v_cndmask_b32_e64 v4, 0xc61c4000, v4, s0
	s_branch .LBB236_8
.LBB236_19:
                                        ; implicit-def: $vgpr4_vgpr5_vgpr6_vgpr7
	s_and_not1_b32 vcc_lo, exec_lo, s8
	s_cbranch_vccz .LBB236_5
	s_branch .LBB236_6
.LBB236_20:
	v_mov_b32_e32 v11, 0
.LBB236_21:
	v_cmp_eq_u32_e64 s0, 0, v9
	s_delay_alu instid0(VALU_DEP_1) | instskip(NEXT) | instid1(SALU_CYCLE_1)
	s_and_b32 s0, s0, vcc_lo
	s_and_b32 exec_lo, exec_lo, s0
	s_cbranch_execz .LBB236_25
; %bb.22:
	s_and_not1_b32 vcc_lo, exec_lo, s3
	s_cbranch_vccnz .LBB236_25
; %bb.23:
	v_mul_lo_u32 v0, v8, s4
	v_cmp_lt_f32_e32 vcc_lo, 0, v11
	v_cndmask_b32_e32 v2, 1.0, v11, vcc_lo
	s_delay_alu instid0(VALU_DEP_3) | instskip(NEXT) | instid1(VALU_DEP_1)
	v_ashrrev_i32_e32 v1, 31, v0
	v_lshlrev_b64 v[0:1], 2, v[0:1]
	s_delay_alu instid0(VALU_DEP_1) | instskip(NEXT) | instid1(VALU_DEP_2)
	v_add_co_u32 v0, vcc_lo, s12, v0
	v_add_co_ci_u32_e32 v1, vcc_lo, s13, v1, vcc_lo
	.p2align	6
.LBB236_24:                             ; =>This Inner Loop Header: Depth=1
	global_load_b32 v3, v[0:1], off
	s_add_i32 s4, s4, -1
	s_delay_alu instid0(SALU_CYCLE_1) | instskip(SKIP_3) | instid1(VALU_DEP_2)
	s_cmp_lg_u32 s4, 0
	s_waitcnt vmcnt(0)
	v_div_scale_f32 v4, null, v2, v2, v3
	v_div_scale_f32 v7, vcc_lo, v3, v2, v3
	v_rcp_f32_e32 v5, v4
	s_waitcnt_depctr 0xfff
	v_fma_f32 v6, -v4, v5, 1.0
	s_delay_alu instid0(VALU_DEP_1) | instskip(NEXT) | instid1(VALU_DEP_1)
	v_fmac_f32_e32 v5, v6, v5
	v_mul_f32_e32 v6, v7, v5
	s_delay_alu instid0(VALU_DEP_1) | instskip(NEXT) | instid1(VALU_DEP_1)
	v_fma_f32 v8, -v4, v6, v7
	v_fmac_f32_e32 v6, v8, v5
	s_delay_alu instid0(VALU_DEP_1) | instskip(NEXT) | instid1(VALU_DEP_1)
	v_fma_f32 v4, -v4, v6, v7
	v_div_fmas_f32 v4, v4, v5, v6
	s_delay_alu instid0(VALU_DEP_1)
	v_div_fixup_f32 v3, v4, v2, v3
	global_store_b32 v[0:1], v3, off
	v_add_co_u32 v0, vcc_lo, v0, 4
	v_add_co_ci_u32_e32 v1, vcc_lo, 0, v1, vcc_lo
	s_cbranch_scc1 .LBB236_24
.LBB236_25:
	s_nop 0
	s_sendmsg sendmsg(MSG_DEALLOC_VGPRS)
	s_endpgm
	.section	.rodata,"a",@progbits
	.p2align	6, 0x0
	.amdhsa_kernel _ZN4vllm3moe10topkGatingILi4ELi8ELi4ELi16ELi32ElfLNS0_11ScoringFuncE1EEEvPKT5_PKbPfiPT4_PiiiibPKf
		.amdhsa_group_segment_fixed_size 0
		.amdhsa_private_segment_fixed_size 0
		.amdhsa_kernarg_size 72
		.amdhsa_user_sgpr_count 15
		.amdhsa_user_sgpr_dispatch_ptr 0
		.amdhsa_user_sgpr_queue_ptr 0
		.amdhsa_user_sgpr_kernarg_segment_ptr 1
		.amdhsa_user_sgpr_dispatch_id 0
		.amdhsa_user_sgpr_private_segment_size 0
		.amdhsa_wavefront_size32 1
		.amdhsa_uses_dynamic_stack 0
		.amdhsa_enable_private_segment 0
		.amdhsa_system_sgpr_workgroup_id_x 1
		.amdhsa_system_sgpr_workgroup_id_y 0
		.amdhsa_system_sgpr_workgroup_id_z 0
		.amdhsa_system_sgpr_workgroup_info 0
		.amdhsa_system_vgpr_workitem_id 1
		.amdhsa_next_free_vgpr 26
		.amdhsa_next_free_sgpr 18
		.amdhsa_reserve_vcc 1
		.amdhsa_float_round_mode_32 0
		.amdhsa_float_round_mode_16_64 0
		.amdhsa_float_denorm_mode_32 3
		.amdhsa_float_denorm_mode_16_64 3
		.amdhsa_dx10_clamp 1
		.amdhsa_ieee_mode 1
		.amdhsa_fp16_overflow 0
		.amdhsa_workgroup_processor_mode 1
		.amdhsa_memory_ordered 1
		.amdhsa_forward_progress 0
		.amdhsa_shared_vgpr_count 0
		.amdhsa_exception_fp_ieee_invalid_op 0
		.amdhsa_exception_fp_denorm_src 0
		.amdhsa_exception_fp_ieee_div_zero 0
		.amdhsa_exception_fp_ieee_overflow 0
		.amdhsa_exception_fp_ieee_underflow 0
		.amdhsa_exception_fp_ieee_inexact 0
		.amdhsa_exception_int_div_zero 0
	.end_amdhsa_kernel
	.section	.text._ZN4vllm3moe10topkGatingILi4ELi8ELi4ELi16ELi32ElfLNS0_11ScoringFuncE1EEEvPKT5_PKbPfiPT4_PiiiibPKf,"axG",@progbits,_ZN4vllm3moe10topkGatingILi4ELi8ELi4ELi16ELi32ElfLNS0_11ScoringFuncE1EEEvPKT5_PKbPfiPT4_PiiiibPKf,comdat
.Lfunc_end236:
	.size	_ZN4vllm3moe10topkGatingILi4ELi8ELi4ELi16ELi32ElfLNS0_11ScoringFuncE1EEEvPKT5_PKbPfiPT4_PiiiibPKf, .Lfunc_end236-_ZN4vllm3moe10topkGatingILi4ELi8ELi4ELi16ELi32ElfLNS0_11ScoringFuncE1EEEvPKT5_PKbPfiPT4_PiiiibPKf
                                        ; -- End function
	.section	.AMDGPU.csdata,"",@progbits
; Kernel info:
; codeLenInByte = 1884
; NumSgprs: 20
; NumVgprs: 26
; ScratchSize: 0
; MemoryBound: 0
; FloatMode: 240
; IeeeMode: 1
; LDSByteSize: 0 bytes/workgroup (compile time only)
; SGPRBlocks: 2
; VGPRBlocks: 3
; NumSGPRsForWavesPerEU: 20
; NumVGPRsForWavesPerEU: 26
; Occupancy: 16
; WaveLimiterHint : 0
; COMPUTE_PGM_RSRC2:SCRATCH_EN: 0
; COMPUTE_PGM_RSRC2:USER_SGPR: 15
; COMPUTE_PGM_RSRC2:TRAP_HANDLER: 0
; COMPUTE_PGM_RSRC2:TGID_X_EN: 1
; COMPUTE_PGM_RSRC2:TGID_Y_EN: 0
; COMPUTE_PGM_RSRC2:TGID_Z_EN: 0
; COMPUTE_PGM_RSRC2:TIDIG_COMP_CNT: 1
	.section	.text._ZN4vllm3moe10topkGatingILi4ELi16ELi4ELi16ELi64ElfLNS0_11ScoringFuncE1EEEvPKT5_PKbPfiPT4_PiiiibPKf,"axG",@progbits,_ZN4vllm3moe10topkGatingILi4ELi16ELi4ELi16ELi64ElfLNS0_11ScoringFuncE1EEEvPKT5_PKbPfiPT4_PiiiibPKf,comdat
	.protected	_ZN4vllm3moe10topkGatingILi4ELi16ELi4ELi16ELi64ElfLNS0_11ScoringFuncE1EEEvPKT5_PKbPfiPT4_PiiiibPKf ; -- Begin function _ZN4vllm3moe10topkGatingILi4ELi16ELi4ELi16ELi64ElfLNS0_11ScoringFuncE1EEEvPKT5_PKbPfiPT4_PiiiibPKf
	.globl	_ZN4vllm3moe10topkGatingILi4ELi16ELi4ELi16ELi64ElfLNS0_11ScoringFuncE1EEEvPKT5_PKbPfiPT4_PiiiibPKf
	.p2align	8
	.type	_ZN4vllm3moe10topkGatingILi4ELi16ELi4ELi16ELi64ElfLNS0_11ScoringFuncE1EEEvPKT5_PKbPfiPT4_PiiiibPKf,@function
_ZN4vllm3moe10topkGatingILi4ELi16ELi4ELi16ELi64ElfLNS0_11ScoringFuncE1EEEvPKT5_PKbPfiPT4_PiiiibPKf: ; @_ZN4vllm3moe10topkGatingILi4ELi16ELi4ELi16ELi64ElfLNS0_11ScoringFuncE1EEEvPKT5_PKbPfiPT4_PiiiibPKf
; %bb.0:
	s_load_b32 s14, s[0:1], 0x18
	v_bfe_u32 v1, v0, 10, 10
	v_and_b32_e32 v0, 0x3ff, v0
	s_lshl_b32 s2, s15, 6
	s_delay_alu instid0(VALU_DEP_2) | instskip(NEXT) | instid1(VALU_DEP_2)
	v_lshlrev_b32_e32 v1, 4, v1
	v_lshrrev_b32_e32 v2, 2, v0
	s_delay_alu instid0(VALU_DEP_1) | instskip(SKIP_2) | instid1(VALU_DEP_1)
	v_add3_u32 v8, s2, v1, v2
	s_mov_b32 s2, exec_lo
	s_waitcnt lgkmcnt(0)
	v_cmpx_gt_i32_e64 s14, v8
	s_cbranch_execz .LBB237_29
; %bb.1:
	s_clause 0x1
	s_load_b128 s[4:7], s[0:1], 0x0
	s_load_b64 s[12:13], s[0:1], 0x10
	s_mov_b32 s8, -1
	s_mov_b32 s15, -1
	s_waitcnt lgkmcnt(0)
	s_cmp_eq_u64 s[6:7], 0
	s_cbranch_scc1 .LBB237_3
; %bb.2:
	v_ashrrev_i32_e32 v2, 31, v8
	v_add_co_u32 v1, vcc_lo, s6, v8
	s_delay_alu instid0(VALU_DEP_2) | instskip(SKIP_3) | instid1(VALU_DEP_1)
	v_add_co_ci_u32_e32 v2, vcc_lo, s7, v2, vcc_lo
	global_load_u8 v1, v[1:2], off
	s_waitcnt vmcnt(0)
	v_and_b32_e32 v1, 1, v1
	v_cmp_eq_u32_e32 vcc_lo, 1, v1
	s_xor_b32 s2, vcc_lo, -1
	s_delay_alu instid0(SALU_CYCLE_1)
	s_or_not1_b32 s15, s2, exec_lo
.LBB237_3:
	v_lshlrev_b32_e32 v1, 4, v8
	v_and_b32_e32 v9, 3, v0
	s_load_b64 s[6:7], s[0:1], 0x40
	s_delay_alu instid0(VALU_DEP_2) | instskip(NEXT) | instid1(VALU_DEP_1)
	v_ashrrev_i32_e32 v2, 31, v1
	v_lshlrev_b64 v[0:1], 2, v[1:2]
	s_delay_alu instid0(VALU_DEP_3) | instskip(NEXT) | instid1(VALU_DEP_2)
	v_lshlrev_b32_e32 v2, 4, v9
	v_add_co_u32 v0, vcc_lo, s4, v0
	s_delay_alu instid0(VALU_DEP_3) | instskip(NEXT) | instid1(VALU_DEP_2)
	v_add_co_ci_u32_e32 v1, vcc_lo, s5, v1, vcc_lo
	v_add_co_u32 v0, vcc_lo, v0, v2
	s_delay_alu instid0(VALU_DEP_2)
	v_add_co_ci_u32_e32 v1, vcc_lo, 0, v1, vcc_lo
	s_waitcnt lgkmcnt(0)
	s_cmp_eq_u64 s[6:7], 0
	global_load_b128 v[0:3], v[0:1], off
	s_waitcnt vmcnt(0)
	v_dual_mul_f32 v3, 0xbfb8aa3b, v3 :: v_dual_mul_f32 v0, 0xbfb8aa3b, v0
	v_dual_mul_f32 v1, 0xbfb8aa3b, v1 :: v_dual_mul_f32 v2, 0xbfb8aa3b, v2
	s_delay_alu instid0(VALU_DEP_2) | instskip(NEXT) | instid1(VALU_DEP_2)
	v_exp_f32_e32 v3, v3
	v_exp_f32_e32 v0, v0
	s_delay_alu instid0(VALU_DEP_1) | instskip(NEXT) | instid1(VALU_DEP_1)
	v_exp_f32_e32 v1, v1
	v_exp_f32_e32 v2, v2
	s_waitcnt_depctr 0xfff
	v_dual_add_f32 v0, 1.0, v0 :: v_dual_add_f32 v1, 1.0, v1
	v_add_f32_e32 v2, 1.0, v2
	s_delay_alu instid0(VALU_DEP_2) | instskip(NEXT) | instid1(VALU_DEP_3)
	v_div_scale_f32 v4, null, v0, v0, 1.0
	v_div_scale_f32 v5, null, v1, v1, 1.0
	s_delay_alu instid0(VALU_DEP_3) | instskip(NEXT) | instid1(VALU_DEP_3)
	v_div_scale_f32 v6, null, v2, v2, 1.0
	v_rcp_f32_e32 v11, v4
	s_delay_alu instid0(VALU_DEP_2) | instskip(SKIP_1) | instid1(VALU_DEP_2)
	v_rcp_f32_e32 v12, v5
	v_div_scale_f32 v15, vcc_lo, 1.0, v0, 1.0
	v_rcp_f32_e32 v13, v6
	v_div_scale_f32 v16, s2, 1.0, v1, 1.0
	v_div_scale_f32 v17, s3, 1.0, v2, 1.0
	s_delay_alu instid0(TRANS32_DEP_3) | instskip(SKIP_4) | instid1(VALU_DEP_3)
	v_fma_f32 v10, -v4, v11, 1.0
	s_waitcnt_depctr 0xfff
	v_fma_f32 v18, -v5, v12, 1.0
	v_add_f32_e32 v3, 1.0, v3
	v_fma_f32 v19, -v6, v13, 1.0
	v_fmac_f32_e32 v12, v18, v12
	s_delay_alu instid0(VALU_DEP_3) | instskip(SKIP_1) | instid1(VALU_DEP_2)
	v_div_scale_f32 v7, null, v3, v3, 1.0
	v_div_scale_f32 v21, s4, 1.0, v3, 1.0
	v_rcp_f32_e32 v14, v7
	s_waitcnt_depctr 0xfff
	v_fma_f32 v20, -v7, v14, 1.0
	s_delay_alu instid0(VALU_DEP_1) | instskip(NEXT) | instid1(VALU_DEP_1)
	v_dual_fmac_f32 v11, v10, v11 :: v_dual_fmac_f32 v14, v20, v14
	v_mul_f32_e32 v18, v15, v11
	v_fmac_f32_e32 v13, v19, v13
	s_delay_alu instid0(VALU_DEP_3) | instskip(NEXT) | instid1(VALU_DEP_3)
	v_dual_mul_f32 v19, v16, v12 :: v_dual_mul_f32 v22, v21, v14
	v_fma_f32 v10, -v4, v18, v15
	s_delay_alu instid0(VALU_DEP_2) | instskip(NEXT) | instid1(VALU_DEP_4)
	v_fma_f32 v23, -v5, v19, v16
	v_mul_f32_e32 v20, v17, v13
	s_delay_alu instid0(VALU_DEP_4) | instskip(NEXT) | instid1(VALU_DEP_4)
	v_fma_f32 v25, -v7, v22, v21
	v_fmac_f32_e32 v18, v10, v11
	s_delay_alu instid0(VALU_DEP_4) | instskip(NEXT) | instid1(VALU_DEP_4)
	v_dual_fmac_f32 v19, v23, v12 :: v_dual_lshlrev_b32 v10, 2, v9
	v_fma_f32 v24, -v6, v20, v17
	s_delay_alu instid0(VALU_DEP_4) | instskip(NEXT) | instid1(VALU_DEP_4)
	v_fmac_f32_e32 v22, v25, v14
	v_fma_f32 v4, -v4, v18, v15
	s_delay_alu instid0(VALU_DEP_4) | instskip(NEXT) | instid1(VALU_DEP_4)
	v_fma_f32 v5, -v5, v19, v16
	v_fmac_f32_e32 v20, v24, v13
	s_delay_alu instid0(VALU_DEP_4) | instskip(NEXT) | instid1(VALU_DEP_4)
	v_fma_f32 v7, -v7, v22, v21
	v_div_fmas_f32 v4, v4, v11, v18
	s_mov_b32 vcc_lo, s2
	s_delay_alu instid0(VALU_DEP_3) | instskip(SKIP_1) | instid1(VALU_DEP_3)
	v_fma_f32 v6, -v6, v20, v17
	v_div_fmas_f32 v5, v5, v12, v19
	v_div_fixup_f32 v0, v4, v0, 1.0
	s_mov_b32 vcc_lo, s3
	s_delay_alu instid0(VALU_DEP_3)
	v_div_fmas_f32 v6, v6, v13, v20
	s_mov_b32 vcc_lo, s4
	v_div_fixup_f32 v1, v5, v1, 1.0
	v_div_fmas_f32 v4, v7, v14, v22
	v_cmp_class_f32_e64 vcc_lo, v0, 0x1f8
	v_div_fixup_f32 v2, v6, v2, 1.0
	s_delay_alu instid0(VALU_DEP_3)
	v_div_fixup_f32 v3, v4, v3, 1.0
	v_cndmask_b32_e32 v0, 0, v0, vcc_lo
	v_cmp_class_f32_e64 vcc_lo, v1, 0x1f8
	v_cndmask_b32_e32 v1, 0, v1, vcc_lo
	v_cmp_class_f32_e64 vcc_lo, v2, 0x1f8
	v_cndmask_b32_e32 v2, 0, v2, vcc_lo
	v_cmp_class_f32_e64 vcc_lo, v3, 0x1f8
	v_cndmask_b32_e32 v3, 0, v3, vcc_lo
	s_cbranch_scc1 .LBB237_23
; %bb.4:
	v_lshlrev_b32_e32 v4, 2, v10
	global_load_b128 v[4:7], v4, s[6:7]
	s_waitcnt vmcnt(0)
	v_dual_add_f32 v5, v5, v1 :: v_dual_add_f32 v4, v4, v0
	v_dual_add_f32 v7, v7, v3 :: v_dual_add_f32 v6, v6, v2
	s_cbranch_execnz .LBB237_6
.LBB237_5:
	v_dual_mov_b32 v7, v3 :: v_dual_mov_b32 v6, v2
	v_dual_mov_b32 v5, v1 :: v_dual_mov_b32 v4, v0
.LBB237_6:
	s_load_b128 s[4:7], s[0:1], 0x30
	v_cmp_eq_u32_e64 s2, 0, v9
	s_waitcnt lgkmcnt(0)
	s_bitcmp1_b32 s7, 0
	s_mov_b32 s7, 0
	s_cselect_b32 vcc_lo, -1, 0
	s_cmp_gt_i32 s4, 0
	s_cselect_b32 s3, -1, 0
	s_cmp_lt_i32 s4, 1
	s_cbranch_scc1 .LBB237_24
; %bb.7:
	v_mbcnt_lo_u32_b32 v11, -1, 0
	s_load_b128 s[8:11], s[0:1], 0x20
	s_delay_alu instid0(VALU_DEP_1) | instskip(SKIP_2) | instid1(VALU_DEP_3)
	v_dual_mov_b32 v15, v8 :: v_dual_and_b32 v12, 28, v11
	v_xor_b32_e32 v13, 2, v11
	v_xor_b32_e32 v14, 1, v11
	v_add_nc_u32_e32 v12, 4, v12
	s_delay_alu instid0(VALU_DEP_1) | instskip(NEXT) | instid1(VALU_DEP_1)
	v_cmp_lt_i32_e64 s0, v13, v12
	v_cndmask_b32_e64 v13, v11, v13, s0
	s_delay_alu instid0(VALU_DEP_4) | instskip(SKIP_1) | instid1(VALU_DEP_3)
	v_cmp_lt_i32_e64 s0, v14, v12
	v_mul_lo_u32 v12, v8, s4
	v_lshlrev_b32_e32 v13, 2, v13
	s_delay_alu instid0(VALU_DEP_3) | instskip(NEXT) | instid1(VALU_DEP_1)
	v_cndmask_b32_e64 v14, v11, v14, s0
	v_dual_mov_b32 v11, 0 :: v_dual_lshlrev_b32 v14, 2, v14
	s_branch .LBB237_10
.LBB237_8:                              ;   in Loop: Header=BB237_10 Depth=1
	s_or_b32 exec_lo, exec_lo, s1
.LBB237_9:                              ;   in Loop: Header=BB237_10 Depth=1
	v_add_nc_u32_e32 v15, s14, v15
	s_cmp_eq_u32 s4, s7
	s_cbranch_scc1 .LBB237_25
.LBB237_10:                             ; =>This Inner Loop Header: Depth=1
	v_cmp_gt_f32_e64 s0, v5, v4
	s_mov_b32 s17, exec_lo
	s_delay_alu instid0(VALU_DEP_1) | instskip(SKIP_2) | instid1(VALU_DEP_3)
	v_cndmask_b32_e64 v17, v4, v5, s0
	v_cndmask_b32_e64 v16, 0, 1, s0
	v_cndmask_b32_e64 v18, v0, v1, s0
	v_cmp_gt_f32_e64 s1, v6, v17
	s_delay_alu instid0(VALU_DEP_1) | instskip(NEXT) | instid1(VALU_DEP_4)
	v_cndmask_b32_e64 v17, v17, v6, s1
	v_cndmask_b32_e64 v16, v16, 2, s1
	s_waitcnt lgkmcnt(0)
	v_cndmask_b32_e64 v19, v18, v2, s1
	s_delay_alu instid0(VALU_DEP_3) | instskip(NEXT) | instid1(VALU_DEP_1)
	v_cmp_gt_f32_e64 s0, v7, v17
	v_cndmask_b32_e64 v16, v16, 3, s0
	v_cndmask_b32_e64 v18, v17, v7, s0
	s_delay_alu instid0(VALU_DEP_4) | instskip(NEXT) | instid1(VALU_DEP_3)
	v_cndmask_b32_e64 v17, v19, v3, s0
	v_or_b32_e32 v16, v10, v16
	ds_bpermute_b32 v19, v13, v18
	ds_bpermute_b32 v21, v13, v17
	;; [unrolled: 1-line block ×3, first 2 shown]
	s_waitcnt lgkmcnt(0)
	v_cmp_lt_f32_e64 s16, v18, v19
	v_cmpx_nlt_f32_e32 v18, v19
; %bb.11:                               ;   in Loop: Header=BB237_10 Depth=1
	v_cmp_eq_f32_e64 s0, v18, v19
	v_cmp_lt_i32_e64 s1, v20, v16
	s_delay_alu instid0(VALU_DEP_1) | instskip(SKIP_2) | instid1(SALU_CYCLE_1)
	s_and_b32 s0, s0, s1
	s_and_not1_b32 s1, s16, exec_lo
	s_and_b32 s0, s0, exec_lo
	s_or_b32 s16, s1, s0
; %bb.12:                               ;   in Loop: Header=BB237_10 Depth=1
	s_or_b32 exec_lo, exec_lo, s17
	s_and_saveexec_b32 s0, s16
; %bb.13:                               ;   in Loop: Header=BB237_10 Depth=1
	v_dual_mov_b32 v17, v21 :: v_dual_mov_b32 v18, v19
	v_mov_b32_e32 v16, v20
; %bb.14:                               ;   in Loop: Header=BB237_10 Depth=1
	s_or_b32 exec_lo, exec_lo, s0
	ds_bpermute_b32 v21, v14, v18
	ds_bpermute_b32 v19, v14, v17
	;; [unrolled: 1-line block ×3, first 2 shown]
	s_mov_b32 s17, exec_lo
	s_waitcnt lgkmcnt(2)
	v_cmp_lt_f32_e64 s16, v18, v21
	v_cmpx_nlt_f32_e32 v18, v21
	s_cbranch_execnz .LBB237_18
; %bb.15:                               ;   in Loop: Header=BB237_10 Depth=1
	s_or_b32 exec_lo, exec_lo, s17
	s_delay_alu instid0(VALU_DEP_2)
	s_and_saveexec_b32 s0, s16
	s_cbranch_execnz .LBB237_19
.LBB237_16:                             ;   in Loop: Header=BB237_10 Depth=1
	s_or_b32 exec_lo, exec_lo, s0
	s_and_saveexec_b32 s16, s2
	s_cbranch_execnz .LBB237_20
.LBB237_17:                             ;   in Loop: Header=BB237_10 Depth=1
	s_or_b32 exec_lo, exec_lo, s16
	s_add_i32 s7, s7, 1
	s_delay_alu instid0(SALU_CYCLE_1)
	s_cmp_ge_i32 s7, s4
	s_cbranch_scc1 .LBB237_9
	s_branch .LBB237_21
.LBB237_18:                             ;   in Loop: Header=BB237_10 Depth=1
	v_cmp_eq_f32_e64 s0, v18, v21
	s_waitcnt lgkmcnt(0)
	v_cmp_lt_i32_e64 s1, v20, v16
	s_delay_alu instid0(VALU_DEP_1) | instskip(SKIP_2) | instid1(SALU_CYCLE_1)
	s_and_b32 s0, s0, s1
	s_and_not1_b32 s1, s16, exec_lo
	s_and_b32 s0, s0, exec_lo
	s_or_b32 s16, s1, s0
	s_or_b32 exec_lo, exec_lo, s17
	s_and_saveexec_b32 s0, s16
	s_cbranch_execz .LBB237_16
.LBB237_19:                             ;   in Loop: Header=BB237_10 Depth=1
	s_waitcnt lgkmcnt(0)
	v_dual_mov_b32 v16, v20 :: v_dual_mov_b32 v17, v19
	s_or_b32 exec_lo, exec_lo, s0
	s_and_saveexec_b32 s16, s2
	s_cbranch_execz .LBB237_17
.LBB237_20:                             ;   in Loop: Header=BB237_10 Depth=1
	s_delay_alu instid0(VALU_DEP_1)
	v_add_f32_e32 v26, v11, v17
	v_add_nc_u32_e32 v18, s7, v12
	v_subrev_nc_u32_e32 v22, s5, v16
	v_cmp_le_i32_e64 s0, s5, v16
	v_cmp_gt_i32_e64 s1, s6, v16
	v_cndmask_b32_e32 v11, v11, v26, vcc_lo
	s_waitcnt lgkmcnt(1)
	v_ashrrev_i32_e32 v19, 31, v18
	v_ashrrev_i32_e32 v23, 31, v22
	s_and_b32 s0, s0, s1
	s_waitcnt lgkmcnt(0)
	s_delay_alu instid0(VALU_DEP_2) | instskip(SKIP_2) | instid1(SALU_CYCLE_1)
	v_lshlrev_b64 v[20:21], 2, v[18:19]
	v_lshlrev_b64 v[18:19], 3, v[18:19]
	s_and_b32 s0, s15, s0
	v_cndmask_b32_e64 v23, 0, v23, s0
	v_cndmask_b32_e64 v22, 16, v22, s0
	s_delay_alu instid0(VALU_DEP_4) | instskip(NEXT) | instid1(VALU_DEP_1)
	v_add_co_u32 v24, s0, s12, v20
	v_add_co_ci_u32_e64 v25, s0, s13, v21, s0
	v_add_co_u32 v18, s0, s8, v18
	s_delay_alu instid0(VALU_DEP_1) | instskip(SKIP_1) | instid1(VALU_DEP_1)
	v_add_co_ci_u32_e64 v19, s0, s9, v19, s0
	v_add_co_u32 v20, s0, s10, v20
	v_add_co_ci_u32_e64 v21, s0, s11, v21, s0
	global_store_b32 v[24:25], v17, off
	global_store_b64 v[18:19], v[22:23], off
	global_store_b32 v[20:21], v15, off
	s_or_b32 exec_lo, exec_lo, s16
	s_add_i32 s7, s7, 1
	s_delay_alu instid0(SALU_CYCLE_1)
	s_cmp_ge_i32 s7, s4
	s_cbranch_scc1 .LBB237_9
.LBB237_21:                             ;   in Loop: Header=BB237_10 Depth=1
	v_ashrrev_i32_e32 v18, 31, v16
	s_mov_b32 s1, exec_lo
	s_delay_alu instid0(VALU_DEP_1) | instskip(NEXT) | instid1(VALU_DEP_1)
	v_lshrrev_b32_e32 v17, 30, v18
	v_add_nc_u32_e32 v17, v16, v17
	s_delay_alu instid0(VALU_DEP_1) | instskip(SKIP_1) | instid1(VALU_DEP_1)
	v_ashrrev_i32_e32 v17, 2, v17
	s_waitcnt lgkmcnt(1)
	v_lshrrev_b32_e32 v19, 30, v17
	s_delay_alu instid0(VALU_DEP_1) | instskip(NEXT) | instid1(VALU_DEP_1)
	v_add_nc_u32_e32 v19, v17, v19
	v_and_b32_e32 v19, -4, v19
	s_delay_alu instid0(VALU_DEP_1) | instskip(NEXT) | instid1(VALU_DEP_1)
	v_sub_nc_u32_e32 v19, v17, v19
	v_cmpx_eq_u32_e64 v9, v19
	s_cbranch_execz .LBB237_8
; %bb.22:                               ;   in Loop: Header=BB237_10 Depth=1
	v_lshrrev_b32_e32 v18, 28, v18
	v_lshlrev_b32_e32 v17, 2, v17
	s_delay_alu instid0(VALU_DEP_2) | instskip(NEXT) | instid1(VALU_DEP_2)
	v_add_nc_u32_e32 v18, v16, v18
	v_sub_nc_u32_e32 v16, v16, v17
	s_delay_alu instid0(VALU_DEP_2) | instskip(NEXT) | instid1(VALU_DEP_1)
	v_ashrrev_i32_e32 v17, 4, v18
	v_lshl_add_u32 v16, v17, 2, v16
	s_delay_alu instid0(VALU_DEP_1) | instskip(NEXT) | instid1(VALU_DEP_1)
	v_cmp_ne_u32_e64 s0, 3, v16
	v_cndmask_b32_e64 v7, 0xc61c4000, v7, s0
	v_cmp_ne_u32_e64 s0, 2, v16
	s_delay_alu instid0(VALU_DEP_1) | instskip(SKIP_1) | instid1(VALU_DEP_1)
	v_cndmask_b32_e64 v6, 0xc61c4000, v6, s0
	v_cmp_ne_u32_e64 s0, 1, v16
	v_cndmask_b32_e64 v5, 0xc61c4000, v5, s0
	v_cmp_ne_u32_e64 s0, 0, v16
	s_delay_alu instid0(VALU_DEP_1)
	v_cndmask_b32_e64 v4, 0xc61c4000, v4, s0
	s_branch .LBB237_8
.LBB237_23:
                                        ; implicit-def: $vgpr4_vgpr5_vgpr6_vgpr7
	s_and_not1_b32 vcc_lo, exec_lo, s8
	s_cbranch_vccz .LBB237_5
	s_branch .LBB237_6
.LBB237_24:
	v_mov_b32_e32 v11, 0
.LBB237_25:
	v_cmp_eq_u32_e64 s0, 0, v9
	s_delay_alu instid0(VALU_DEP_1) | instskip(NEXT) | instid1(SALU_CYCLE_1)
	s_and_b32 s0, s0, vcc_lo
	s_and_b32 exec_lo, exec_lo, s0
	s_cbranch_execz .LBB237_29
; %bb.26:
	s_and_not1_b32 vcc_lo, exec_lo, s3
	s_cbranch_vccnz .LBB237_29
; %bb.27:
	v_mul_lo_u32 v0, v8, s4
	v_cmp_lt_f32_e32 vcc_lo, 0, v11
	v_cndmask_b32_e32 v2, 1.0, v11, vcc_lo
	s_delay_alu instid0(VALU_DEP_3) | instskip(NEXT) | instid1(VALU_DEP_1)
	v_ashrrev_i32_e32 v1, 31, v0
	v_lshlrev_b64 v[0:1], 2, v[0:1]
	s_delay_alu instid0(VALU_DEP_1) | instskip(NEXT) | instid1(VALU_DEP_2)
	v_add_co_u32 v0, vcc_lo, s12, v0
	v_add_co_ci_u32_e32 v1, vcc_lo, s13, v1, vcc_lo
	.p2align	6
.LBB237_28:                             ; =>This Inner Loop Header: Depth=1
	global_load_b32 v3, v[0:1], off
	s_add_i32 s4, s4, -1
	s_delay_alu instid0(SALU_CYCLE_1) | instskip(SKIP_3) | instid1(VALU_DEP_2)
	s_cmp_lg_u32 s4, 0
	s_waitcnt vmcnt(0)
	v_div_scale_f32 v4, null, v2, v2, v3
	v_div_scale_f32 v7, vcc_lo, v3, v2, v3
	v_rcp_f32_e32 v5, v4
	s_waitcnt_depctr 0xfff
	v_fma_f32 v6, -v4, v5, 1.0
	s_delay_alu instid0(VALU_DEP_1) | instskip(NEXT) | instid1(VALU_DEP_1)
	v_fmac_f32_e32 v5, v6, v5
	v_mul_f32_e32 v6, v7, v5
	s_delay_alu instid0(VALU_DEP_1) | instskip(NEXT) | instid1(VALU_DEP_1)
	v_fma_f32 v8, -v4, v6, v7
	v_fmac_f32_e32 v6, v8, v5
	s_delay_alu instid0(VALU_DEP_1) | instskip(NEXT) | instid1(VALU_DEP_1)
	v_fma_f32 v4, -v4, v6, v7
	v_div_fmas_f32 v4, v4, v5, v6
	s_delay_alu instid0(VALU_DEP_1)
	v_div_fixup_f32 v3, v4, v2, v3
	global_store_b32 v[0:1], v3, off
	v_add_co_u32 v0, vcc_lo, v0, 4
	v_add_co_ci_u32_e32 v1, vcc_lo, 0, v1, vcc_lo
	s_cbranch_scc1 .LBB237_28
.LBB237_29:
	s_nop 0
	s_sendmsg sendmsg(MSG_DEALLOC_VGPRS)
	s_endpgm
	.section	.rodata,"a",@progbits
	.p2align	6, 0x0
	.amdhsa_kernel _ZN4vllm3moe10topkGatingILi4ELi16ELi4ELi16ELi64ElfLNS0_11ScoringFuncE1EEEvPKT5_PKbPfiPT4_PiiiibPKf
		.amdhsa_group_segment_fixed_size 0
		.amdhsa_private_segment_fixed_size 0
		.amdhsa_kernarg_size 72
		.amdhsa_user_sgpr_count 15
		.amdhsa_user_sgpr_dispatch_ptr 0
		.amdhsa_user_sgpr_queue_ptr 0
		.amdhsa_user_sgpr_kernarg_segment_ptr 1
		.amdhsa_user_sgpr_dispatch_id 0
		.amdhsa_user_sgpr_private_segment_size 0
		.amdhsa_wavefront_size32 1
		.amdhsa_uses_dynamic_stack 0
		.amdhsa_enable_private_segment 0
		.amdhsa_system_sgpr_workgroup_id_x 1
		.amdhsa_system_sgpr_workgroup_id_y 0
		.amdhsa_system_sgpr_workgroup_id_z 0
		.amdhsa_system_sgpr_workgroup_info 0
		.amdhsa_system_vgpr_workitem_id 1
		.amdhsa_next_free_vgpr 27
		.amdhsa_next_free_sgpr 18
		.amdhsa_reserve_vcc 1
		.amdhsa_float_round_mode_32 0
		.amdhsa_float_round_mode_16_64 0
		.amdhsa_float_denorm_mode_32 3
		.amdhsa_float_denorm_mode_16_64 3
		.amdhsa_dx10_clamp 1
		.amdhsa_ieee_mode 1
		.amdhsa_fp16_overflow 0
		.amdhsa_workgroup_processor_mode 1
		.amdhsa_memory_ordered 1
		.amdhsa_forward_progress 0
		.amdhsa_shared_vgpr_count 0
		.amdhsa_exception_fp_ieee_invalid_op 0
		.amdhsa_exception_fp_denorm_src 0
		.amdhsa_exception_fp_ieee_div_zero 0
		.amdhsa_exception_fp_ieee_overflow 0
		.amdhsa_exception_fp_ieee_underflow 0
		.amdhsa_exception_fp_ieee_inexact 0
		.amdhsa_exception_int_div_zero 0
	.end_amdhsa_kernel
	.section	.text._ZN4vllm3moe10topkGatingILi4ELi16ELi4ELi16ELi64ElfLNS0_11ScoringFuncE1EEEvPKT5_PKbPfiPT4_PiiiibPKf,"axG",@progbits,_ZN4vllm3moe10topkGatingILi4ELi16ELi4ELi16ELi64ElfLNS0_11ScoringFuncE1EEEvPKT5_PKbPfiPT4_PiiiibPKf,comdat
.Lfunc_end237:
	.size	_ZN4vllm3moe10topkGatingILi4ELi16ELi4ELi16ELi64ElfLNS0_11ScoringFuncE1EEEvPKT5_PKbPfiPT4_PiiiibPKf, .Lfunc_end237-_ZN4vllm3moe10topkGatingILi4ELi16ELi4ELi16ELi64ElfLNS0_11ScoringFuncE1EEEvPKT5_PKbPfiPT4_PiiiibPKf
                                        ; -- End function
	.section	.AMDGPU.csdata,"",@progbits
; Kernel info:
; codeLenInByte = 2036
; NumSgprs: 20
; NumVgprs: 27
; ScratchSize: 0
; MemoryBound: 0
; FloatMode: 240
; IeeeMode: 1
; LDSByteSize: 0 bytes/workgroup (compile time only)
; SGPRBlocks: 2
; VGPRBlocks: 3
; NumSGPRsForWavesPerEU: 20
; NumVGPRsForWavesPerEU: 27
; Occupancy: 16
; WaveLimiterHint : 0
; COMPUTE_PGM_RSRC2:SCRATCH_EN: 0
; COMPUTE_PGM_RSRC2:USER_SGPR: 15
; COMPUTE_PGM_RSRC2:TRAP_HANDLER: 0
; COMPUTE_PGM_RSRC2:TGID_X_EN: 1
; COMPUTE_PGM_RSRC2:TGID_Y_EN: 0
; COMPUTE_PGM_RSRC2:TGID_Z_EN: 0
; COMPUTE_PGM_RSRC2:TIDIG_COMP_CNT: 1
	.section	.text._ZN4vllm3moe10topkGatingILi4ELi16ELi4ELi16ELi32ElfLNS0_11ScoringFuncE1EEEvPKT5_PKbPfiPT4_PiiiibPKf,"axG",@progbits,_ZN4vllm3moe10topkGatingILi4ELi16ELi4ELi16ELi32ElfLNS0_11ScoringFuncE1EEEvPKT5_PKbPfiPT4_PiiiibPKf,comdat
	.protected	_ZN4vllm3moe10topkGatingILi4ELi16ELi4ELi16ELi32ElfLNS0_11ScoringFuncE1EEEvPKT5_PKbPfiPT4_PiiiibPKf ; -- Begin function _ZN4vllm3moe10topkGatingILi4ELi16ELi4ELi16ELi32ElfLNS0_11ScoringFuncE1EEEvPKT5_PKbPfiPT4_PiiiibPKf
	.globl	_ZN4vllm3moe10topkGatingILi4ELi16ELi4ELi16ELi32ElfLNS0_11ScoringFuncE1EEEvPKT5_PKbPfiPT4_PiiiibPKf
	.p2align	8
	.type	_ZN4vllm3moe10topkGatingILi4ELi16ELi4ELi16ELi32ElfLNS0_11ScoringFuncE1EEEvPKT5_PKbPfiPT4_PiiiibPKf,@function
_ZN4vllm3moe10topkGatingILi4ELi16ELi4ELi16ELi32ElfLNS0_11ScoringFuncE1EEEvPKT5_PKbPfiPT4_PiiiibPKf: ; @_ZN4vllm3moe10topkGatingILi4ELi16ELi4ELi16ELi32ElfLNS0_11ScoringFuncE1EEEvPKT5_PKbPfiPT4_PiiiibPKf
; %bb.0:
	s_load_b32 s14, s[0:1], 0x18
	v_bfe_u32 v1, v0, 10, 10
	v_and_b32_e32 v0, 0x3ff, v0
	s_lshl_b32 s2, s15, 5
	s_delay_alu instid0(VALU_DEP_2) | instskip(NEXT) | instid1(VALU_DEP_2)
	v_lshlrev_b32_e32 v1, 3, v1
	v_lshrrev_b32_e32 v2, 2, v0
	s_delay_alu instid0(VALU_DEP_1) | instskip(SKIP_2) | instid1(VALU_DEP_1)
	v_add3_u32 v8, s2, v1, v2
	s_mov_b32 s2, exec_lo
	s_waitcnt lgkmcnt(0)
	v_cmpx_gt_i32_e64 s14, v8
	s_cbranch_execz .LBB238_29
; %bb.1:
	s_clause 0x1
	s_load_b128 s[4:7], s[0:1], 0x0
	s_load_b64 s[12:13], s[0:1], 0x10
	s_mov_b32 s8, -1
	s_mov_b32 s15, -1
	s_waitcnt lgkmcnt(0)
	s_cmp_eq_u64 s[6:7], 0
	s_cbranch_scc1 .LBB238_3
; %bb.2:
	v_ashrrev_i32_e32 v2, 31, v8
	v_add_co_u32 v1, vcc_lo, s6, v8
	s_delay_alu instid0(VALU_DEP_2) | instskip(SKIP_3) | instid1(VALU_DEP_1)
	v_add_co_ci_u32_e32 v2, vcc_lo, s7, v2, vcc_lo
	global_load_u8 v1, v[1:2], off
	s_waitcnt vmcnt(0)
	v_and_b32_e32 v1, 1, v1
	v_cmp_eq_u32_e32 vcc_lo, 1, v1
	s_xor_b32 s2, vcc_lo, -1
	s_delay_alu instid0(SALU_CYCLE_1)
	s_or_not1_b32 s15, s2, exec_lo
.LBB238_3:
	v_lshlrev_b32_e32 v1, 4, v8
	v_and_b32_e32 v9, 3, v0
	s_load_b64 s[6:7], s[0:1], 0x40
	s_delay_alu instid0(VALU_DEP_2) | instskip(NEXT) | instid1(VALU_DEP_1)
	v_ashrrev_i32_e32 v2, 31, v1
	v_lshlrev_b64 v[0:1], 2, v[1:2]
	s_delay_alu instid0(VALU_DEP_3) | instskip(NEXT) | instid1(VALU_DEP_2)
	v_lshlrev_b32_e32 v2, 4, v9
	v_add_co_u32 v0, vcc_lo, s4, v0
	s_delay_alu instid0(VALU_DEP_3) | instskip(NEXT) | instid1(VALU_DEP_2)
	v_add_co_ci_u32_e32 v1, vcc_lo, s5, v1, vcc_lo
	v_add_co_u32 v0, vcc_lo, v0, v2
	s_delay_alu instid0(VALU_DEP_2)
	v_add_co_ci_u32_e32 v1, vcc_lo, 0, v1, vcc_lo
	s_waitcnt lgkmcnt(0)
	s_cmp_eq_u64 s[6:7], 0
	global_load_b128 v[0:3], v[0:1], off
	s_waitcnt vmcnt(0)
	v_dual_mul_f32 v3, 0xbfb8aa3b, v3 :: v_dual_mul_f32 v0, 0xbfb8aa3b, v0
	v_dual_mul_f32 v1, 0xbfb8aa3b, v1 :: v_dual_mul_f32 v2, 0xbfb8aa3b, v2
	s_delay_alu instid0(VALU_DEP_2) | instskip(NEXT) | instid1(VALU_DEP_2)
	v_exp_f32_e32 v3, v3
	v_exp_f32_e32 v0, v0
	s_delay_alu instid0(VALU_DEP_1) | instskip(NEXT) | instid1(VALU_DEP_1)
	v_exp_f32_e32 v1, v1
	v_exp_f32_e32 v2, v2
	s_waitcnt_depctr 0xfff
	v_dual_add_f32 v0, 1.0, v0 :: v_dual_add_f32 v1, 1.0, v1
	v_add_f32_e32 v2, 1.0, v2
	s_delay_alu instid0(VALU_DEP_2) | instskip(NEXT) | instid1(VALU_DEP_3)
	v_div_scale_f32 v4, null, v0, v0, 1.0
	v_div_scale_f32 v5, null, v1, v1, 1.0
	s_delay_alu instid0(VALU_DEP_3) | instskip(NEXT) | instid1(VALU_DEP_3)
	v_div_scale_f32 v6, null, v2, v2, 1.0
	v_rcp_f32_e32 v11, v4
	s_delay_alu instid0(VALU_DEP_2) | instskip(SKIP_1) | instid1(VALU_DEP_2)
	v_rcp_f32_e32 v12, v5
	v_div_scale_f32 v15, vcc_lo, 1.0, v0, 1.0
	v_rcp_f32_e32 v13, v6
	v_div_scale_f32 v16, s2, 1.0, v1, 1.0
	v_div_scale_f32 v17, s3, 1.0, v2, 1.0
	s_delay_alu instid0(TRANS32_DEP_3) | instskip(SKIP_4) | instid1(VALU_DEP_3)
	v_fma_f32 v10, -v4, v11, 1.0
	s_waitcnt_depctr 0xfff
	v_fma_f32 v18, -v5, v12, 1.0
	v_add_f32_e32 v3, 1.0, v3
	v_fma_f32 v19, -v6, v13, 1.0
	v_fmac_f32_e32 v12, v18, v12
	s_delay_alu instid0(VALU_DEP_3) | instskip(SKIP_1) | instid1(VALU_DEP_2)
	v_div_scale_f32 v7, null, v3, v3, 1.0
	v_div_scale_f32 v21, s4, 1.0, v3, 1.0
	v_rcp_f32_e32 v14, v7
	s_waitcnt_depctr 0xfff
	v_fma_f32 v20, -v7, v14, 1.0
	s_delay_alu instid0(VALU_DEP_1) | instskip(NEXT) | instid1(VALU_DEP_1)
	v_dual_fmac_f32 v11, v10, v11 :: v_dual_fmac_f32 v14, v20, v14
	v_mul_f32_e32 v18, v15, v11
	v_fmac_f32_e32 v13, v19, v13
	s_delay_alu instid0(VALU_DEP_3) | instskip(NEXT) | instid1(VALU_DEP_3)
	v_dual_mul_f32 v19, v16, v12 :: v_dual_mul_f32 v22, v21, v14
	v_fma_f32 v10, -v4, v18, v15
	s_delay_alu instid0(VALU_DEP_2) | instskip(NEXT) | instid1(VALU_DEP_4)
	v_fma_f32 v23, -v5, v19, v16
	v_mul_f32_e32 v20, v17, v13
	s_delay_alu instid0(VALU_DEP_4) | instskip(NEXT) | instid1(VALU_DEP_4)
	v_fma_f32 v25, -v7, v22, v21
	v_fmac_f32_e32 v18, v10, v11
	s_delay_alu instid0(VALU_DEP_4) | instskip(NEXT) | instid1(VALU_DEP_4)
	v_dual_fmac_f32 v19, v23, v12 :: v_dual_lshlrev_b32 v10, 2, v9
	v_fma_f32 v24, -v6, v20, v17
	s_delay_alu instid0(VALU_DEP_4) | instskip(NEXT) | instid1(VALU_DEP_4)
	v_fmac_f32_e32 v22, v25, v14
	v_fma_f32 v4, -v4, v18, v15
	s_delay_alu instid0(VALU_DEP_4) | instskip(NEXT) | instid1(VALU_DEP_4)
	v_fma_f32 v5, -v5, v19, v16
	v_fmac_f32_e32 v20, v24, v13
	s_delay_alu instid0(VALU_DEP_4) | instskip(NEXT) | instid1(VALU_DEP_4)
	v_fma_f32 v7, -v7, v22, v21
	v_div_fmas_f32 v4, v4, v11, v18
	s_mov_b32 vcc_lo, s2
	s_delay_alu instid0(VALU_DEP_3) | instskip(SKIP_1) | instid1(VALU_DEP_3)
	v_fma_f32 v6, -v6, v20, v17
	v_div_fmas_f32 v5, v5, v12, v19
	v_div_fixup_f32 v0, v4, v0, 1.0
	s_mov_b32 vcc_lo, s3
	s_delay_alu instid0(VALU_DEP_3)
	v_div_fmas_f32 v6, v6, v13, v20
	s_mov_b32 vcc_lo, s4
	v_div_fixup_f32 v1, v5, v1, 1.0
	v_div_fmas_f32 v4, v7, v14, v22
	v_cmp_class_f32_e64 vcc_lo, v0, 0x1f8
	v_div_fixup_f32 v2, v6, v2, 1.0
	s_delay_alu instid0(VALU_DEP_3)
	v_div_fixup_f32 v3, v4, v3, 1.0
	v_cndmask_b32_e32 v0, 0, v0, vcc_lo
	v_cmp_class_f32_e64 vcc_lo, v1, 0x1f8
	v_cndmask_b32_e32 v1, 0, v1, vcc_lo
	v_cmp_class_f32_e64 vcc_lo, v2, 0x1f8
	;; [unrolled: 2-line block ×3, first 2 shown]
	v_cndmask_b32_e32 v3, 0, v3, vcc_lo
	s_cbranch_scc1 .LBB238_23
; %bb.4:
	v_lshlrev_b32_e32 v4, 2, v10
	global_load_b128 v[4:7], v4, s[6:7]
	s_waitcnt vmcnt(0)
	v_dual_add_f32 v5, v5, v1 :: v_dual_add_f32 v4, v4, v0
	v_dual_add_f32 v7, v7, v3 :: v_dual_add_f32 v6, v6, v2
	s_cbranch_execnz .LBB238_6
.LBB238_5:
	v_dual_mov_b32 v7, v3 :: v_dual_mov_b32 v6, v2
	v_dual_mov_b32 v5, v1 :: v_dual_mov_b32 v4, v0
.LBB238_6:
	s_load_b128 s[4:7], s[0:1], 0x30
	v_cmp_eq_u32_e64 s2, 0, v9
	s_waitcnt lgkmcnt(0)
	s_bitcmp1_b32 s7, 0
	s_mov_b32 s7, 0
	s_cselect_b32 vcc_lo, -1, 0
	s_cmp_gt_i32 s4, 0
	s_cselect_b32 s3, -1, 0
	s_cmp_lt_i32 s4, 1
	s_cbranch_scc1 .LBB238_24
; %bb.7:
	v_mbcnt_lo_u32_b32 v11, -1, 0
	s_load_b128 s[8:11], s[0:1], 0x20
	s_delay_alu instid0(VALU_DEP_1) | instskip(SKIP_2) | instid1(VALU_DEP_3)
	v_dual_mov_b32 v15, v8 :: v_dual_and_b32 v12, 28, v11
	v_xor_b32_e32 v13, 2, v11
	v_xor_b32_e32 v14, 1, v11
	v_add_nc_u32_e32 v12, 4, v12
	s_delay_alu instid0(VALU_DEP_1) | instskip(NEXT) | instid1(VALU_DEP_1)
	v_cmp_lt_i32_e64 s0, v13, v12
	v_cndmask_b32_e64 v13, v11, v13, s0
	s_delay_alu instid0(VALU_DEP_4) | instskip(SKIP_1) | instid1(VALU_DEP_3)
	v_cmp_lt_i32_e64 s0, v14, v12
	v_mul_lo_u32 v12, v8, s4
	v_lshlrev_b32_e32 v13, 2, v13
	s_delay_alu instid0(VALU_DEP_3) | instskip(NEXT) | instid1(VALU_DEP_1)
	v_cndmask_b32_e64 v14, v11, v14, s0
	v_dual_mov_b32 v11, 0 :: v_dual_lshlrev_b32 v14, 2, v14
	s_branch .LBB238_10
.LBB238_8:                              ;   in Loop: Header=BB238_10 Depth=1
	s_or_b32 exec_lo, exec_lo, s1
.LBB238_9:                              ;   in Loop: Header=BB238_10 Depth=1
	v_add_nc_u32_e32 v15, s14, v15
	s_cmp_eq_u32 s4, s7
	s_cbranch_scc1 .LBB238_25
.LBB238_10:                             ; =>This Inner Loop Header: Depth=1
	v_cmp_gt_f32_e64 s0, v5, v4
	s_mov_b32 s17, exec_lo
	s_delay_alu instid0(VALU_DEP_1) | instskip(SKIP_2) | instid1(VALU_DEP_3)
	v_cndmask_b32_e64 v17, v4, v5, s0
	v_cndmask_b32_e64 v16, 0, 1, s0
	;; [unrolled: 1-line block ×3, first 2 shown]
	v_cmp_gt_f32_e64 s1, v6, v17
	s_delay_alu instid0(VALU_DEP_1) | instskip(NEXT) | instid1(VALU_DEP_4)
	v_cndmask_b32_e64 v17, v17, v6, s1
	v_cndmask_b32_e64 v16, v16, 2, s1
	s_waitcnt lgkmcnt(0)
	v_cndmask_b32_e64 v19, v18, v2, s1
	s_delay_alu instid0(VALU_DEP_3) | instskip(NEXT) | instid1(VALU_DEP_1)
	v_cmp_gt_f32_e64 s0, v7, v17
	v_cndmask_b32_e64 v16, v16, 3, s0
	v_cndmask_b32_e64 v18, v17, v7, s0
	s_delay_alu instid0(VALU_DEP_4) | instskip(NEXT) | instid1(VALU_DEP_3)
	v_cndmask_b32_e64 v17, v19, v3, s0
	v_or_b32_e32 v16, v10, v16
	ds_bpermute_b32 v19, v13, v18
	ds_bpermute_b32 v21, v13, v17
	;; [unrolled: 1-line block ×3, first 2 shown]
	s_waitcnt lgkmcnt(0)
	v_cmp_lt_f32_e64 s16, v18, v19
	v_cmpx_nlt_f32_e32 v18, v19
; %bb.11:                               ;   in Loop: Header=BB238_10 Depth=1
	v_cmp_eq_f32_e64 s0, v18, v19
	v_cmp_lt_i32_e64 s1, v20, v16
	s_delay_alu instid0(VALU_DEP_1) | instskip(SKIP_2) | instid1(SALU_CYCLE_1)
	s_and_b32 s0, s0, s1
	s_and_not1_b32 s1, s16, exec_lo
	s_and_b32 s0, s0, exec_lo
	s_or_b32 s16, s1, s0
; %bb.12:                               ;   in Loop: Header=BB238_10 Depth=1
	s_or_b32 exec_lo, exec_lo, s17
	s_and_saveexec_b32 s0, s16
; %bb.13:                               ;   in Loop: Header=BB238_10 Depth=1
	v_dual_mov_b32 v17, v21 :: v_dual_mov_b32 v18, v19
	v_mov_b32_e32 v16, v20
; %bb.14:                               ;   in Loop: Header=BB238_10 Depth=1
	s_or_b32 exec_lo, exec_lo, s0
	ds_bpermute_b32 v21, v14, v18
	ds_bpermute_b32 v19, v14, v17
	;; [unrolled: 1-line block ×3, first 2 shown]
	s_mov_b32 s17, exec_lo
	s_waitcnt lgkmcnt(2)
	v_cmp_lt_f32_e64 s16, v18, v21
	v_cmpx_nlt_f32_e32 v18, v21
	s_cbranch_execnz .LBB238_18
; %bb.15:                               ;   in Loop: Header=BB238_10 Depth=1
	s_or_b32 exec_lo, exec_lo, s17
	s_delay_alu instid0(VALU_DEP_2)
	s_and_saveexec_b32 s0, s16
	s_cbranch_execnz .LBB238_19
.LBB238_16:                             ;   in Loop: Header=BB238_10 Depth=1
	s_or_b32 exec_lo, exec_lo, s0
	s_and_saveexec_b32 s16, s2
	s_cbranch_execnz .LBB238_20
.LBB238_17:                             ;   in Loop: Header=BB238_10 Depth=1
	s_or_b32 exec_lo, exec_lo, s16
	s_add_i32 s7, s7, 1
	s_delay_alu instid0(SALU_CYCLE_1)
	s_cmp_ge_i32 s7, s4
	s_cbranch_scc1 .LBB238_9
	s_branch .LBB238_21
.LBB238_18:                             ;   in Loop: Header=BB238_10 Depth=1
	v_cmp_eq_f32_e64 s0, v18, v21
	s_waitcnt lgkmcnt(0)
	v_cmp_lt_i32_e64 s1, v20, v16
	s_delay_alu instid0(VALU_DEP_1) | instskip(SKIP_2) | instid1(SALU_CYCLE_1)
	s_and_b32 s0, s0, s1
	s_and_not1_b32 s1, s16, exec_lo
	s_and_b32 s0, s0, exec_lo
	s_or_b32 s16, s1, s0
	s_or_b32 exec_lo, exec_lo, s17
	s_and_saveexec_b32 s0, s16
	s_cbranch_execz .LBB238_16
.LBB238_19:                             ;   in Loop: Header=BB238_10 Depth=1
	s_waitcnt lgkmcnt(0)
	v_dual_mov_b32 v16, v20 :: v_dual_mov_b32 v17, v19
	s_or_b32 exec_lo, exec_lo, s0
	s_and_saveexec_b32 s16, s2
	s_cbranch_execz .LBB238_17
.LBB238_20:                             ;   in Loop: Header=BB238_10 Depth=1
	s_delay_alu instid0(VALU_DEP_1)
	v_add_f32_e32 v26, v11, v17
	v_add_nc_u32_e32 v18, s7, v12
	v_subrev_nc_u32_e32 v22, s5, v16
	v_cmp_le_i32_e64 s0, s5, v16
	v_cmp_gt_i32_e64 s1, s6, v16
	v_cndmask_b32_e32 v11, v11, v26, vcc_lo
	s_waitcnt lgkmcnt(1)
	v_ashrrev_i32_e32 v19, 31, v18
	v_ashrrev_i32_e32 v23, 31, v22
	s_and_b32 s0, s0, s1
	s_waitcnt lgkmcnt(0)
	s_delay_alu instid0(VALU_DEP_2) | instskip(SKIP_2) | instid1(SALU_CYCLE_1)
	v_lshlrev_b64 v[20:21], 2, v[18:19]
	v_lshlrev_b64 v[18:19], 3, v[18:19]
	s_and_b32 s0, s15, s0
	v_cndmask_b32_e64 v23, 0, v23, s0
	v_cndmask_b32_e64 v22, 16, v22, s0
	s_delay_alu instid0(VALU_DEP_4) | instskip(NEXT) | instid1(VALU_DEP_1)
	v_add_co_u32 v24, s0, s12, v20
	v_add_co_ci_u32_e64 v25, s0, s13, v21, s0
	v_add_co_u32 v18, s0, s8, v18
	s_delay_alu instid0(VALU_DEP_1) | instskip(SKIP_1) | instid1(VALU_DEP_1)
	v_add_co_ci_u32_e64 v19, s0, s9, v19, s0
	v_add_co_u32 v20, s0, s10, v20
	v_add_co_ci_u32_e64 v21, s0, s11, v21, s0
	global_store_b32 v[24:25], v17, off
	global_store_b64 v[18:19], v[22:23], off
	global_store_b32 v[20:21], v15, off
	s_or_b32 exec_lo, exec_lo, s16
	s_add_i32 s7, s7, 1
	s_delay_alu instid0(SALU_CYCLE_1)
	s_cmp_ge_i32 s7, s4
	s_cbranch_scc1 .LBB238_9
.LBB238_21:                             ;   in Loop: Header=BB238_10 Depth=1
	v_ashrrev_i32_e32 v18, 31, v16
	s_mov_b32 s1, exec_lo
	s_delay_alu instid0(VALU_DEP_1) | instskip(NEXT) | instid1(VALU_DEP_1)
	v_lshrrev_b32_e32 v17, 30, v18
	v_add_nc_u32_e32 v17, v16, v17
	s_delay_alu instid0(VALU_DEP_1) | instskip(SKIP_1) | instid1(VALU_DEP_1)
	v_ashrrev_i32_e32 v17, 2, v17
	s_waitcnt lgkmcnt(1)
	v_lshrrev_b32_e32 v19, 30, v17
	s_delay_alu instid0(VALU_DEP_1) | instskip(NEXT) | instid1(VALU_DEP_1)
	v_add_nc_u32_e32 v19, v17, v19
	v_and_b32_e32 v19, -4, v19
	s_delay_alu instid0(VALU_DEP_1) | instskip(NEXT) | instid1(VALU_DEP_1)
	v_sub_nc_u32_e32 v19, v17, v19
	v_cmpx_eq_u32_e64 v9, v19
	s_cbranch_execz .LBB238_8
; %bb.22:                               ;   in Loop: Header=BB238_10 Depth=1
	v_lshrrev_b32_e32 v18, 28, v18
	v_lshlrev_b32_e32 v17, 2, v17
	s_delay_alu instid0(VALU_DEP_2) | instskip(NEXT) | instid1(VALU_DEP_2)
	v_add_nc_u32_e32 v18, v16, v18
	v_sub_nc_u32_e32 v16, v16, v17
	s_delay_alu instid0(VALU_DEP_2) | instskip(NEXT) | instid1(VALU_DEP_1)
	v_ashrrev_i32_e32 v17, 4, v18
	v_lshl_add_u32 v16, v17, 2, v16
	s_delay_alu instid0(VALU_DEP_1) | instskip(NEXT) | instid1(VALU_DEP_1)
	v_cmp_ne_u32_e64 s0, 3, v16
	v_cndmask_b32_e64 v7, 0xc61c4000, v7, s0
	v_cmp_ne_u32_e64 s0, 2, v16
	s_delay_alu instid0(VALU_DEP_1) | instskip(SKIP_1) | instid1(VALU_DEP_1)
	v_cndmask_b32_e64 v6, 0xc61c4000, v6, s0
	v_cmp_ne_u32_e64 s0, 1, v16
	v_cndmask_b32_e64 v5, 0xc61c4000, v5, s0
	v_cmp_ne_u32_e64 s0, 0, v16
	s_delay_alu instid0(VALU_DEP_1)
	v_cndmask_b32_e64 v4, 0xc61c4000, v4, s0
	s_branch .LBB238_8
.LBB238_23:
                                        ; implicit-def: $vgpr4_vgpr5_vgpr6_vgpr7
	s_and_not1_b32 vcc_lo, exec_lo, s8
	s_cbranch_vccz .LBB238_5
	s_branch .LBB238_6
.LBB238_24:
	v_mov_b32_e32 v11, 0
.LBB238_25:
	v_cmp_eq_u32_e64 s0, 0, v9
	s_delay_alu instid0(VALU_DEP_1) | instskip(NEXT) | instid1(SALU_CYCLE_1)
	s_and_b32 s0, s0, vcc_lo
	s_and_b32 exec_lo, exec_lo, s0
	s_cbranch_execz .LBB238_29
; %bb.26:
	s_and_not1_b32 vcc_lo, exec_lo, s3
	s_cbranch_vccnz .LBB238_29
; %bb.27:
	v_mul_lo_u32 v0, v8, s4
	v_cmp_lt_f32_e32 vcc_lo, 0, v11
	v_cndmask_b32_e32 v2, 1.0, v11, vcc_lo
	s_delay_alu instid0(VALU_DEP_3) | instskip(NEXT) | instid1(VALU_DEP_1)
	v_ashrrev_i32_e32 v1, 31, v0
	v_lshlrev_b64 v[0:1], 2, v[0:1]
	s_delay_alu instid0(VALU_DEP_1) | instskip(NEXT) | instid1(VALU_DEP_2)
	v_add_co_u32 v0, vcc_lo, s12, v0
	v_add_co_ci_u32_e32 v1, vcc_lo, s13, v1, vcc_lo
	.p2align	6
.LBB238_28:                             ; =>This Inner Loop Header: Depth=1
	global_load_b32 v3, v[0:1], off
	s_add_i32 s4, s4, -1
	s_delay_alu instid0(SALU_CYCLE_1) | instskip(SKIP_3) | instid1(VALU_DEP_2)
	s_cmp_lg_u32 s4, 0
	s_waitcnt vmcnt(0)
	v_div_scale_f32 v4, null, v2, v2, v3
	v_div_scale_f32 v7, vcc_lo, v3, v2, v3
	v_rcp_f32_e32 v5, v4
	s_waitcnt_depctr 0xfff
	v_fma_f32 v6, -v4, v5, 1.0
	s_delay_alu instid0(VALU_DEP_1) | instskip(NEXT) | instid1(VALU_DEP_1)
	v_fmac_f32_e32 v5, v6, v5
	v_mul_f32_e32 v6, v7, v5
	s_delay_alu instid0(VALU_DEP_1) | instskip(NEXT) | instid1(VALU_DEP_1)
	v_fma_f32 v8, -v4, v6, v7
	v_fmac_f32_e32 v6, v8, v5
	s_delay_alu instid0(VALU_DEP_1) | instskip(NEXT) | instid1(VALU_DEP_1)
	v_fma_f32 v4, -v4, v6, v7
	v_div_fmas_f32 v4, v4, v5, v6
	s_delay_alu instid0(VALU_DEP_1)
	v_div_fixup_f32 v3, v4, v2, v3
	global_store_b32 v[0:1], v3, off
	v_add_co_u32 v0, vcc_lo, v0, 4
	v_add_co_ci_u32_e32 v1, vcc_lo, 0, v1, vcc_lo
	s_cbranch_scc1 .LBB238_28
.LBB238_29:
	s_nop 0
	s_sendmsg sendmsg(MSG_DEALLOC_VGPRS)
	s_endpgm
	.section	.rodata,"a",@progbits
	.p2align	6, 0x0
	.amdhsa_kernel _ZN4vllm3moe10topkGatingILi4ELi16ELi4ELi16ELi32ElfLNS0_11ScoringFuncE1EEEvPKT5_PKbPfiPT4_PiiiibPKf
		.amdhsa_group_segment_fixed_size 0
		.amdhsa_private_segment_fixed_size 0
		.amdhsa_kernarg_size 72
		.amdhsa_user_sgpr_count 15
		.amdhsa_user_sgpr_dispatch_ptr 0
		.amdhsa_user_sgpr_queue_ptr 0
		.amdhsa_user_sgpr_kernarg_segment_ptr 1
		.amdhsa_user_sgpr_dispatch_id 0
		.amdhsa_user_sgpr_private_segment_size 0
		.amdhsa_wavefront_size32 1
		.amdhsa_uses_dynamic_stack 0
		.amdhsa_enable_private_segment 0
		.amdhsa_system_sgpr_workgroup_id_x 1
		.amdhsa_system_sgpr_workgroup_id_y 0
		.amdhsa_system_sgpr_workgroup_id_z 0
		.amdhsa_system_sgpr_workgroup_info 0
		.amdhsa_system_vgpr_workitem_id 1
		.amdhsa_next_free_vgpr 27
		.amdhsa_next_free_sgpr 18
		.amdhsa_reserve_vcc 1
		.amdhsa_float_round_mode_32 0
		.amdhsa_float_round_mode_16_64 0
		.amdhsa_float_denorm_mode_32 3
		.amdhsa_float_denorm_mode_16_64 3
		.amdhsa_dx10_clamp 1
		.amdhsa_ieee_mode 1
		.amdhsa_fp16_overflow 0
		.amdhsa_workgroup_processor_mode 1
		.amdhsa_memory_ordered 1
		.amdhsa_forward_progress 0
		.amdhsa_shared_vgpr_count 0
		.amdhsa_exception_fp_ieee_invalid_op 0
		.amdhsa_exception_fp_denorm_src 0
		.amdhsa_exception_fp_ieee_div_zero 0
		.amdhsa_exception_fp_ieee_overflow 0
		.amdhsa_exception_fp_ieee_underflow 0
		.amdhsa_exception_fp_ieee_inexact 0
		.amdhsa_exception_int_div_zero 0
	.end_amdhsa_kernel
	.section	.text._ZN4vllm3moe10topkGatingILi4ELi16ELi4ELi16ELi32ElfLNS0_11ScoringFuncE1EEEvPKT5_PKbPfiPT4_PiiiibPKf,"axG",@progbits,_ZN4vllm3moe10topkGatingILi4ELi16ELi4ELi16ELi32ElfLNS0_11ScoringFuncE1EEEvPKT5_PKbPfiPT4_PiiiibPKf,comdat
.Lfunc_end238:
	.size	_ZN4vllm3moe10topkGatingILi4ELi16ELi4ELi16ELi32ElfLNS0_11ScoringFuncE1EEEvPKT5_PKbPfiPT4_PiiiibPKf, .Lfunc_end238-_ZN4vllm3moe10topkGatingILi4ELi16ELi4ELi16ELi32ElfLNS0_11ScoringFuncE1EEEvPKT5_PKbPfiPT4_PiiiibPKf
                                        ; -- End function
	.section	.AMDGPU.csdata,"",@progbits
; Kernel info:
; codeLenInByte = 2036
; NumSgprs: 20
; NumVgprs: 27
; ScratchSize: 0
; MemoryBound: 0
; FloatMode: 240
; IeeeMode: 1
; LDSByteSize: 0 bytes/workgroup (compile time only)
; SGPRBlocks: 2
; VGPRBlocks: 3
; NumSGPRsForWavesPerEU: 20
; NumVGPRsForWavesPerEU: 27
; Occupancy: 16
; WaveLimiterHint : 0
; COMPUTE_PGM_RSRC2:SCRATCH_EN: 0
; COMPUTE_PGM_RSRC2:USER_SGPR: 15
; COMPUTE_PGM_RSRC2:TRAP_HANDLER: 0
; COMPUTE_PGM_RSRC2:TGID_X_EN: 1
; COMPUTE_PGM_RSRC2:TGID_Y_EN: 0
; COMPUTE_PGM_RSRC2:TGID_Z_EN: 0
; COMPUTE_PGM_RSRC2:TIDIG_COMP_CNT: 1
	.section	.text._ZN4vllm3moe10topkGatingILi4ELi32ELi4ELi16ELi64ElfLNS0_11ScoringFuncE1EEEvPKT5_PKbPfiPT4_PiiiibPKf,"axG",@progbits,_ZN4vllm3moe10topkGatingILi4ELi32ELi4ELi16ELi64ElfLNS0_11ScoringFuncE1EEEvPKT5_PKbPfiPT4_PiiiibPKf,comdat
	.protected	_ZN4vllm3moe10topkGatingILi4ELi32ELi4ELi16ELi64ElfLNS0_11ScoringFuncE1EEEvPKT5_PKbPfiPT4_PiiiibPKf ; -- Begin function _ZN4vllm3moe10topkGatingILi4ELi32ELi4ELi16ELi64ElfLNS0_11ScoringFuncE1EEEvPKT5_PKbPfiPT4_PiiiibPKf
	.globl	_ZN4vllm3moe10topkGatingILi4ELi32ELi4ELi16ELi64ElfLNS0_11ScoringFuncE1EEEvPKT5_PKbPfiPT4_PiiiibPKf
	.p2align	8
	.type	_ZN4vllm3moe10topkGatingILi4ELi32ELi4ELi16ELi64ElfLNS0_11ScoringFuncE1EEEvPKT5_PKbPfiPT4_PiiiibPKf,@function
_ZN4vllm3moe10topkGatingILi4ELi32ELi4ELi16ELi64ElfLNS0_11ScoringFuncE1EEEvPKT5_PKbPfiPT4_PiiiibPKf: ; @_ZN4vllm3moe10topkGatingILi4ELi32ELi4ELi16ELi64ElfLNS0_11ScoringFuncE1EEEvPKT5_PKbPfiPT4_PiiiibPKf
; %bb.0:
	s_load_b32 s14, s[0:1], 0x18
	v_bfe_u32 v1, v0, 10, 10
	v_and_b32_e32 v0, 0x3ff, v0
	s_lshl_b32 s2, s15, 5
	s_delay_alu instid0(VALU_DEP_2) | instskip(NEXT) | instid1(VALU_DEP_2)
	v_lshlrev_b32_e32 v1, 3, v1
	v_lshrrev_b32_e32 v2, 3, v0
	s_delay_alu instid0(VALU_DEP_1) | instskip(SKIP_2) | instid1(VALU_DEP_1)
	v_add3_u32 v8, s2, v1, v2
	s_mov_b32 s2, exec_lo
	s_waitcnt lgkmcnt(0)
	v_cmpx_gt_i32_e64 s14, v8
	s_cbranch_execz .LBB239_33
; %bb.1:
	s_clause 0x1
	s_load_b128 s[4:7], s[0:1], 0x0
	s_load_b64 s[12:13], s[0:1], 0x10
	s_mov_b32 s8, -1
	s_mov_b32 s15, -1
	s_waitcnt lgkmcnt(0)
	s_cmp_eq_u64 s[6:7], 0
	s_cbranch_scc1 .LBB239_3
; %bb.2:
	v_ashrrev_i32_e32 v2, 31, v8
	v_add_co_u32 v1, vcc_lo, s6, v8
	s_delay_alu instid0(VALU_DEP_2) | instskip(SKIP_3) | instid1(VALU_DEP_1)
	v_add_co_ci_u32_e32 v2, vcc_lo, s7, v2, vcc_lo
	global_load_u8 v1, v[1:2], off
	s_waitcnt vmcnt(0)
	v_and_b32_e32 v1, 1, v1
	v_cmp_eq_u32_e32 vcc_lo, 1, v1
	s_xor_b32 s2, vcc_lo, -1
	s_delay_alu instid0(SALU_CYCLE_1)
	s_or_not1_b32 s15, s2, exec_lo
.LBB239_3:
	v_lshlrev_b32_e32 v1, 5, v8
	v_and_b32_e32 v9, 7, v0
	s_load_b64 s[6:7], s[0:1], 0x40
	s_delay_alu instid0(VALU_DEP_2) | instskip(NEXT) | instid1(VALU_DEP_1)
	v_ashrrev_i32_e32 v2, 31, v1
	v_lshlrev_b64 v[0:1], 2, v[1:2]
	s_delay_alu instid0(VALU_DEP_3) | instskip(NEXT) | instid1(VALU_DEP_2)
	v_lshlrev_b32_e32 v2, 4, v9
	v_add_co_u32 v0, vcc_lo, s4, v0
	s_delay_alu instid0(VALU_DEP_3) | instskip(NEXT) | instid1(VALU_DEP_2)
	v_add_co_ci_u32_e32 v1, vcc_lo, s5, v1, vcc_lo
	v_add_co_u32 v0, vcc_lo, v0, v2
	s_delay_alu instid0(VALU_DEP_2)
	v_add_co_ci_u32_e32 v1, vcc_lo, 0, v1, vcc_lo
	s_waitcnt lgkmcnt(0)
	s_cmp_eq_u64 s[6:7], 0
	global_load_b128 v[0:3], v[0:1], off
	s_waitcnt vmcnt(0)
	v_dual_mul_f32 v3, 0xbfb8aa3b, v3 :: v_dual_mul_f32 v0, 0xbfb8aa3b, v0
	v_dual_mul_f32 v1, 0xbfb8aa3b, v1 :: v_dual_mul_f32 v2, 0xbfb8aa3b, v2
	s_delay_alu instid0(VALU_DEP_2) | instskip(NEXT) | instid1(VALU_DEP_2)
	v_exp_f32_e32 v3, v3
	v_exp_f32_e32 v0, v0
	s_delay_alu instid0(VALU_DEP_1) | instskip(NEXT) | instid1(VALU_DEP_1)
	v_exp_f32_e32 v1, v1
	v_exp_f32_e32 v2, v2
	s_waitcnt_depctr 0xfff
	v_dual_add_f32 v0, 1.0, v0 :: v_dual_add_f32 v1, 1.0, v1
	v_add_f32_e32 v2, 1.0, v2
	s_delay_alu instid0(VALU_DEP_2) | instskip(NEXT) | instid1(VALU_DEP_3)
	v_div_scale_f32 v4, null, v0, v0, 1.0
	v_div_scale_f32 v5, null, v1, v1, 1.0
	s_delay_alu instid0(VALU_DEP_3) | instskip(NEXT) | instid1(VALU_DEP_3)
	v_div_scale_f32 v6, null, v2, v2, 1.0
	v_rcp_f32_e32 v11, v4
	s_delay_alu instid0(VALU_DEP_2) | instskip(SKIP_1) | instid1(VALU_DEP_2)
	v_rcp_f32_e32 v12, v5
	v_div_scale_f32 v15, vcc_lo, 1.0, v0, 1.0
	v_rcp_f32_e32 v13, v6
	v_div_scale_f32 v16, s2, 1.0, v1, 1.0
	v_div_scale_f32 v17, s3, 1.0, v2, 1.0
	s_delay_alu instid0(TRANS32_DEP_3) | instskip(SKIP_4) | instid1(VALU_DEP_3)
	v_fma_f32 v10, -v4, v11, 1.0
	s_waitcnt_depctr 0xfff
	v_fma_f32 v18, -v5, v12, 1.0
	v_add_f32_e32 v3, 1.0, v3
	v_fma_f32 v19, -v6, v13, 1.0
	v_fmac_f32_e32 v12, v18, v12
	s_delay_alu instid0(VALU_DEP_3) | instskip(SKIP_1) | instid1(VALU_DEP_2)
	v_div_scale_f32 v7, null, v3, v3, 1.0
	v_div_scale_f32 v21, s4, 1.0, v3, 1.0
	v_rcp_f32_e32 v14, v7
	s_waitcnt_depctr 0xfff
	v_fma_f32 v20, -v7, v14, 1.0
	s_delay_alu instid0(VALU_DEP_1) | instskip(NEXT) | instid1(VALU_DEP_1)
	v_dual_fmac_f32 v11, v10, v11 :: v_dual_fmac_f32 v14, v20, v14
	v_mul_f32_e32 v18, v15, v11
	v_fmac_f32_e32 v13, v19, v13
	s_delay_alu instid0(VALU_DEP_3) | instskip(NEXT) | instid1(VALU_DEP_3)
	v_dual_mul_f32 v19, v16, v12 :: v_dual_mul_f32 v22, v21, v14
	v_fma_f32 v10, -v4, v18, v15
	s_delay_alu instid0(VALU_DEP_2) | instskip(NEXT) | instid1(VALU_DEP_4)
	v_fma_f32 v23, -v5, v19, v16
	v_mul_f32_e32 v20, v17, v13
	s_delay_alu instid0(VALU_DEP_4) | instskip(NEXT) | instid1(VALU_DEP_4)
	v_fma_f32 v25, -v7, v22, v21
	v_fmac_f32_e32 v18, v10, v11
	s_delay_alu instid0(VALU_DEP_4) | instskip(NEXT) | instid1(VALU_DEP_4)
	v_dual_fmac_f32 v19, v23, v12 :: v_dual_lshlrev_b32 v10, 2, v9
	v_fma_f32 v24, -v6, v20, v17
	s_delay_alu instid0(VALU_DEP_4) | instskip(NEXT) | instid1(VALU_DEP_4)
	v_fmac_f32_e32 v22, v25, v14
	v_fma_f32 v4, -v4, v18, v15
	s_delay_alu instid0(VALU_DEP_4) | instskip(NEXT) | instid1(VALU_DEP_4)
	v_fma_f32 v5, -v5, v19, v16
	v_fmac_f32_e32 v20, v24, v13
	s_delay_alu instid0(VALU_DEP_4) | instskip(NEXT) | instid1(VALU_DEP_4)
	v_fma_f32 v7, -v7, v22, v21
	v_div_fmas_f32 v4, v4, v11, v18
	s_mov_b32 vcc_lo, s2
	s_delay_alu instid0(VALU_DEP_3) | instskip(SKIP_1) | instid1(VALU_DEP_3)
	v_fma_f32 v6, -v6, v20, v17
	v_div_fmas_f32 v5, v5, v12, v19
	v_div_fixup_f32 v0, v4, v0, 1.0
	s_mov_b32 vcc_lo, s3
	s_delay_alu instid0(VALU_DEP_3)
	v_div_fmas_f32 v6, v6, v13, v20
	s_mov_b32 vcc_lo, s4
	v_div_fixup_f32 v1, v5, v1, 1.0
	v_div_fmas_f32 v4, v7, v14, v22
	v_cmp_class_f32_e64 vcc_lo, v0, 0x1f8
	v_div_fixup_f32 v2, v6, v2, 1.0
	s_delay_alu instid0(VALU_DEP_3)
	v_div_fixup_f32 v3, v4, v3, 1.0
	v_cndmask_b32_e32 v0, 0, v0, vcc_lo
	v_cmp_class_f32_e64 vcc_lo, v1, 0x1f8
	v_cndmask_b32_e32 v1, 0, v1, vcc_lo
	v_cmp_class_f32_e64 vcc_lo, v2, 0x1f8
	;; [unrolled: 2-line block ×3, first 2 shown]
	v_cndmask_b32_e32 v3, 0, v3, vcc_lo
	s_cbranch_scc1 .LBB239_27
; %bb.4:
	v_lshlrev_b32_e32 v4, 2, v10
	global_load_b128 v[4:7], v4, s[6:7]
	s_waitcnt vmcnt(0)
	v_dual_add_f32 v5, v5, v1 :: v_dual_add_f32 v4, v4, v0
	v_dual_add_f32 v7, v7, v3 :: v_dual_add_f32 v6, v6, v2
	s_cbranch_execnz .LBB239_6
.LBB239_5:
	v_dual_mov_b32 v7, v3 :: v_dual_mov_b32 v6, v2
	v_dual_mov_b32 v5, v1 :: v_dual_mov_b32 v4, v0
.LBB239_6:
	s_load_b128 s[4:7], s[0:1], 0x30
	v_cmp_eq_u32_e64 s2, 0, v9
	s_waitcnt lgkmcnt(0)
	s_bitcmp1_b32 s7, 0
	s_mov_b32 s7, 0
	s_cselect_b32 vcc_lo, -1, 0
	s_cmp_gt_i32 s4, 0
	s_cselect_b32 s3, -1, 0
	s_cmp_lt_i32 s4, 1
	s_cbranch_scc1 .LBB239_28
; %bb.7:
	v_mbcnt_lo_u32_b32 v11, -1, 0
	s_load_b128 s[8:11], s[0:1], 0x20
	v_mov_b32_e32 v16, v8
	s_delay_alu instid0(VALU_DEP_2) | instskip(SKIP_3) | instid1(VALU_DEP_4)
	v_and_b32_e32 v12, 24, v11
	v_xor_b32_e32 v13, 4, v11
	v_xor_b32_e32 v14, 2, v11
	;; [unrolled: 1-line block ×3, first 2 shown]
	v_add_nc_u32_e32 v12, 8, v12
	s_delay_alu instid0(VALU_DEP_1) | instskip(NEXT) | instid1(VALU_DEP_1)
	v_cmp_lt_i32_e64 s0, v13, v12
	v_cndmask_b32_e64 v13, v11, v13, s0
	v_cmp_lt_i32_e64 s0, v14, v12
	s_delay_alu instid0(VALU_DEP_2) | instskip(NEXT) | instid1(VALU_DEP_2)
	v_lshlrev_b32_e32 v13, 2, v13
	v_cndmask_b32_e64 v14, v11, v14, s0
	v_cmp_lt_i32_e64 s0, v15, v12
	v_mul_lo_u32 v12, v8, s4
	s_delay_alu instid0(VALU_DEP_3) | instskip(NEXT) | instid1(VALU_DEP_3)
	v_lshlrev_b32_e32 v14, 2, v14
	v_cndmask_b32_e64 v15, v11, v15, s0
	v_mov_b32_e32 v11, 0
	s_delay_alu instid0(VALU_DEP_2)
	v_lshlrev_b32_e32 v15, 2, v15
	s_branch .LBB239_10
.LBB239_8:                              ;   in Loop: Header=BB239_10 Depth=1
	s_or_b32 exec_lo, exec_lo, s1
.LBB239_9:                              ;   in Loop: Header=BB239_10 Depth=1
	v_add_nc_u32_e32 v16, s14, v16
	s_cmp_eq_u32 s4, s7
	s_cbranch_scc1 .LBB239_29
.LBB239_10:                             ; =>This Inner Loop Header: Depth=1
	v_cmp_gt_f32_e64 s0, v5, v4
	s_mov_b32 s17, exec_lo
	s_delay_alu instid0(VALU_DEP_1) | instskip(SKIP_2) | instid1(VALU_DEP_3)
	v_cndmask_b32_e64 v18, v4, v5, s0
	v_cndmask_b32_e64 v17, 0, 1, s0
	;; [unrolled: 1-line block ×3, first 2 shown]
	v_cmp_gt_f32_e64 s1, v6, v18
	s_delay_alu instid0(VALU_DEP_1) | instskip(NEXT) | instid1(VALU_DEP_4)
	v_cndmask_b32_e64 v18, v18, v6, s1
	v_cndmask_b32_e64 v17, v17, 2, s1
	s_waitcnt lgkmcnt(0)
	v_cndmask_b32_e64 v20, v19, v2, s1
	s_delay_alu instid0(VALU_DEP_3) | instskip(NEXT) | instid1(VALU_DEP_1)
	v_cmp_gt_f32_e64 s0, v7, v18
	v_cndmask_b32_e64 v17, v17, 3, s0
	v_cndmask_b32_e64 v19, v18, v7, s0
	s_delay_alu instid0(VALU_DEP_4) | instskip(NEXT) | instid1(VALU_DEP_3)
	v_cndmask_b32_e64 v18, v20, v3, s0
	v_or_b32_e32 v17, v10, v17
	ds_bpermute_b32 v20, v13, v19
	ds_bpermute_b32 v22, v13, v18
	;; [unrolled: 1-line block ×3, first 2 shown]
	s_waitcnt lgkmcnt(0)
	v_cmp_lt_f32_e64 s16, v19, v20
	v_cmpx_nlt_f32_e32 v19, v20
; %bb.11:                               ;   in Loop: Header=BB239_10 Depth=1
	v_cmp_eq_f32_e64 s0, v19, v20
	v_cmp_lt_i32_e64 s1, v21, v17
	s_delay_alu instid0(VALU_DEP_1) | instskip(SKIP_2) | instid1(SALU_CYCLE_1)
	s_and_b32 s0, s0, s1
	s_and_not1_b32 s1, s16, exec_lo
	s_and_b32 s0, s0, exec_lo
	s_or_b32 s16, s1, s0
; %bb.12:                               ;   in Loop: Header=BB239_10 Depth=1
	s_or_b32 exec_lo, exec_lo, s17
	s_and_saveexec_b32 s0, s16
; %bb.13:                               ;   in Loop: Header=BB239_10 Depth=1
	v_dual_mov_b32 v18, v22 :: v_dual_mov_b32 v19, v20
	v_mov_b32_e32 v17, v21
; %bb.14:                               ;   in Loop: Header=BB239_10 Depth=1
	s_or_b32 exec_lo, exec_lo, s0
	ds_bpermute_b32 v20, v14, v19
	ds_bpermute_b32 v22, v14, v18
	;; [unrolled: 1-line block ×3, first 2 shown]
	s_mov_b32 s17, exec_lo
	s_waitcnt lgkmcnt(2)
	v_cmp_lt_f32_e64 s16, v19, v20
	v_cmpx_nlt_f32_e32 v19, v20
	s_cbranch_execz .LBB239_16
; %bb.15:                               ;   in Loop: Header=BB239_10 Depth=1
	v_cmp_eq_f32_e64 s0, v19, v20
	s_waitcnt lgkmcnt(0)
	v_cmp_lt_i32_e64 s1, v21, v17
	s_delay_alu instid0(VALU_DEP_1) | instskip(SKIP_2) | instid1(SALU_CYCLE_1)
	s_and_b32 s0, s0, s1
	s_and_not1_b32 s1, s16, exec_lo
	s_and_b32 s0, s0, exec_lo
	s_or_b32 s16, s1, s0
.LBB239_16:                             ;   in Loop: Header=BB239_10 Depth=1
	s_or_b32 exec_lo, exec_lo, s17
	s_delay_alu instid0(VALU_DEP_2)
	s_and_saveexec_b32 s0, s16
	s_cbranch_execz .LBB239_18
; %bb.17:                               ;   in Loop: Header=BB239_10 Depth=1
	s_waitcnt lgkmcnt(1)
	v_dual_mov_b32 v18, v22 :: v_dual_mov_b32 v19, v20
	s_waitcnt lgkmcnt(0)
	v_mov_b32_e32 v17, v21
.LBB239_18:                             ;   in Loop: Header=BB239_10 Depth=1
	s_or_b32 exec_lo, exec_lo, s0
	s_waitcnt lgkmcnt(1)
	ds_bpermute_b32 v22, v15, v19
	ds_bpermute_b32 v20, v15, v18
	s_waitcnt lgkmcnt(2)
	ds_bpermute_b32 v21, v15, v17
	s_mov_b32 s17, exec_lo
	s_waitcnt lgkmcnt(2)
	v_cmp_lt_f32_e64 s16, v19, v22
	v_cmpx_nlt_f32_e32 v19, v22
	s_cbranch_execnz .LBB239_22
; %bb.19:                               ;   in Loop: Header=BB239_10 Depth=1
	s_or_b32 exec_lo, exec_lo, s17
	s_delay_alu instid0(VALU_DEP_2)
	s_and_saveexec_b32 s0, s16
	s_cbranch_execnz .LBB239_23
.LBB239_20:                             ;   in Loop: Header=BB239_10 Depth=1
	s_or_b32 exec_lo, exec_lo, s0
	s_and_saveexec_b32 s16, s2
	s_cbranch_execnz .LBB239_24
.LBB239_21:                             ;   in Loop: Header=BB239_10 Depth=1
	s_or_b32 exec_lo, exec_lo, s16
	s_add_i32 s7, s7, 1
	s_delay_alu instid0(SALU_CYCLE_1)
	s_cmp_ge_i32 s7, s4
	s_cbranch_scc1 .LBB239_9
	s_branch .LBB239_25
.LBB239_22:                             ;   in Loop: Header=BB239_10 Depth=1
	v_cmp_eq_f32_e64 s0, v19, v22
	s_waitcnt lgkmcnt(0)
	v_cmp_lt_i32_e64 s1, v21, v17
	s_delay_alu instid0(VALU_DEP_1) | instskip(SKIP_2) | instid1(SALU_CYCLE_1)
	s_and_b32 s0, s0, s1
	s_and_not1_b32 s1, s16, exec_lo
	s_and_b32 s0, s0, exec_lo
	s_or_b32 s16, s1, s0
	s_or_b32 exec_lo, exec_lo, s17
	s_and_saveexec_b32 s0, s16
	s_cbranch_execz .LBB239_20
.LBB239_23:                             ;   in Loop: Header=BB239_10 Depth=1
	s_waitcnt lgkmcnt(0)
	v_dual_mov_b32 v17, v21 :: v_dual_mov_b32 v18, v20
	s_or_b32 exec_lo, exec_lo, s0
	s_and_saveexec_b32 s16, s2
	s_cbranch_execz .LBB239_21
.LBB239_24:                             ;   in Loop: Header=BB239_10 Depth=1
	v_add_nc_u32_e32 v19, s7, v12
	v_subrev_nc_u32_e32 v23, s5, v17
	v_cmp_le_i32_e64 s0, s5, v17
	v_cmp_gt_i32_e64 s1, s6, v17
	v_add_f32_e32 v27, v11, v18
	s_waitcnt lgkmcnt(1)
	v_ashrrev_i32_e32 v20, 31, v19
	v_ashrrev_i32_e32 v24, 31, v23
	s_and_b32 s0, s0, s1
	v_cndmask_b32_e32 v11, v11, v27, vcc_lo
	s_waitcnt lgkmcnt(0)
	v_lshlrev_b64 v[21:22], 2, v[19:20]
	v_lshlrev_b64 v[19:20], 3, v[19:20]
	s_and_b32 s0, s15, s0
	s_delay_alu instid0(SALU_CYCLE_1) | instskip(SKIP_1) | instid1(VALU_DEP_4)
	v_cndmask_b32_e64 v24, 0, v24, s0
	v_cndmask_b32_e64 v23, 32, v23, s0
	v_add_co_u32 v25, s0, s12, v21
	s_delay_alu instid0(VALU_DEP_1) | instskip(SKIP_1) | instid1(VALU_DEP_1)
	v_add_co_ci_u32_e64 v26, s0, s13, v22, s0
	v_add_co_u32 v19, s0, s8, v19
	v_add_co_ci_u32_e64 v20, s0, s9, v20, s0
	v_add_co_u32 v21, s0, s10, v21
	s_delay_alu instid0(VALU_DEP_1)
	v_add_co_ci_u32_e64 v22, s0, s11, v22, s0
	global_store_b32 v[25:26], v18, off
	global_store_b64 v[19:20], v[23:24], off
	global_store_b32 v[21:22], v16, off
	s_or_b32 exec_lo, exec_lo, s16
	s_add_i32 s7, s7, 1
	s_delay_alu instid0(SALU_CYCLE_1)
	s_cmp_ge_i32 s7, s4
	s_cbranch_scc1 .LBB239_9
.LBB239_25:                             ;   in Loop: Header=BB239_10 Depth=1
	v_ashrrev_i32_e32 v19, 31, v17
	s_mov_b32 s1, exec_lo
	s_delay_alu instid0(VALU_DEP_1) | instskip(NEXT) | instid1(VALU_DEP_1)
	v_lshrrev_b32_e32 v18, 30, v19
	v_add_nc_u32_e32 v18, v17, v18
	s_delay_alu instid0(VALU_DEP_1) | instskip(SKIP_1) | instid1(VALU_DEP_1)
	v_ashrrev_i32_e32 v18, 2, v18
	s_waitcnt lgkmcnt(1)
	v_lshrrev_b32_e32 v20, 29, v18
	s_delay_alu instid0(VALU_DEP_1) | instskip(NEXT) | instid1(VALU_DEP_1)
	v_add_nc_u32_e32 v20, v18, v20
	v_and_b32_e32 v20, -8, v20
	s_delay_alu instid0(VALU_DEP_1) | instskip(NEXT) | instid1(VALU_DEP_1)
	v_sub_nc_u32_e32 v20, v18, v20
	v_cmpx_eq_u32_e64 v9, v20
	s_cbranch_execz .LBB239_8
; %bb.26:                               ;   in Loop: Header=BB239_10 Depth=1
	v_lshrrev_b32_e32 v19, 27, v19
	v_lshlrev_b32_e32 v18, 2, v18
	s_delay_alu instid0(VALU_DEP_2) | instskip(NEXT) | instid1(VALU_DEP_2)
	v_add_nc_u32_e32 v19, v17, v19
	v_sub_nc_u32_e32 v17, v17, v18
	s_delay_alu instid0(VALU_DEP_2) | instskip(NEXT) | instid1(VALU_DEP_1)
	v_ashrrev_i32_e32 v18, 5, v19
	v_lshl_add_u32 v17, v18, 2, v17
	s_delay_alu instid0(VALU_DEP_1) | instskip(NEXT) | instid1(VALU_DEP_1)
	v_cmp_ne_u32_e64 s0, 3, v17
	v_cndmask_b32_e64 v7, 0xc61c4000, v7, s0
	v_cmp_ne_u32_e64 s0, 2, v17
	s_delay_alu instid0(VALU_DEP_1) | instskip(SKIP_1) | instid1(VALU_DEP_1)
	v_cndmask_b32_e64 v6, 0xc61c4000, v6, s0
	v_cmp_ne_u32_e64 s0, 1, v17
	v_cndmask_b32_e64 v5, 0xc61c4000, v5, s0
	v_cmp_ne_u32_e64 s0, 0, v17
	s_delay_alu instid0(VALU_DEP_1)
	v_cndmask_b32_e64 v4, 0xc61c4000, v4, s0
	s_branch .LBB239_8
.LBB239_27:
                                        ; implicit-def: $vgpr4_vgpr5_vgpr6_vgpr7
	s_and_not1_b32 vcc_lo, exec_lo, s8
	s_cbranch_vccz .LBB239_5
	s_branch .LBB239_6
.LBB239_28:
	v_mov_b32_e32 v11, 0
.LBB239_29:
	v_cmp_eq_u32_e64 s0, 0, v9
	s_delay_alu instid0(VALU_DEP_1) | instskip(NEXT) | instid1(SALU_CYCLE_1)
	s_and_b32 s0, s0, vcc_lo
	s_and_b32 exec_lo, exec_lo, s0
	s_cbranch_execz .LBB239_33
; %bb.30:
	s_and_not1_b32 vcc_lo, exec_lo, s3
	s_cbranch_vccnz .LBB239_33
; %bb.31:
	v_mul_lo_u32 v0, v8, s4
	v_cmp_lt_f32_e32 vcc_lo, 0, v11
	v_cndmask_b32_e32 v2, 1.0, v11, vcc_lo
	s_delay_alu instid0(VALU_DEP_3) | instskip(NEXT) | instid1(VALU_DEP_1)
	v_ashrrev_i32_e32 v1, 31, v0
	v_lshlrev_b64 v[0:1], 2, v[0:1]
	s_delay_alu instid0(VALU_DEP_1) | instskip(NEXT) | instid1(VALU_DEP_2)
	v_add_co_u32 v0, vcc_lo, s12, v0
	v_add_co_ci_u32_e32 v1, vcc_lo, s13, v1, vcc_lo
	.p2align	6
.LBB239_32:                             ; =>This Inner Loop Header: Depth=1
	global_load_b32 v3, v[0:1], off
	s_add_i32 s4, s4, -1
	s_delay_alu instid0(SALU_CYCLE_1) | instskip(SKIP_3) | instid1(VALU_DEP_2)
	s_cmp_lg_u32 s4, 0
	s_waitcnt vmcnt(0)
	v_div_scale_f32 v4, null, v2, v2, v3
	v_div_scale_f32 v7, vcc_lo, v3, v2, v3
	v_rcp_f32_e32 v5, v4
	s_waitcnt_depctr 0xfff
	v_fma_f32 v6, -v4, v5, 1.0
	s_delay_alu instid0(VALU_DEP_1) | instskip(NEXT) | instid1(VALU_DEP_1)
	v_fmac_f32_e32 v5, v6, v5
	v_mul_f32_e32 v6, v7, v5
	s_delay_alu instid0(VALU_DEP_1) | instskip(NEXT) | instid1(VALU_DEP_1)
	v_fma_f32 v8, -v4, v6, v7
	v_fmac_f32_e32 v6, v8, v5
	s_delay_alu instid0(VALU_DEP_1) | instskip(NEXT) | instid1(VALU_DEP_1)
	v_fma_f32 v4, -v4, v6, v7
	v_div_fmas_f32 v4, v4, v5, v6
	s_delay_alu instid0(VALU_DEP_1)
	v_div_fixup_f32 v3, v4, v2, v3
	global_store_b32 v[0:1], v3, off
	v_add_co_u32 v0, vcc_lo, v0, 4
	v_add_co_ci_u32_e32 v1, vcc_lo, 0, v1, vcc_lo
	s_cbranch_scc1 .LBB239_32
.LBB239_33:
	s_nop 0
	s_sendmsg sendmsg(MSG_DEALLOC_VGPRS)
	s_endpgm
	.section	.rodata,"a",@progbits
	.p2align	6, 0x0
	.amdhsa_kernel _ZN4vllm3moe10topkGatingILi4ELi32ELi4ELi16ELi64ElfLNS0_11ScoringFuncE1EEEvPKT5_PKbPfiPT4_PiiiibPKf
		.amdhsa_group_segment_fixed_size 0
		.amdhsa_private_segment_fixed_size 0
		.amdhsa_kernarg_size 72
		.amdhsa_user_sgpr_count 15
		.amdhsa_user_sgpr_dispatch_ptr 0
		.amdhsa_user_sgpr_queue_ptr 0
		.amdhsa_user_sgpr_kernarg_segment_ptr 1
		.amdhsa_user_sgpr_dispatch_id 0
		.amdhsa_user_sgpr_private_segment_size 0
		.amdhsa_wavefront_size32 1
		.amdhsa_uses_dynamic_stack 0
		.amdhsa_enable_private_segment 0
		.amdhsa_system_sgpr_workgroup_id_x 1
		.amdhsa_system_sgpr_workgroup_id_y 0
		.amdhsa_system_sgpr_workgroup_id_z 0
		.amdhsa_system_sgpr_workgroup_info 0
		.amdhsa_system_vgpr_workitem_id 1
		.amdhsa_next_free_vgpr 28
		.amdhsa_next_free_sgpr 18
		.amdhsa_reserve_vcc 1
		.amdhsa_float_round_mode_32 0
		.amdhsa_float_round_mode_16_64 0
		.amdhsa_float_denorm_mode_32 3
		.amdhsa_float_denorm_mode_16_64 3
		.amdhsa_dx10_clamp 1
		.amdhsa_ieee_mode 1
		.amdhsa_fp16_overflow 0
		.amdhsa_workgroup_processor_mode 1
		.amdhsa_memory_ordered 1
		.amdhsa_forward_progress 0
		.amdhsa_shared_vgpr_count 0
		.amdhsa_exception_fp_ieee_invalid_op 0
		.amdhsa_exception_fp_denorm_src 0
		.amdhsa_exception_fp_ieee_div_zero 0
		.amdhsa_exception_fp_ieee_overflow 0
		.amdhsa_exception_fp_ieee_underflow 0
		.amdhsa_exception_fp_ieee_inexact 0
		.amdhsa_exception_int_div_zero 0
	.end_amdhsa_kernel
	.section	.text._ZN4vllm3moe10topkGatingILi4ELi32ELi4ELi16ELi64ElfLNS0_11ScoringFuncE1EEEvPKT5_PKbPfiPT4_PiiiibPKf,"axG",@progbits,_ZN4vllm3moe10topkGatingILi4ELi32ELi4ELi16ELi64ElfLNS0_11ScoringFuncE1EEEvPKT5_PKbPfiPT4_PiiiibPKf,comdat
.Lfunc_end239:
	.size	_ZN4vllm3moe10topkGatingILi4ELi32ELi4ELi16ELi64ElfLNS0_11ScoringFuncE1EEEvPKT5_PKbPfiPT4_PiiiibPKf, .Lfunc_end239-_ZN4vllm3moe10topkGatingILi4ELi32ELi4ELi16ELi64ElfLNS0_11ScoringFuncE1EEEvPKT5_PKbPfiPT4_PiiiibPKf
                                        ; -- End function
	.section	.AMDGPU.csdata,"",@progbits
; Kernel info:
; codeLenInByte = 2196
; NumSgprs: 20
; NumVgprs: 28
; ScratchSize: 0
; MemoryBound: 0
; FloatMode: 240
; IeeeMode: 1
; LDSByteSize: 0 bytes/workgroup (compile time only)
; SGPRBlocks: 2
; VGPRBlocks: 3
; NumSGPRsForWavesPerEU: 20
; NumVGPRsForWavesPerEU: 28
; Occupancy: 16
; WaveLimiterHint : 0
; COMPUTE_PGM_RSRC2:SCRATCH_EN: 0
; COMPUTE_PGM_RSRC2:USER_SGPR: 15
; COMPUTE_PGM_RSRC2:TRAP_HANDLER: 0
; COMPUTE_PGM_RSRC2:TGID_X_EN: 1
; COMPUTE_PGM_RSRC2:TGID_Y_EN: 0
; COMPUTE_PGM_RSRC2:TGID_Z_EN: 0
; COMPUTE_PGM_RSRC2:TIDIG_COMP_CNT: 1
	.section	.text._ZN4vllm3moe10topkGatingILi4ELi32ELi4ELi16ELi32ElfLNS0_11ScoringFuncE1EEEvPKT5_PKbPfiPT4_PiiiibPKf,"axG",@progbits,_ZN4vllm3moe10topkGatingILi4ELi32ELi4ELi16ELi32ElfLNS0_11ScoringFuncE1EEEvPKT5_PKbPfiPT4_PiiiibPKf,comdat
	.protected	_ZN4vllm3moe10topkGatingILi4ELi32ELi4ELi16ELi32ElfLNS0_11ScoringFuncE1EEEvPKT5_PKbPfiPT4_PiiiibPKf ; -- Begin function _ZN4vllm3moe10topkGatingILi4ELi32ELi4ELi16ELi32ElfLNS0_11ScoringFuncE1EEEvPKT5_PKbPfiPT4_PiiiibPKf
	.globl	_ZN4vllm3moe10topkGatingILi4ELi32ELi4ELi16ELi32ElfLNS0_11ScoringFuncE1EEEvPKT5_PKbPfiPT4_PiiiibPKf
	.p2align	8
	.type	_ZN4vllm3moe10topkGatingILi4ELi32ELi4ELi16ELi32ElfLNS0_11ScoringFuncE1EEEvPKT5_PKbPfiPT4_PiiiibPKf,@function
_ZN4vllm3moe10topkGatingILi4ELi32ELi4ELi16ELi32ElfLNS0_11ScoringFuncE1EEEvPKT5_PKbPfiPT4_PiiiibPKf: ; @_ZN4vllm3moe10topkGatingILi4ELi32ELi4ELi16ELi32ElfLNS0_11ScoringFuncE1EEEvPKT5_PKbPfiPT4_PiiiibPKf
; %bb.0:
	s_load_b32 s14, s[0:1], 0x18
	v_bfe_u32 v1, v0, 10, 10
	v_and_b32_e32 v0, 0x3ff, v0
	s_lshl_b32 s2, s15, 4
	s_delay_alu instid0(VALU_DEP_2) | instskip(NEXT) | instid1(VALU_DEP_2)
	v_lshlrev_b32_e32 v1, 2, v1
	v_lshrrev_b32_e32 v2, 3, v0
	s_delay_alu instid0(VALU_DEP_1) | instskip(SKIP_2) | instid1(VALU_DEP_1)
	v_add3_u32 v8, s2, v1, v2
	s_mov_b32 s2, exec_lo
	s_waitcnt lgkmcnt(0)
	v_cmpx_gt_i32_e64 s14, v8
	s_cbranch_execz .LBB240_33
; %bb.1:
	s_clause 0x1
	s_load_b128 s[4:7], s[0:1], 0x0
	s_load_b64 s[12:13], s[0:1], 0x10
	s_mov_b32 s8, -1
	s_mov_b32 s15, -1
	s_waitcnt lgkmcnt(0)
	s_cmp_eq_u64 s[6:7], 0
	s_cbranch_scc1 .LBB240_3
; %bb.2:
	v_ashrrev_i32_e32 v2, 31, v8
	v_add_co_u32 v1, vcc_lo, s6, v8
	s_delay_alu instid0(VALU_DEP_2) | instskip(SKIP_3) | instid1(VALU_DEP_1)
	v_add_co_ci_u32_e32 v2, vcc_lo, s7, v2, vcc_lo
	global_load_u8 v1, v[1:2], off
	s_waitcnt vmcnt(0)
	v_and_b32_e32 v1, 1, v1
	v_cmp_eq_u32_e32 vcc_lo, 1, v1
	s_xor_b32 s2, vcc_lo, -1
	s_delay_alu instid0(SALU_CYCLE_1)
	s_or_not1_b32 s15, s2, exec_lo
.LBB240_3:
	v_lshlrev_b32_e32 v1, 5, v8
	v_and_b32_e32 v9, 7, v0
	s_load_b64 s[6:7], s[0:1], 0x40
	s_delay_alu instid0(VALU_DEP_2) | instskip(NEXT) | instid1(VALU_DEP_1)
	v_ashrrev_i32_e32 v2, 31, v1
	v_lshlrev_b64 v[0:1], 2, v[1:2]
	s_delay_alu instid0(VALU_DEP_3) | instskip(NEXT) | instid1(VALU_DEP_2)
	v_lshlrev_b32_e32 v2, 4, v9
	v_add_co_u32 v0, vcc_lo, s4, v0
	s_delay_alu instid0(VALU_DEP_3) | instskip(NEXT) | instid1(VALU_DEP_2)
	v_add_co_ci_u32_e32 v1, vcc_lo, s5, v1, vcc_lo
	v_add_co_u32 v0, vcc_lo, v0, v2
	s_delay_alu instid0(VALU_DEP_2)
	v_add_co_ci_u32_e32 v1, vcc_lo, 0, v1, vcc_lo
	s_waitcnt lgkmcnt(0)
	s_cmp_eq_u64 s[6:7], 0
	global_load_b128 v[0:3], v[0:1], off
	s_waitcnt vmcnt(0)
	v_dual_mul_f32 v3, 0xbfb8aa3b, v3 :: v_dual_mul_f32 v0, 0xbfb8aa3b, v0
	v_dual_mul_f32 v1, 0xbfb8aa3b, v1 :: v_dual_mul_f32 v2, 0xbfb8aa3b, v2
	s_delay_alu instid0(VALU_DEP_2) | instskip(NEXT) | instid1(VALU_DEP_2)
	v_exp_f32_e32 v3, v3
	v_exp_f32_e32 v0, v0
	s_delay_alu instid0(VALU_DEP_1) | instskip(NEXT) | instid1(VALU_DEP_1)
	v_exp_f32_e32 v1, v1
	v_exp_f32_e32 v2, v2
	s_waitcnt_depctr 0xfff
	v_dual_add_f32 v0, 1.0, v0 :: v_dual_add_f32 v1, 1.0, v1
	v_add_f32_e32 v2, 1.0, v2
	s_delay_alu instid0(VALU_DEP_2) | instskip(NEXT) | instid1(VALU_DEP_3)
	v_div_scale_f32 v4, null, v0, v0, 1.0
	v_div_scale_f32 v5, null, v1, v1, 1.0
	s_delay_alu instid0(VALU_DEP_3) | instskip(NEXT) | instid1(VALU_DEP_3)
	v_div_scale_f32 v6, null, v2, v2, 1.0
	v_rcp_f32_e32 v11, v4
	s_delay_alu instid0(VALU_DEP_2) | instskip(SKIP_1) | instid1(VALU_DEP_2)
	v_rcp_f32_e32 v12, v5
	v_div_scale_f32 v15, vcc_lo, 1.0, v0, 1.0
	v_rcp_f32_e32 v13, v6
	v_div_scale_f32 v16, s2, 1.0, v1, 1.0
	v_div_scale_f32 v17, s3, 1.0, v2, 1.0
	s_delay_alu instid0(TRANS32_DEP_3) | instskip(SKIP_4) | instid1(VALU_DEP_3)
	v_fma_f32 v10, -v4, v11, 1.0
	s_waitcnt_depctr 0xfff
	v_fma_f32 v18, -v5, v12, 1.0
	v_add_f32_e32 v3, 1.0, v3
	v_fma_f32 v19, -v6, v13, 1.0
	v_fmac_f32_e32 v12, v18, v12
	s_delay_alu instid0(VALU_DEP_3) | instskip(SKIP_1) | instid1(VALU_DEP_2)
	v_div_scale_f32 v7, null, v3, v3, 1.0
	v_div_scale_f32 v21, s4, 1.0, v3, 1.0
	v_rcp_f32_e32 v14, v7
	s_waitcnt_depctr 0xfff
	v_fma_f32 v20, -v7, v14, 1.0
	s_delay_alu instid0(VALU_DEP_1) | instskip(NEXT) | instid1(VALU_DEP_1)
	v_dual_fmac_f32 v11, v10, v11 :: v_dual_fmac_f32 v14, v20, v14
	v_mul_f32_e32 v18, v15, v11
	v_fmac_f32_e32 v13, v19, v13
	s_delay_alu instid0(VALU_DEP_3) | instskip(NEXT) | instid1(VALU_DEP_3)
	v_dual_mul_f32 v19, v16, v12 :: v_dual_mul_f32 v22, v21, v14
	v_fma_f32 v10, -v4, v18, v15
	s_delay_alu instid0(VALU_DEP_2) | instskip(NEXT) | instid1(VALU_DEP_4)
	v_fma_f32 v23, -v5, v19, v16
	v_mul_f32_e32 v20, v17, v13
	s_delay_alu instid0(VALU_DEP_4) | instskip(NEXT) | instid1(VALU_DEP_4)
	v_fma_f32 v25, -v7, v22, v21
	v_fmac_f32_e32 v18, v10, v11
	s_delay_alu instid0(VALU_DEP_4) | instskip(NEXT) | instid1(VALU_DEP_4)
	v_dual_fmac_f32 v19, v23, v12 :: v_dual_lshlrev_b32 v10, 2, v9
	v_fma_f32 v24, -v6, v20, v17
	s_delay_alu instid0(VALU_DEP_4) | instskip(NEXT) | instid1(VALU_DEP_4)
	v_fmac_f32_e32 v22, v25, v14
	v_fma_f32 v4, -v4, v18, v15
	s_delay_alu instid0(VALU_DEP_4) | instskip(NEXT) | instid1(VALU_DEP_4)
	v_fma_f32 v5, -v5, v19, v16
	v_fmac_f32_e32 v20, v24, v13
	s_delay_alu instid0(VALU_DEP_4) | instskip(NEXT) | instid1(VALU_DEP_4)
	v_fma_f32 v7, -v7, v22, v21
	v_div_fmas_f32 v4, v4, v11, v18
	s_mov_b32 vcc_lo, s2
	s_delay_alu instid0(VALU_DEP_3) | instskip(SKIP_1) | instid1(VALU_DEP_3)
	v_fma_f32 v6, -v6, v20, v17
	v_div_fmas_f32 v5, v5, v12, v19
	v_div_fixup_f32 v0, v4, v0, 1.0
	s_mov_b32 vcc_lo, s3
	s_delay_alu instid0(VALU_DEP_3)
	v_div_fmas_f32 v6, v6, v13, v20
	s_mov_b32 vcc_lo, s4
	v_div_fixup_f32 v1, v5, v1, 1.0
	v_div_fmas_f32 v4, v7, v14, v22
	v_cmp_class_f32_e64 vcc_lo, v0, 0x1f8
	v_div_fixup_f32 v2, v6, v2, 1.0
	s_delay_alu instid0(VALU_DEP_3)
	v_div_fixup_f32 v3, v4, v3, 1.0
	v_cndmask_b32_e32 v0, 0, v0, vcc_lo
	v_cmp_class_f32_e64 vcc_lo, v1, 0x1f8
	v_cndmask_b32_e32 v1, 0, v1, vcc_lo
	v_cmp_class_f32_e64 vcc_lo, v2, 0x1f8
	;; [unrolled: 2-line block ×3, first 2 shown]
	v_cndmask_b32_e32 v3, 0, v3, vcc_lo
	s_cbranch_scc1 .LBB240_27
; %bb.4:
	v_lshlrev_b32_e32 v4, 2, v10
	global_load_b128 v[4:7], v4, s[6:7]
	s_waitcnt vmcnt(0)
	v_dual_add_f32 v5, v5, v1 :: v_dual_add_f32 v4, v4, v0
	v_dual_add_f32 v7, v7, v3 :: v_dual_add_f32 v6, v6, v2
	s_cbranch_execnz .LBB240_6
.LBB240_5:
	v_dual_mov_b32 v7, v3 :: v_dual_mov_b32 v6, v2
	v_dual_mov_b32 v5, v1 :: v_dual_mov_b32 v4, v0
.LBB240_6:
	s_load_b128 s[4:7], s[0:1], 0x30
	v_cmp_eq_u32_e64 s2, 0, v9
	s_waitcnt lgkmcnt(0)
	s_bitcmp1_b32 s7, 0
	s_mov_b32 s7, 0
	s_cselect_b32 vcc_lo, -1, 0
	s_cmp_gt_i32 s4, 0
	s_cselect_b32 s3, -1, 0
	s_cmp_lt_i32 s4, 1
	s_cbranch_scc1 .LBB240_28
; %bb.7:
	v_mbcnt_lo_u32_b32 v11, -1, 0
	s_load_b128 s[8:11], s[0:1], 0x20
	v_mov_b32_e32 v16, v8
	s_delay_alu instid0(VALU_DEP_2) | instskip(SKIP_3) | instid1(VALU_DEP_4)
	v_and_b32_e32 v12, 24, v11
	v_xor_b32_e32 v13, 4, v11
	v_xor_b32_e32 v14, 2, v11
	;; [unrolled: 1-line block ×3, first 2 shown]
	v_add_nc_u32_e32 v12, 8, v12
	s_delay_alu instid0(VALU_DEP_1) | instskip(NEXT) | instid1(VALU_DEP_1)
	v_cmp_lt_i32_e64 s0, v13, v12
	v_cndmask_b32_e64 v13, v11, v13, s0
	v_cmp_lt_i32_e64 s0, v14, v12
	s_delay_alu instid0(VALU_DEP_2) | instskip(NEXT) | instid1(VALU_DEP_2)
	v_lshlrev_b32_e32 v13, 2, v13
	v_cndmask_b32_e64 v14, v11, v14, s0
	v_cmp_lt_i32_e64 s0, v15, v12
	v_mul_lo_u32 v12, v8, s4
	s_delay_alu instid0(VALU_DEP_3) | instskip(NEXT) | instid1(VALU_DEP_3)
	v_lshlrev_b32_e32 v14, 2, v14
	v_cndmask_b32_e64 v15, v11, v15, s0
	v_mov_b32_e32 v11, 0
	s_delay_alu instid0(VALU_DEP_2)
	v_lshlrev_b32_e32 v15, 2, v15
	s_branch .LBB240_10
.LBB240_8:                              ;   in Loop: Header=BB240_10 Depth=1
	s_or_b32 exec_lo, exec_lo, s1
.LBB240_9:                              ;   in Loop: Header=BB240_10 Depth=1
	v_add_nc_u32_e32 v16, s14, v16
	s_cmp_eq_u32 s4, s7
	s_cbranch_scc1 .LBB240_29
.LBB240_10:                             ; =>This Inner Loop Header: Depth=1
	v_cmp_gt_f32_e64 s0, v5, v4
	s_mov_b32 s17, exec_lo
	s_delay_alu instid0(VALU_DEP_1) | instskip(SKIP_2) | instid1(VALU_DEP_3)
	v_cndmask_b32_e64 v18, v4, v5, s0
	v_cndmask_b32_e64 v17, 0, 1, s0
	;; [unrolled: 1-line block ×3, first 2 shown]
	v_cmp_gt_f32_e64 s1, v6, v18
	s_delay_alu instid0(VALU_DEP_1) | instskip(NEXT) | instid1(VALU_DEP_4)
	v_cndmask_b32_e64 v18, v18, v6, s1
	v_cndmask_b32_e64 v17, v17, 2, s1
	s_waitcnt lgkmcnt(0)
	v_cndmask_b32_e64 v20, v19, v2, s1
	s_delay_alu instid0(VALU_DEP_3) | instskip(NEXT) | instid1(VALU_DEP_1)
	v_cmp_gt_f32_e64 s0, v7, v18
	v_cndmask_b32_e64 v17, v17, 3, s0
	v_cndmask_b32_e64 v19, v18, v7, s0
	s_delay_alu instid0(VALU_DEP_4) | instskip(NEXT) | instid1(VALU_DEP_3)
	v_cndmask_b32_e64 v18, v20, v3, s0
	v_or_b32_e32 v17, v10, v17
	ds_bpermute_b32 v20, v13, v19
	ds_bpermute_b32 v22, v13, v18
	;; [unrolled: 1-line block ×3, first 2 shown]
	s_waitcnt lgkmcnt(0)
	v_cmp_lt_f32_e64 s16, v19, v20
	v_cmpx_nlt_f32_e32 v19, v20
; %bb.11:                               ;   in Loop: Header=BB240_10 Depth=1
	v_cmp_eq_f32_e64 s0, v19, v20
	v_cmp_lt_i32_e64 s1, v21, v17
	s_delay_alu instid0(VALU_DEP_1) | instskip(SKIP_2) | instid1(SALU_CYCLE_1)
	s_and_b32 s0, s0, s1
	s_and_not1_b32 s1, s16, exec_lo
	s_and_b32 s0, s0, exec_lo
	s_or_b32 s16, s1, s0
; %bb.12:                               ;   in Loop: Header=BB240_10 Depth=1
	s_or_b32 exec_lo, exec_lo, s17
	s_and_saveexec_b32 s0, s16
; %bb.13:                               ;   in Loop: Header=BB240_10 Depth=1
	v_dual_mov_b32 v18, v22 :: v_dual_mov_b32 v19, v20
	v_mov_b32_e32 v17, v21
; %bb.14:                               ;   in Loop: Header=BB240_10 Depth=1
	s_or_b32 exec_lo, exec_lo, s0
	ds_bpermute_b32 v20, v14, v19
	ds_bpermute_b32 v22, v14, v18
	;; [unrolled: 1-line block ×3, first 2 shown]
	s_mov_b32 s17, exec_lo
	s_waitcnt lgkmcnt(2)
	v_cmp_lt_f32_e64 s16, v19, v20
	v_cmpx_nlt_f32_e32 v19, v20
	s_cbranch_execz .LBB240_16
; %bb.15:                               ;   in Loop: Header=BB240_10 Depth=1
	v_cmp_eq_f32_e64 s0, v19, v20
	s_waitcnt lgkmcnt(0)
	v_cmp_lt_i32_e64 s1, v21, v17
	s_delay_alu instid0(VALU_DEP_1) | instskip(SKIP_2) | instid1(SALU_CYCLE_1)
	s_and_b32 s0, s0, s1
	s_and_not1_b32 s1, s16, exec_lo
	s_and_b32 s0, s0, exec_lo
	s_or_b32 s16, s1, s0
.LBB240_16:                             ;   in Loop: Header=BB240_10 Depth=1
	s_or_b32 exec_lo, exec_lo, s17
	s_delay_alu instid0(VALU_DEP_2)
	s_and_saveexec_b32 s0, s16
	s_cbranch_execz .LBB240_18
; %bb.17:                               ;   in Loop: Header=BB240_10 Depth=1
	s_waitcnt lgkmcnt(1)
	v_dual_mov_b32 v18, v22 :: v_dual_mov_b32 v19, v20
	s_waitcnt lgkmcnt(0)
	v_mov_b32_e32 v17, v21
.LBB240_18:                             ;   in Loop: Header=BB240_10 Depth=1
	s_or_b32 exec_lo, exec_lo, s0
	s_waitcnt lgkmcnt(1)
	ds_bpermute_b32 v22, v15, v19
	ds_bpermute_b32 v20, v15, v18
	s_waitcnt lgkmcnt(2)
	ds_bpermute_b32 v21, v15, v17
	s_mov_b32 s17, exec_lo
	s_waitcnt lgkmcnt(2)
	v_cmp_lt_f32_e64 s16, v19, v22
	v_cmpx_nlt_f32_e32 v19, v22
	s_cbranch_execnz .LBB240_22
; %bb.19:                               ;   in Loop: Header=BB240_10 Depth=1
	s_or_b32 exec_lo, exec_lo, s17
	s_delay_alu instid0(VALU_DEP_2)
	s_and_saveexec_b32 s0, s16
	s_cbranch_execnz .LBB240_23
.LBB240_20:                             ;   in Loop: Header=BB240_10 Depth=1
	s_or_b32 exec_lo, exec_lo, s0
	s_and_saveexec_b32 s16, s2
	s_cbranch_execnz .LBB240_24
.LBB240_21:                             ;   in Loop: Header=BB240_10 Depth=1
	s_or_b32 exec_lo, exec_lo, s16
	s_add_i32 s7, s7, 1
	s_delay_alu instid0(SALU_CYCLE_1)
	s_cmp_ge_i32 s7, s4
	s_cbranch_scc1 .LBB240_9
	s_branch .LBB240_25
.LBB240_22:                             ;   in Loop: Header=BB240_10 Depth=1
	v_cmp_eq_f32_e64 s0, v19, v22
	s_waitcnt lgkmcnt(0)
	v_cmp_lt_i32_e64 s1, v21, v17
	s_delay_alu instid0(VALU_DEP_1) | instskip(SKIP_2) | instid1(SALU_CYCLE_1)
	s_and_b32 s0, s0, s1
	s_and_not1_b32 s1, s16, exec_lo
	s_and_b32 s0, s0, exec_lo
	s_or_b32 s16, s1, s0
	s_or_b32 exec_lo, exec_lo, s17
	s_and_saveexec_b32 s0, s16
	s_cbranch_execz .LBB240_20
.LBB240_23:                             ;   in Loop: Header=BB240_10 Depth=1
	s_waitcnt lgkmcnt(0)
	v_dual_mov_b32 v17, v21 :: v_dual_mov_b32 v18, v20
	s_or_b32 exec_lo, exec_lo, s0
	s_and_saveexec_b32 s16, s2
	s_cbranch_execz .LBB240_21
.LBB240_24:                             ;   in Loop: Header=BB240_10 Depth=1
	v_add_nc_u32_e32 v19, s7, v12
	v_subrev_nc_u32_e32 v23, s5, v17
	v_cmp_le_i32_e64 s0, s5, v17
	v_cmp_gt_i32_e64 s1, s6, v17
	v_add_f32_e32 v27, v11, v18
	s_waitcnt lgkmcnt(1)
	v_ashrrev_i32_e32 v20, 31, v19
	v_ashrrev_i32_e32 v24, 31, v23
	s_and_b32 s0, s0, s1
	v_cndmask_b32_e32 v11, v11, v27, vcc_lo
	s_waitcnt lgkmcnt(0)
	v_lshlrev_b64 v[21:22], 2, v[19:20]
	v_lshlrev_b64 v[19:20], 3, v[19:20]
	s_and_b32 s0, s15, s0
	s_delay_alu instid0(SALU_CYCLE_1) | instskip(SKIP_1) | instid1(VALU_DEP_4)
	v_cndmask_b32_e64 v24, 0, v24, s0
	v_cndmask_b32_e64 v23, 32, v23, s0
	v_add_co_u32 v25, s0, s12, v21
	s_delay_alu instid0(VALU_DEP_1) | instskip(SKIP_1) | instid1(VALU_DEP_1)
	v_add_co_ci_u32_e64 v26, s0, s13, v22, s0
	v_add_co_u32 v19, s0, s8, v19
	v_add_co_ci_u32_e64 v20, s0, s9, v20, s0
	v_add_co_u32 v21, s0, s10, v21
	s_delay_alu instid0(VALU_DEP_1)
	v_add_co_ci_u32_e64 v22, s0, s11, v22, s0
	global_store_b32 v[25:26], v18, off
	global_store_b64 v[19:20], v[23:24], off
	global_store_b32 v[21:22], v16, off
	s_or_b32 exec_lo, exec_lo, s16
	s_add_i32 s7, s7, 1
	s_delay_alu instid0(SALU_CYCLE_1)
	s_cmp_ge_i32 s7, s4
	s_cbranch_scc1 .LBB240_9
.LBB240_25:                             ;   in Loop: Header=BB240_10 Depth=1
	v_ashrrev_i32_e32 v19, 31, v17
	s_mov_b32 s1, exec_lo
	s_delay_alu instid0(VALU_DEP_1) | instskip(NEXT) | instid1(VALU_DEP_1)
	v_lshrrev_b32_e32 v18, 30, v19
	v_add_nc_u32_e32 v18, v17, v18
	s_delay_alu instid0(VALU_DEP_1) | instskip(SKIP_1) | instid1(VALU_DEP_1)
	v_ashrrev_i32_e32 v18, 2, v18
	s_waitcnt lgkmcnt(1)
	v_lshrrev_b32_e32 v20, 29, v18
	s_delay_alu instid0(VALU_DEP_1) | instskip(NEXT) | instid1(VALU_DEP_1)
	v_add_nc_u32_e32 v20, v18, v20
	v_and_b32_e32 v20, -8, v20
	s_delay_alu instid0(VALU_DEP_1) | instskip(NEXT) | instid1(VALU_DEP_1)
	v_sub_nc_u32_e32 v20, v18, v20
	v_cmpx_eq_u32_e64 v9, v20
	s_cbranch_execz .LBB240_8
; %bb.26:                               ;   in Loop: Header=BB240_10 Depth=1
	v_lshrrev_b32_e32 v19, 27, v19
	v_lshlrev_b32_e32 v18, 2, v18
	s_delay_alu instid0(VALU_DEP_2) | instskip(NEXT) | instid1(VALU_DEP_2)
	v_add_nc_u32_e32 v19, v17, v19
	v_sub_nc_u32_e32 v17, v17, v18
	s_delay_alu instid0(VALU_DEP_2) | instskip(NEXT) | instid1(VALU_DEP_1)
	v_ashrrev_i32_e32 v18, 5, v19
	v_lshl_add_u32 v17, v18, 2, v17
	s_delay_alu instid0(VALU_DEP_1) | instskip(NEXT) | instid1(VALU_DEP_1)
	v_cmp_ne_u32_e64 s0, 3, v17
	v_cndmask_b32_e64 v7, 0xc61c4000, v7, s0
	v_cmp_ne_u32_e64 s0, 2, v17
	s_delay_alu instid0(VALU_DEP_1) | instskip(SKIP_1) | instid1(VALU_DEP_1)
	v_cndmask_b32_e64 v6, 0xc61c4000, v6, s0
	v_cmp_ne_u32_e64 s0, 1, v17
	v_cndmask_b32_e64 v5, 0xc61c4000, v5, s0
	v_cmp_ne_u32_e64 s0, 0, v17
	s_delay_alu instid0(VALU_DEP_1)
	v_cndmask_b32_e64 v4, 0xc61c4000, v4, s0
	s_branch .LBB240_8
.LBB240_27:
                                        ; implicit-def: $vgpr4_vgpr5_vgpr6_vgpr7
	s_and_not1_b32 vcc_lo, exec_lo, s8
	s_cbranch_vccz .LBB240_5
	s_branch .LBB240_6
.LBB240_28:
	v_mov_b32_e32 v11, 0
.LBB240_29:
	v_cmp_eq_u32_e64 s0, 0, v9
	s_delay_alu instid0(VALU_DEP_1) | instskip(NEXT) | instid1(SALU_CYCLE_1)
	s_and_b32 s0, s0, vcc_lo
	s_and_b32 exec_lo, exec_lo, s0
	s_cbranch_execz .LBB240_33
; %bb.30:
	s_and_not1_b32 vcc_lo, exec_lo, s3
	s_cbranch_vccnz .LBB240_33
; %bb.31:
	v_mul_lo_u32 v0, v8, s4
	v_cmp_lt_f32_e32 vcc_lo, 0, v11
	v_cndmask_b32_e32 v2, 1.0, v11, vcc_lo
	s_delay_alu instid0(VALU_DEP_3) | instskip(NEXT) | instid1(VALU_DEP_1)
	v_ashrrev_i32_e32 v1, 31, v0
	v_lshlrev_b64 v[0:1], 2, v[0:1]
	s_delay_alu instid0(VALU_DEP_1) | instskip(NEXT) | instid1(VALU_DEP_2)
	v_add_co_u32 v0, vcc_lo, s12, v0
	v_add_co_ci_u32_e32 v1, vcc_lo, s13, v1, vcc_lo
	.p2align	6
.LBB240_32:                             ; =>This Inner Loop Header: Depth=1
	global_load_b32 v3, v[0:1], off
	s_add_i32 s4, s4, -1
	s_delay_alu instid0(SALU_CYCLE_1) | instskip(SKIP_3) | instid1(VALU_DEP_2)
	s_cmp_lg_u32 s4, 0
	s_waitcnt vmcnt(0)
	v_div_scale_f32 v4, null, v2, v2, v3
	v_div_scale_f32 v7, vcc_lo, v3, v2, v3
	v_rcp_f32_e32 v5, v4
	s_waitcnt_depctr 0xfff
	v_fma_f32 v6, -v4, v5, 1.0
	s_delay_alu instid0(VALU_DEP_1) | instskip(NEXT) | instid1(VALU_DEP_1)
	v_fmac_f32_e32 v5, v6, v5
	v_mul_f32_e32 v6, v7, v5
	s_delay_alu instid0(VALU_DEP_1) | instskip(NEXT) | instid1(VALU_DEP_1)
	v_fma_f32 v8, -v4, v6, v7
	v_fmac_f32_e32 v6, v8, v5
	s_delay_alu instid0(VALU_DEP_1) | instskip(NEXT) | instid1(VALU_DEP_1)
	v_fma_f32 v4, -v4, v6, v7
	v_div_fmas_f32 v4, v4, v5, v6
	s_delay_alu instid0(VALU_DEP_1)
	v_div_fixup_f32 v3, v4, v2, v3
	global_store_b32 v[0:1], v3, off
	v_add_co_u32 v0, vcc_lo, v0, 4
	v_add_co_ci_u32_e32 v1, vcc_lo, 0, v1, vcc_lo
	s_cbranch_scc1 .LBB240_32
.LBB240_33:
	s_nop 0
	s_sendmsg sendmsg(MSG_DEALLOC_VGPRS)
	s_endpgm
	.section	.rodata,"a",@progbits
	.p2align	6, 0x0
	.amdhsa_kernel _ZN4vllm3moe10topkGatingILi4ELi32ELi4ELi16ELi32ElfLNS0_11ScoringFuncE1EEEvPKT5_PKbPfiPT4_PiiiibPKf
		.amdhsa_group_segment_fixed_size 0
		.amdhsa_private_segment_fixed_size 0
		.amdhsa_kernarg_size 72
		.amdhsa_user_sgpr_count 15
		.amdhsa_user_sgpr_dispatch_ptr 0
		.amdhsa_user_sgpr_queue_ptr 0
		.amdhsa_user_sgpr_kernarg_segment_ptr 1
		.amdhsa_user_sgpr_dispatch_id 0
		.amdhsa_user_sgpr_private_segment_size 0
		.amdhsa_wavefront_size32 1
		.amdhsa_uses_dynamic_stack 0
		.amdhsa_enable_private_segment 0
		.amdhsa_system_sgpr_workgroup_id_x 1
		.amdhsa_system_sgpr_workgroup_id_y 0
		.amdhsa_system_sgpr_workgroup_id_z 0
		.amdhsa_system_sgpr_workgroup_info 0
		.amdhsa_system_vgpr_workitem_id 1
		.amdhsa_next_free_vgpr 28
		.amdhsa_next_free_sgpr 18
		.amdhsa_reserve_vcc 1
		.amdhsa_float_round_mode_32 0
		.amdhsa_float_round_mode_16_64 0
		.amdhsa_float_denorm_mode_32 3
		.amdhsa_float_denorm_mode_16_64 3
		.amdhsa_dx10_clamp 1
		.amdhsa_ieee_mode 1
		.amdhsa_fp16_overflow 0
		.amdhsa_workgroup_processor_mode 1
		.amdhsa_memory_ordered 1
		.amdhsa_forward_progress 0
		.amdhsa_shared_vgpr_count 0
		.amdhsa_exception_fp_ieee_invalid_op 0
		.amdhsa_exception_fp_denorm_src 0
		.amdhsa_exception_fp_ieee_div_zero 0
		.amdhsa_exception_fp_ieee_overflow 0
		.amdhsa_exception_fp_ieee_underflow 0
		.amdhsa_exception_fp_ieee_inexact 0
		.amdhsa_exception_int_div_zero 0
	.end_amdhsa_kernel
	.section	.text._ZN4vllm3moe10topkGatingILi4ELi32ELi4ELi16ELi32ElfLNS0_11ScoringFuncE1EEEvPKT5_PKbPfiPT4_PiiiibPKf,"axG",@progbits,_ZN4vllm3moe10topkGatingILi4ELi32ELi4ELi16ELi32ElfLNS0_11ScoringFuncE1EEEvPKT5_PKbPfiPT4_PiiiibPKf,comdat
.Lfunc_end240:
	.size	_ZN4vllm3moe10topkGatingILi4ELi32ELi4ELi16ELi32ElfLNS0_11ScoringFuncE1EEEvPKT5_PKbPfiPT4_PiiiibPKf, .Lfunc_end240-_ZN4vllm3moe10topkGatingILi4ELi32ELi4ELi16ELi32ElfLNS0_11ScoringFuncE1EEEvPKT5_PKbPfiPT4_PiiiibPKf
                                        ; -- End function
	.section	.AMDGPU.csdata,"",@progbits
; Kernel info:
; codeLenInByte = 2196
; NumSgprs: 20
; NumVgprs: 28
; ScratchSize: 0
; MemoryBound: 0
; FloatMode: 240
; IeeeMode: 1
; LDSByteSize: 0 bytes/workgroup (compile time only)
; SGPRBlocks: 2
; VGPRBlocks: 3
; NumSGPRsForWavesPerEU: 20
; NumVGPRsForWavesPerEU: 28
; Occupancy: 16
; WaveLimiterHint : 0
; COMPUTE_PGM_RSRC2:SCRATCH_EN: 0
; COMPUTE_PGM_RSRC2:USER_SGPR: 15
; COMPUTE_PGM_RSRC2:TRAP_HANDLER: 0
; COMPUTE_PGM_RSRC2:TGID_X_EN: 1
; COMPUTE_PGM_RSRC2:TGID_Y_EN: 0
; COMPUTE_PGM_RSRC2:TGID_Z_EN: 0
; COMPUTE_PGM_RSRC2:TIDIG_COMP_CNT: 1
	.section	.text._ZN4vllm3moe10topkGatingILi4ELi64ELi4ELi16ELi64ElfLNS0_11ScoringFuncE1EEEvPKT5_PKbPfiPT4_PiiiibPKf,"axG",@progbits,_ZN4vllm3moe10topkGatingILi4ELi64ELi4ELi16ELi64ElfLNS0_11ScoringFuncE1EEEvPKT5_PKbPfiPT4_PiiiibPKf,comdat
	.protected	_ZN4vllm3moe10topkGatingILi4ELi64ELi4ELi16ELi64ElfLNS0_11ScoringFuncE1EEEvPKT5_PKbPfiPT4_PiiiibPKf ; -- Begin function _ZN4vllm3moe10topkGatingILi4ELi64ELi4ELi16ELi64ElfLNS0_11ScoringFuncE1EEEvPKT5_PKbPfiPT4_PiiiibPKf
	.globl	_ZN4vllm3moe10topkGatingILi4ELi64ELi4ELi16ELi64ElfLNS0_11ScoringFuncE1EEEvPKT5_PKbPfiPT4_PiiiibPKf
	.p2align	8
	.type	_ZN4vllm3moe10topkGatingILi4ELi64ELi4ELi16ELi64ElfLNS0_11ScoringFuncE1EEEvPKT5_PKbPfiPT4_PiiiibPKf,@function
_ZN4vllm3moe10topkGatingILi4ELi64ELi4ELi16ELi64ElfLNS0_11ScoringFuncE1EEEvPKT5_PKbPfiPT4_PiiiibPKf: ; @_ZN4vllm3moe10topkGatingILi4ELi64ELi4ELi16ELi64ElfLNS0_11ScoringFuncE1EEEvPKT5_PKbPfiPT4_PiiiibPKf
; %bb.0:
	s_load_b32 s14, s[0:1], 0x18
	v_bfe_u32 v1, v0, 10, 10
	v_and_b32_e32 v0, 0x3ff, v0
	s_lshl_b32 s2, s15, 4
	s_delay_alu instid0(VALU_DEP_2) | instskip(NEXT) | instid1(VALU_DEP_2)
	v_lshlrev_b32_e32 v1, 2, v1
	v_lshrrev_b32_e32 v2, 4, v0
	s_delay_alu instid0(VALU_DEP_1) | instskip(SKIP_2) | instid1(VALU_DEP_1)
	v_add3_u32 v8, s2, v1, v2
	s_mov_b32 s2, exec_lo
	s_waitcnt lgkmcnt(0)
	v_cmpx_gt_i32_e64 s14, v8
	s_cbranch_execz .LBB241_37
; %bb.1:
	s_clause 0x1
	s_load_b128 s[4:7], s[0:1], 0x0
	s_load_b64 s[12:13], s[0:1], 0x10
	s_mov_b32 s8, -1
	s_mov_b32 s15, -1
	s_waitcnt lgkmcnt(0)
	s_cmp_eq_u64 s[6:7], 0
	s_cbranch_scc1 .LBB241_3
; %bb.2:
	v_ashrrev_i32_e32 v2, 31, v8
	v_add_co_u32 v1, vcc_lo, s6, v8
	s_delay_alu instid0(VALU_DEP_2) | instskip(SKIP_3) | instid1(VALU_DEP_1)
	v_add_co_ci_u32_e32 v2, vcc_lo, s7, v2, vcc_lo
	global_load_u8 v1, v[1:2], off
	s_waitcnt vmcnt(0)
	v_and_b32_e32 v1, 1, v1
	v_cmp_eq_u32_e32 vcc_lo, 1, v1
	s_xor_b32 s2, vcc_lo, -1
	s_delay_alu instid0(SALU_CYCLE_1)
	s_or_not1_b32 s15, s2, exec_lo
.LBB241_3:
	v_lshlrev_b32_e32 v1, 6, v8
	v_and_b32_e32 v9, 15, v0
	s_load_b64 s[6:7], s[0:1], 0x40
	s_delay_alu instid0(VALU_DEP_2) | instskip(NEXT) | instid1(VALU_DEP_1)
	v_ashrrev_i32_e32 v2, 31, v1
	v_lshlrev_b64 v[0:1], 2, v[1:2]
	s_delay_alu instid0(VALU_DEP_3) | instskip(NEXT) | instid1(VALU_DEP_2)
	v_lshlrev_b32_e32 v2, 4, v9
	v_add_co_u32 v0, vcc_lo, s4, v0
	s_delay_alu instid0(VALU_DEP_3) | instskip(NEXT) | instid1(VALU_DEP_2)
	v_add_co_ci_u32_e32 v1, vcc_lo, s5, v1, vcc_lo
	v_add_co_u32 v0, vcc_lo, v0, v2
	s_delay_alu instid0(VALU_DEP_2)
	v_add_co_ci_u32_e32 v1, vcc_lo, 0, v1, vcc_lo
	s_waitcnt lgkmcnt(0)
	s_cmp_eq_u64 s[6:7], 0
	global_load_b128 v[0:3], v[0:1], off
	s_waitcnt vmcnt(0)
	v_dual_mul_f32 v3, 0xbfb8aa3b, v3 :: v_dual_mul_f32 v0, 0xbfb8aa3b, v0
	v_dual_mul_f32 v1, 0xbfb8aa3b, v1 :: v_dual_mul_f32 v2, 0xbfb8aa3b, v2
	s_delay_alu instid0(VALU_DEP_2) | instskip(NEXT) | instid1(VALU_DEP_2)
	v_exp_f32_e32 v3, v3
	v_exp_f32_e32 v0, v0
	s_delay_alu instid0(VALU_DEP_1) | instskip(NEXT) | instid1(VALU_DEP_1)
	v_exp_f32_e32 v1, v1
	v_exp_f32_e32 v2, v2
	s_waitcnt_depctr 0xfff
	v_dual_add_f32 v0, 1.0, v0 :: v_dual_add_f32 v1, 1.0, v1
	v_add_f32_e32 v2, 1.0, v2
	s_delay_alu instid0(VALU_DEP_2) | instskip(NEXT) | instid1(VALU_DEP_3)
	v_div_scale_f32 v4, null, v0, v0, 1.0
	v_div_scale_f32 v5, null, v1, v1, 1.0
	s_delay_alu instid0(VALU_DEP_3) | instskip(NEXT) | instid1(VALU_DEP_3)
	v_div_scale_f32 v6, null, v2, v2, 1.0
	v_rcp_f32_e32 v11, v4
	s_delay_alu instid0(VALU_DEP_2) | instskip(SKIP_1) | instid1(VALU_DEP_2)
	v_rcp_f32_e32 v12, v5
	v_div_scale_f32 v15, vcc_lo, 1.0, v0, 1.0
	v_rcp_f32_e32 v13, v6
	v_div_scale_f32 v16, s2, 1.0, v1, 1.0
	v_div_scale_f32 v17, s3, 1.0, v2, 1.0
	s_delay_alu instid0(TRANS32_DEP_3) | instskip(SKIP_4) | instid1(VALU_DEP_3)
	v_fma_f32 v10, -v4, v11, 1.0
	s_waitcnt_depctr 0xfff
	v_fma_f32 v18, -v5, v12, 1.0
	v_add_f32_e32 v3, 1.0, v3
	v_fma_f32 v19, -v6, v13, 1.0
	v_fmac_f32_e32 v12, v18, v12
	s_delay_alu instid0(VALU_DEP_3) | instskip(SKIP_1) | instid1(VALU_DEP_2)
	v_div_scale_f32 v7, null, v3, v3, 1.0
	v_div_scale_f32 v21, s4, 1.0, v3, 1.0
	v_rcp_f32_e32 v14, v7
	s_waitcnt_depctr 0xfff
	v_fma_f32 v20, -v7, v14, 1.0
	s_delay_alu instid0(VALU_DEP_1) | instskip(NEXT) | instid1(VALU_DEP_1)
	v_dual_fmac_f32 v11, v10, v11 :: v_dual_fmac_f32 v14, v20, v14
	v_mul_f32_e32 v18, v15, v11
	v_fmac_f32_e32 v13, v19, v13
	s_delay_alu instid0(VALU_DEP_3) | instskip(NEXT) | instid1(VALU_DEP_3)
	v_dual_mul_f32 v19, v16, v12 :: v_dual_mul_f32 v22, v21, v14
	v_fma_f32 v10, -v4, v18, v15
	s_delay_alu instid0(VALU_DEP_2) | instskip(NEXT) | instid1(VALU_DEP_4)
	v_fma_f32 v23, -v5, v19, v16
	v_mul_f32_e32 v20, v17, v13
	s_delay_alu instid0(VALU_DEP_4) | instskip(NEXT) | instid1(VALU_DEP_4)
	v_fma_f32 v25, -v7, v22, v21
	v_fmac_f32_e32 v18, v10, v11
	s_delay_alu instid0(VALU_DEP_4) | instskip(NEXT) | instid1(VALU_DEP_4)
	v_dual_fmac_f32 v19, v23, v12 :: v_dual_lshlrev_b32 v10, 2, v9
	v_fma_f32 v24, -v6, v20, v17
	s_delay_alu instid0(VALU_DEP_4) | instskip(NEXT) | instid1(VALU_DEP_4)
	v_fmac_f32_e32 v22, v25, v14
	v_fma_f32 v4, -v4, v18, v15
	s_delay_alu instid0(VALU_DEP_4) | instskip(NEXT) | instid1(VALU_DEP_4)
	v_fma_f32 v5, -v5, v19, v16
	v_fmac_f32_e32 v20, v24, v13
	s_delay_alu instid0(VALU_DEP_4) | instskip(NEXT) | instid1(VALU_DEP_4)
	v_fma_f32 v7, -v7, v22, v21
	v_div_fmas_f32 v4, v4, v11, v18
	s_mov_b32 vcc_lo, s2
	s_delay_alu instid0(VALU_DEP_3) | instskip(SKIP_1) | instid1(VALU_DEP_3)
	v_fma_f32 v6, -v6, v20, v17
	v_div_fmas_f32 v5, v5, v12, v19
	v_div_fixup_f32 v0, v4, v0, 1.0
	s_mov_b32 vcc_lo, s3
	s_delay_alu instid0(VALU_DEP_3)
	v_div_fmas_f32 v6, v6, v13, v20
	s_mov_b32 vcc_lo, s4
	v_div_fixup_f32 v1, v5, v1, 1.0
	v_div_fmas_f32 v4, v7, v14, v22
	v_cmp_class_f32_e64 vcc_lo, v0, 0x1f8
	v_div_fixup_f32 v2, v6, v2, 1.0
	s_delay_alu instid0(VALU_DEP_3)
	v_div_fixup_f32 v3, v4, v3, 1.0
	v_cndmask_b32_e32 v0, 0, v0, vcc_lo
	v_cmp_class_f32_e64 vcc_lo, v1, 0x1f8
	v_cndmask_b32_e32 v1, 0, v1, vcc_lo
	v_cmp_class_f32_e64 vcc_lo, v2, 0x1f8
	;; [unrolled: 2-line block ×3, first 2 shown]
	v_cndmask_b32_e32 v3, 0, v3, vcc_lo
	s_cbranch_scc1 .LBB241_31
; %bb.4:
	v_lshlrev_b32_e32 v4, 2, v10
	global_load_b128 v[4:7], v4, s[6:7]
	s_waitcnt vmcnt(0)
	v_dual_add_f32 v5, v5, v1 :: v_dual_add_f32 v4, v4, v0
	v_dual_add_f32 v7, v7, v3 :: v_dual_add_f32 v6, v6, v2
	s_cbranch_execnz .LBB241_6
.LBB241_5:
	v_dual_mov_b32 v7, v3 :: v_dual_mov_b32 v6, v2
	v_dual_mov_b32 v5, v1 :: v_dual_mov_b32 v4, v0
.LBB241_6:
	s_load_b128 s[4:7], s[0:1], 0x30
	v_cmp_eq_u32_e64 s2, 0, v9
	s_waitcnt lgkmcnt(0)
	s_bitcmp1_b32 s7, 0
	s_mov_b32 s7, 0
	s_cselect_b32 vcc_lo, -1, 0
	s_cmp_gt_i32 s4, 0
	s_cselect_b32 s3, -1, 0
	s_cmp_lt_i32 s4, 1
	s_cbranch_scc1 .LBB241_32
; %bb.7:
	v_mbcnt_lo_u32_b32 v11, -1, 0
	s_load_b128 s[8:11], s[0:1], 0x20
	s_delay_alu instid0(VALU_DEP_1)
	v_dual_mov_b32 v17, v8 :: v_dual_and_b32 v12, 16, v11
	v_xor_b32_e32 v13, 8, v11
	v_xor_b32_e32 v14, 4, v11
	;; [unrolled: 1-line block ×4, first 2 shown]
	v_add_nc_u32_e32 v12, 16, v12
	s_delay_alu instid0(VALU_DEP_1) | instskip(NEXT) | instid1(VALU_DEP_1)
	v_cmp_lt_i32_e64 s0, v13, v12
	v_cndmask_b32_e64 v13, v11, v13, s0
	v_cmp_lt_i32_e64 s0, v14, v12
	s_delay_alu instid0(VALU_DEP_2) | instskip(NEXT) | instid1(VALU_DEP_2)
	v_lshlrev_b32_e32 v13, 2, v13
	v_cndmask_b32_e64 v14, v11, v14, s0
	v_cmp_lt_i32_e64 s0, v15, v12
	s_delay_alu instid0(VALU_DEP_2) | instskip(NEXT) | instid1(VALU_DEP_2)
	v_lshlrev_b32_e32 v14, 2, v14
	v_cndmask_b32_e64 v15, v11, v15, s0
	v_cmp_lt_i32_e64 s0, v16, v12
	v_mul_lo_u32 v12, v8, s4
	s_delay_alu instid0(VALU_DEP_3) | instskip(NEXT) | instid1(VALU_DEP_3)
	v_lshlrev_b32_e32 v15, 2, v15
	v_cndmask_b32_e64 v11, v11, v16, s0
	s_delay_alu instid0(VALU_DEP_1)
	v_dual_mov_b32 v11, 0 :: v_dual_lshlrev_b32 v16, 2, v11
	s_branch .LBB241_10
.LBB241_8:                              ;   in Loop: Header=BB241_10 Depth=1
	s_or_b32 exec_lo, exec_lo, s1
.LBB241_9:                              ;   in Loop: Header=BB241_10 Depth=1
	v_add_nc_u32_e32 v17, s14, v17
	s_cmp_eq_u32 s4, s7
	s_cbranch_scc1 .LBB241_33
.LBB241_10:                             ; =>This Inner Loop Header: Depth=1
	v_cmp_gt_f32_e64 s0, v5, v4
	s_mov_b32 s17, exec_lo
	s_delay_alu instid0(VALU_DEP_1) | instskip(SKIP_2) | instid1(VALU_DEP_3)
	v_cndmask_b32_e64 v19, v4, v5, s0
	v_cndmask_b32_e64 v18, 0, 1, s0
	v_cndmask_b32_e64 v20, v0, v1, s0
	v_cmp_gt_f32_e64 s1, v6, v19
	s_delay_alu instid0(VALU_DEP_1) | instskip(NEXT) | instid1(VALU_DEP_4)
	v_cndmask_b32_e64 v19, v19, v6, s1
	v_cndmask_b32_e64 v18, v18, 2, s1
	s_waitcnt lgkmcnt(0)
	v_cndmask_b32_e64 v21, v20, v2, s1
	s_delay_alu instid0(VALU_DEP_3) | instskip(NEXT) | instid1(VALU_DEP_1)
	v_cmp_gt_f32_e64 s0, v7, v19
	v_cndmask_b32_e64 v18, v18, 3, s0
	v_cndmask_b32_e64 v20, v19, v7, s0
	s_delay_alu instid0(VALU_DEP_4) | instskip(NEXT) | instid1(VALU_DEP_3)
	v_cndmask_b32_e64 v19, v21, v3, s0
	v_or_b32_e32 v18, v10, v18
	ds_bpermute_b32 v21, v13, v20
	ds_bpermute_b32 v23, v13, v19
	;; [unrolled: 1-line block ×3, first 2 shown]
	s_waitcnt lgkmcnt(0)
	v_cmp_lt_f32_e64 s16, v20, v21
	v_cmpx_nlt_f32_e32 v20, v21
; %bb.11:                               ;   in Loop: Header=BB241_10 Depth=1
	v_cmp_eq_f32_e64 s0, v20, v21
	v_cmp_lt_i32_e64 s1, v22, v18
	s_delay_alu instid0(VALU_DEP_1) | instskip(SKIP_2) | instid1(SALU_CYCLE_1)
	s_and_b32 s0, s0, s1
	s_and_not1_b32 s1, s16, exec_lo
	s_and_b32 s0, s0, exec_lo
	s_or_b32 s16, s1, s0
; %bb.12:                               ;   in Loop: Header=BB241_10 Depth=1
	s_or_b32 exec_lo, exec_lo, s17
	s_and_saveexec_b32 s0, s16
; %bb.13:                               ;   in Loop: Header=BB241_10 Depth=1
	v_dual_mov_b32 v19, v23 :: v_dual_mov_b32 v20, v21
	v_mov_b32_e32 v18, v22
; %bb.14:                               ;   in Loop: Header=BB241_10 Depth=1
	s_or_b32 exec_lo, exec_lo, s0
	ds_bpermute_b32 v21, v14, v20
	ds_bpermute_b32 v23, v14, v19
	;; [unrolled: 1-line block ×3, first 2 shown]
	s_mov_b32 s17, exec_lo
	s_waitcnt lgkmcnt(2)
	v_cmp_lt_f32_e64 s16, v20, v21
	v_cmpx_nlt_f32_e32 v20, v21
	s_cbranch_execz .LBB241_16
; %bb.15:                               ;   in Loop: Header=BB241_10 Depth=1
	v_cmp_eq_f32_e64 s0, v20, v21
	s_waitcnt lgkmcnt(0)
	v_cmp_lt_i32_e64 s1, v22, v18
	s_delay_alu instid0(VALU_DEP_1) | instskip(SKIP_2) | instid1(SALU_CYCLE_1)
	s_and_b32 s0, s0, s1
	s_and_not1_b32 s1, s16, exec_lo
	s_and_b32 s0, s0, exec_lo
	s_or_b32 s16, s1, s0
.LBB241_16:                             ;   in Loop: Header=BB241_10 Depth=1
	s_or_b32 exec_lo, exec_lo, s17
	s_delay_alu instid0(VALU_DEP_2)
	s_and_saveexec_b32 s0, s16
	s_cbranch_execz .LBB241_18
; %bb.17:                               ;   in Loop: Header=BB241_10 Depth=1
	s_waitcnt lgkmcnt(1)
	v_dual_mov_b32 v19, v23 :: v_dual_mov_b32 v20, v21
	s_waitcnt lgkmcnt(0)
	v_mov_b32_e32 v18, v22
.LBB241_18:                             ;   in Loop: Header=BB241_10 Depth=1
	s_or_b32 exec_lo, exec_lo, s0
	ds_bpermute_b32 v21, v15, v20
	s_waitcnt lgkmcnt(2)
	ds_bpermute_b32 v23, v15, v19
	s_waitcnt lgkmcnt(2)
	ds_bpermute_b32 v22, v15, v18
	s_mov_b32 s17, exec_lo
	s_waitcnt lgkmcnt(2)
	v_cmp_lt_f32_e64 s16, v20, v21
	v_cmpx_nlt_f32_e32 v20, v21
	s_cbranch_execz .LBB241_20
; %bb.19:                               ;   in Loop: Header=BB241_10 Depth=1
	v_cmp_eq_f32_e64 s0, v20, v21
	s_waitcnt lgkmcnt(0)
	v_cmp_lt_i32_e64 s1, v22, v18
	s_delay_alu instid0(VALU_DEP_1) | instskip(SKIP_2) | instid1(SALU_CYCLE_1)
	s_and_b32 s0, s0, s1
	s_and_not1_b32 s1, s16, exec_lo
	s_and_b32 s0, s0, exec_lo
	s_or_b32 s16, s1, s0
.LBB241_20:                             ;   in Loop: Header=BB241_10 Depth=1
	s_or_b32 exec_lo, exec_lo, s17
	s_delay_alu instid0(VALU_DEP_2)
	s_and_saveexec_b32 s0, s16
	s_cbranch_execz .LBB241_22
; %bb.21:                               ;   in Loop: Header=BB241_10 Depth=1
	s_waitcnt lgkmcnt(1)
	v_dual_mov_b32 v19, v23 :: v_dual_mov_b32 v20, v21
	s_waitcnt lgkmcnt(0)
	v_mov_b32_e32 v18, v22
.LBB241_22:                             ;   in Loop: Header=BB241_10 Depth=1
	s_or_b32 exec_lo, exec_lo, s0
	s_waitcnt lgkmcnt(1)
	ds_bpermute_b32 v23, v16, v20
	ds_bpermute_b32 v21, v16, v19
	s_waitcnt lgkmcnt(2)
	ds_bpermute_b32 v22, v16, v18
	s_mov_b32 s17, exec_lo
	s_waitcnt lgkmcnt(2)
	v_cmp_lt_f32_e64 s16, v20, v23
	v_cmpx_nlt_f32_e32 v20, v23
	s_cbranch_execnz .LBB241_26
; %bb.23:                               ;   in Loop: Header=BB241_10 Depth=1
	s_or_b32 exec_lo, exec_lo, s17
	s_delay_alu instid0(VALU_DEP_2)
	s_and_saveexec_b32 s0, s16
	s_cbranch_execnz .LBB241_27
.LBB241_24:                             ;   in Loop: Header=BB241_10 Depth=1
	s_or_b32 exec_lo, exec_lo, s0
	s_and_saveexec_b32 s16, s2
	s_cbranch_execnz .LBB241_28
.LBB241_25:                             ;   in Loop: Header=BB241_10 Depth=1
	s_or_b32 exec_lo, exec_lo, s16
	s_add_i32 s7, s7, 1
	s_delay_alu instid0(SALU_CYCLE_1)
	s_cmp_ge_i32 s7, s4
	s_cbranch_scc1 .LBB241_9
	s_branch .LBB241_29
.LBB241_26:                             ;   in Loop: Header=BB241_10 Depth=1
	v_cmp_eq_f32_e64 s0, v20, v23
	s_waitcnt lgkmcnt(0)
	v_cmp_lt_i32_e64 s1, v22, v18
	s_delay_alu instid0(VALU_DEP_1) | instskip(SKIP_2) | instid1(SALU_CYCLE_1)
	s_and_b32 s0, s0, s1
	s_and_not1_b32 s1, s16, exec_lo
	s_and_b32 s0, s0, exec_lo
	s_or_b32 s16, s1, s0
	s_or_b32 exec_lo, exec_lo, s17
	s_and_saveexec_b32 s0, s16
	s_cbranch_execz .LBB241_24
.LBB241_27:                             ;   in Loop: Header=BB241_10 Depth=1
	s_waitcnt lgkmcnt(0)
	v_dual_mov_b32 v18, v22 :: v_dual_mov_b32 v19, v21
	s_or_b32 exec_lo, exec_lo, s0
	s_and_saveexec_b32 s16, s2
	s_cbranch_execz .LBB241_25
.LBB241_28:                             ;   in Loop: Header=BB241_10 Depth=1
	v_add_nc_u32_e32 v20, s7, v12
	v_subrev_nc_u32_e32 v24, s5, v18
	v_cmp_le_i32_e64 s0, s5, v18
	v_cmp_gt_i32_e64 s1, s6, v18
	v_add_f32_e32 v28, v11, v19
	s_waitcnt lgkmcnt(1)
	v_ashrrev_i32_e32 v21, 31, v20
	v_ashrrev_i32_e32 v25, 31, v24
	s_and_b32 s0, s0, s1
	v_cndmask_b32_e32 v11, v11, v28, vcc_lo
	s_waitcnt lgkmcnt(0)
	v_lshlrev_b64 v[22:23], 2, v[20:21]
	v_lshlrev_b64 v[20:21], 3, v[20:21]
	s_and_b32 s0, s15, s0
	s_delay_alu instid0(SALU_CYCLE_1) | instskip(SKIP_1) | instid1(VALU_DEP_4)
	v_cndmask_b32_e64 v25, 0, v25, s0
	v_cndmask_b32_e64 v24, 64, v24, s0
	v_add_co_u32 v26, s0, s12, v22
	s_delay_alu instid0(VALU_DEP_1) | instskip(SKIP_1) | instid1(VALU_DEP_1)
	v_add_co_ci_u32_e64 v27, s0, s13, v23, s0
	v_add_co_u32 v20, s0, s8, v20
	v_add_co_ci_u32_e64 v21, s0, s9, v21, s0
	v_add_co_u32 v22, s0, s10, v22
	s_delay_alu instid0(VALU_DEP_1)
	v_add_co_ci_u32_e64 v23, s0, s11, v23, s0
	global_store_b32 v[26:27], v19, off
	global_store_b64 v[20:21], v[24:25], off
	global_store_b32 v[22:23], v17, off
	s_or_b32 exec_lo, exec_lo, s16
	s_add_i32 s7, s7, 1
	s_delay_alu instid0(SALU_CYCLE_1)
	s_cmp_ge_i32 s7, s4
	s_cbranch_scc1 .LBB241_9
.LBB241_29:                             ;   in Loop: Header=BB241_10 Depth=1
	v_ashrrev_i32_e32 v19, 31, v18
	s_mov_b32 s1, exec_lo
	s_delay_alu instid0(VALU_DEP_1) | instskip(NEXT) | instid1(VALU_DEP_1)
	v_lshrrev_b32_e32 v20, 30, v19
	v_add_nc_u32_e32 v20, v18, v20
	s_waitcnt lgkmcnt(1)
	s_delay_alu instid0(VALU_DEP_1) | instskip(SKIP_1) | instid1(VALU_DEP_2)
	v_ashrrev_i32_e32 v21, 31, v20
	v_ashrrev_i32_e32 v20, 2, v20
	v_lshrrev_b32_e32 v21, 28, v21
	s_delay_alu instid0(VALU_DEP_1) | instskip(NEXT) | instid1(VALU_DEP_1)
	v_add_nc_u32_e32 v21, v20, v21
	v_and_b32_e32 v21, -16, v21
	s_delay_alu instid0(VALU_DEP_1) | instskip(NEXT) | instid1(VALU_DEP_1)
	v_sub_nc_u32_e32 v21, v20, v21
	v_cmpx_eq_u32_e64 v9, v21
	s_cbranch_execz .LBB241_8
; %bb.30:                               ;   in Loop: Header=BB241_10 Depth=1
	v_lshrrev_b32_e32 v19, 26, v19
	v_lshlrev_b32_e32 v20, 2, v20
	s_delay_alu instid0(VALU_DEP_2) | instskip(NEXT) | instid1(VALU_DEP_2)
	v_add_nc_u32_e32 v19, v18, v19
	v_sub_nc_u32_e32 v18, v18, v20
	s_delay_alu instid0(VALU_DEP_2) | instskip(NEXT) | instid1(VALU_DEP_1)
	v_ashrrev_i32_e32 v19, 6, v19
	v_lshl_add_u32 v18, v19, 2, v18
	s_delay_alu instid0(VALU_DEP_1) | instskip(NEXT) | instid1(VALU_DEP_1)
	v_cmp_ne_u32_e64 s0, 3, v18
	v_cndmask_b32_e64 v7, 0xc61c4000, v7, s0
	v_cmp_ne_u32_e64 s0, 2, v18
	s_delay_alu instid0(VALU_DEP_1) | instskip(SKIP_1) | instid1(VALU_DEP_1)
	v_cndmask_b32_e64 v6, 0xc61c4000, v6, s0
	v_cmp_ne_u32_e64 s0, 1, v18
	v_cndmask_b32_e64 v5, 0xc61c4000, v5, s0
	v_cmp_ne_u32_e64 s0, 0, v18
	s_delay_alu instid0(VALU_DEP_1)
	v_cndmask_b32_e64 v4, 0xc61c4000, v4, s0
	s_branch .LBB241_8
.LBB241_31:
                                        ; implicit-def: $vgpr4_vgpr5_vgpr6_vgpr7
	s_and_not1_b32 vcc_lo, exec_lo, s8
	s_cbranch_vccz .LBB241_5
	s_branch .LBB241_6
.LBB241_32:
	v_mov_b32_e32 v11, 0
.LBB241_33:
	v_cmp_eq_u32_e64 s0, 0, v9
	s_delay_alu instid0(VALU_DEP_1) | instskip(NEXT) | instid1(SALU_CYCLE_1)
	s_and_b32 s0, s0, vcc_lo
	s_and_b32 exec_lo, exec_lo, s0
	s_cbranch_execz .LBB241_37
; %bb.34:
	s_and_not1_b32 vcc_lo, exec_lo, s3
	s_cbranch_vccnz .LBB241_37
; %bb.35:
	v_mul_lo_u32 v0, v8, s4
	v_cmp_lt_f32_e32 vcc_lo, 0, v11
	v_cndmask_b32_e32 v2, 1.0, v11, vcc_lo
	s_delay_alu instid0(VALU_DEP_3) | instskip(NEXT) | instid1(VALU_DEP_1)
	v_ashrrev_i32_e32 v1, 31, v0
	v_lshlrev_b64 v[0:1], 2, v[0:1]
	s_delay_alu instid0(VALU_DEP_1) | instskip(NEXT) | instid1(VALU_DEP_2)
	v_add_co_u32 v0, vcc_lo, s12, v0
	v_add_co_ci_u32_e32 v1, vcc_lo, s13, v1, vcc_lo
	.p2align	6
.LBB241_36:                             ; =>This Inner Loop Header: Depth=1
	global_load_b32 v3, v[0:1], off
	s_add_i32 s4, s4, -1
	s_delay_alu instid0(SALU_CYCLE_1) | instskip(SKIP_3) | instid1(VALU_DEP_2)
	s_cmp_lg_u32 s4, 0
	s_waitcnt vmcnt(0)
	v_div_scale_f32 v4, null, v2, v2, v3
	v_div_scale_f32 v7, vcc_lo, v3, v2, v3
	v_rcp_f32_e32 v5, v4
	s_waitcnt_depctr 0xfff
	v_fma_f32 v6, -v4, v5, 1.0
	s_delay_alu instid0(VALU_DEP_1) | instskip(NEXT) | instid1(VALU_DEP_1)
	v_fmac_f32_e32 v5, v6, v5
	v_mul_f32_e32 v6, v7, v5
	s_delay_alu instid0(VALU_DEP_1) | instskip(NEXT) | instid1(VALU_DEP_1)
	v_fma_f32 v8, -v4, v6, v7
	v_fmac_f32_e32 v6, v8, v5
	s_delay_alu instid0(VALU_DEP_1) | instskip(NEXT) | instid1(VALU_DEP_1)
	v_fma_f32 v4, -v4, v6, v7
	v_div_fmas_f32 v4, v4, v5, v6
	s_delay_alu instid0(VALU_DEP_1)
	v_div_fixup_f32 v3, v4, v2, v3
	global_store_b32 v[0:1], v3, off
	v_add_co_u32 v0, vcc_lo, v0, 4
	v_add_co_ci_u32_e32 v1, vcc_lo, 0, v1, vcc_lo
	s_cbranch_scc1 .LBB241_36
.LBB241_37:
	s_nop 0
	s_sendmsg sendmsg(MSG_DEALLOC_VGPRS)
	s_endpgm
	.section	.rodata,"a",@progbits
	.p2align	6, 0x0
	.amdhsa_kernel _ZN4vllm3moe10topkGatingILi4ELi64ELi4ELi16ELi64ElfLNS0_11ScoringFuncE1EEEvPKT5_PKbPfiPT4_PiiiibPKf
		.amdhsa_group_segment_fixed_size 0
		.amdhsa_private_segment_fixed_size 0
		.amdhsa_kernarg_size 72
		.amdhsa_user_sgpr_count 15
		.amdhsa_user_sgpr_dispatch_ptr 0
		.amdhsa_user_sgpr_queue_ptr 0
		.amdhsa_user_sgpr_kernarg_segment_ptr 1
		.amdhsa_user_sgpr_dispatch_id 0
		.amdhsa_user_sgpr_private_segment_size 0
		.amdhsa_wavefront_size32 1
		.amdhsa_uses_dynamic_stack 0
		.amdhsa_enable_private_segment 0
		.amdhsa_system_sgpr_workgroup_id_x 1
		.amdhsa_system_sgpr_workgroup_id_y 0
		.amdhsa_system_sgpr_workgroup_id_z 0
		.amdhsa_system_sgpr_workgroup_info 0
		.amdhsa_system_vgpr_workitem_id 1
		.amdhsa_next_free_vgpr 29
		.amdhsa_next_free_sgpr 18
		.amdhsa_reserve_vcc 1
		.amdhsa_float_round_mode_32 0
		.amdhsa_float_round_mode_16_64 0
		.amdhsa_float_denorm_mode_32 3
		.amdhsa_float_denorm_mode_16_64 3
		.amdhsa_dx10_clamp 1
		.amdhsa_ieee_mode 1
		.amdhsa_fp16_overflow 0
		.amdhsa_workgroup_processor_mode 1
		.amdhsa_memory_ordered 1
		.amdhsa_forward_progress 0
		.amdhsa_shared_vgpr_count 0
		.amdhsa_exception_fp_ieee_invalid_op 0
		.amdhsa_exception_fp_denorm_src 0
		.amdhsa_exception_fp_ieee_div_zero 0
		.amdhsa_exception_fp_ieee_overflow 0
		.amdhsa_exception_fp_ieee_underflow 0
		.amdhsa_exception_fp_ieee_inexact 0
		.amdhsa_exception_int_div_zero 0
	.end_amdhsa_kernel
	.section	.text._ZN4vllm3moe10topkGatingILi4ELi64ELi4ELi16ELi64ElfLNS0_11ScoringFuncE1EEEvPKT5_PKbPfiPT4_PiiiibPKf,"axG",@progbits,_ZN4vllm3moe10topkGatingILi4ELi64ELi4ELi16ELi64ElfLNS0_11ScoringFuncE1EEEvPKT5_PKbPfiPT4_PiiiibPKf,comdat
.Lfunc_end241:
	.size	_ZN4vllm3moe10topkGatingILi4ELi64ELi4ELi16ELi64ElfLNS0_11ScoringFuncE1EEEvPKT5_PKbPfiPT4_PiiiibPKf, .Lfunc_end241-_ZN4vllm3moe10topkGatingILi4ELi64ELi4ELi16ELi64ElfLNS0_11ScoringFuncE1EEEvPKT5_PKbPfiPT4_PiiiibPKf
                                        ; -- End function
	.section	.AMDGPU.csdata,"",@progbits
; Kernel info:
; codeLenInByte = 2364
; NumSgprs: 20
; NumVgprs: 29
; ScratchSize: 0
; MemoryBound: 0
; FloatMode: 240
; IeeeMode: 1
; LDSByteSize: 0 bytes/workgroup (compile time only)
; SGPRBlocks: 2
; VGPRBlocks: 3
; NumSGPRsForWavesPerEU: 20
; NumVGPRsForWavesPerEU: 29
; Occupancy: 16
; WaveLimiterHint : 0
; COMPUTE_PGM_RSRC2:SCRATCH_EN: 0
; COMPUTE_PGM_RSRC2:USER_SGPR: 15
; COMPUTE_PGM_RSRC2:TRAP_HANDLER: 0
; COMPUTE_PGM_RSRC2:TGID_X_EN: 1
; COMPUTE_PGM_RSRC2:TGID_Y_EN: 0
; COMPUTE_PGM_RSRC2:TGID_Z_EN: 0
; COMPUTE_PGM_RSRC2:TIDIG_COMP_CNT: 1
	.section	.text._ZN4vllm3moe10topkGatingILi4ELi64ELi4ELi16ELi32ElfLNS0_11ScoringFuncE1EEEvPKT5_PKbPfiPT4_PiiiibPKf,"axG",@progbits,_ZN4vllm3moe10topkGatingILi4ELi64ELi4ELi16ELi32ElfLNS0_11ScoringFuncE1EEEvPKT5_PKbPfiPT4_PiiiibPKf,comdat
	.protected	_ZN4vllm3moe10topkGatingILi4ELi64ELi4ELi16ELi32ElfLNS0_11ScoringFuncE1EEEvPKT5_PKbPfiPT4_PiiiibPKf ; -- Begin function _ZN4vllm3moe10topkGatingILi4ELi64ELi4ELi16ELi32ElfLNS0_11ScoringFuncE1EEEvPKT5_PKbPfiPT4_PiiiibPKf
	.globl	_ZN4vllm3moe10topkGatingILi4ELi64ELi4ELi16ELi32ElfLNS0_11ScoringFuncE1EEEvPKT5_PKbPfiPT4_PiiiibPKf
	.p2align	8
	.type	_ZN4vllm3moe10topkGatingILi4ELi64ELi4ELi16ELi32ElfLNS0_11ScoringFuncE1EEEvPKT5_PKbPfiPT4_PiiiibPKf,@function
_ZN4vllm3moe10topkGatingILi4ELi64ELi4ELi16ELi32ElfLNS0_11ScoringFuncE1EEEvPKT5_PKbPfiPT4_PiiiibPKf: ; @_ZN4vllm3moe10topkGatingILi4ELi64ELi4ELi16ELi32ElfLNS0_11ScoringFuncE1EEEvPKT5_PKbPfiPT4_PiiiibPKf
; %bb.0:
	s_load_b32 s14, s[0:1], 0x18
	v_bfe_u32 v1, v0, 10, 10
	v_and_b32_e32 v0, 0x3ff, v0
	s_lshl_b32 s2, s15, 3
	s_delay_alu instid0(VALU_DEP_2) | instskip(NEXT) | instid1(VALU_DEP_2)
	v_lshlrev_b32_e32 v1, 1, v1
	v_lshrrev_b32_e32 v2, 4, v0
	s_delay_alu instid0(VALU_DEP_1) | instskip(SKIP_2) | instid1(VALU_DEP_1)
	v_add3_u32 v8, s2, v1, v2
	s_mov_b32 s2, exec_lo
	s_waitcnt lgkmcnt(0)
	v_cmpx_gt_i32_e64 s14, v8
	s_cbranch_execz .LBB242_37
; %bb.1:
	s_clause 0x1
	s_load_b128 s[4:7], s[0:1], 0x0
	s_load_b64 s[12:13], s[0:1], 0x10
	s_mov_b32 s8, -1
	s_mov_b32 s15, -1
	s_waitcnt lgkmcnt(0)
	s_cmp_eq_u64 s[6:7], 0
	s_cbranch_scc1 .LBB242_3
; %bb.2:
	v_ashrrev_i32_e32 v2, 31, v8
	v_add_co_u32 v1, vcc_lo, s6, v8
	s_delay_alu instid0(VALU_DEP_2) | instskip(SKIP_3) | instid1(VALU_DEP_1)
	v_add_co_ci_u32_e32 v2, vcc_lo, s7, v2, vcc_lo
	global_load_u8 v1, v[1:2], off
	s_waitcnt vmcnt(0)
	v_and_b32_e32 v1, 1, v1
	v_cmp_eq_u32_e32 vcc_lo, 1, v1
	s_xor_b32 s2, vcc_lo, -1
	s_delay_alu instid0(SALU_CYCLE_1)
	s_or_not1_b32 s15, s2, exec_lo
.LBB242_3:
	v_lshlrev_b32_e32 v1, 6, v8
	v_and_b32_e32 v9, 15, v0
	s_load_b64 s[6:7], s[0:1], 0x40
	s_delay_alu instid0(VALU_DEP_2) | instskip(NEXT) | instid1(VALU_DEP_1)
	v_ashrrev_i32_e32 v2, 31, v1
	v_lshlrev_b64 v[0:1], 2, v[1:2]
	s_delay_alu instid0(VALU_DEP_3) | instskip(NEXT) | instid1(VALU_DEP_2)
	v_lshlrev_b32_e32 v2, 4, v9
	v_add_co_u32 v0, vcc_lo, s4, v0
	s_delay_alu instid0(VALU_DEP_3) | instskip(NEXT) | instid1(VALU_DEP_2)
	v_add_co_ci_u32_e32 v1, vcc_lo, s5, v1, vcc_lo
	v_add_co_u32 v0, vcc_lo, v0, v2
	s_delay_alu instid0(VALU_DEP_2)
	v_add_co_ci_u32_e32 v1, vcc_lo, 0, v1, vcc_lo
	s_waitcnt lgkmcnt(0)
	s_cmp_eq_u64 s[6:7], 0
	global_load_b128 v[0:3], v[0:1], off
	s_waitcnt vmcnt(0)
	v_dual_mul_f32 v3, 0xbfb8aa3b, v3 :: v_dual_mul_f32 v0, 0xbfb8aa3b, v0
	v_dual_mul_f32 v1, 0xbfb8aa3b, v1 :: v_dual_mul_f32 v2, 0xbfb8aa3b, v2
	s_delay_alu instid0(VALU_DEP_2) | instskip(NEXT) | instid1(VALU_DEP_2)
	v_exp_f32_e32 v3, v3
	v_exp_f32_e32 v0, v0
	s_delay_alu instid0(VALU_DEP_1) | instskip(NEXT) | instid1(VALU_DEP_1)
	v_exp_f32_e32 v1, v1
	v_exp_f32_e32 v2, v2
	s_waitcnt_depctr 0xfff
	v_dual_add_f32 v0, 1.0, v0 :: v_dual_add_f32 v1, 1.0, v1
	v_add_f32_e32 v2, 1.0, v2
	s_delay_alu instid0(VALU_DEP_2) | instskip(NEXT) | instid1(VALU_DEP_3)
	v_div_scale_f32 v4, null, v0, v0, 1.0
	v_div_scale_f32 v5, null, v1, v1, 1.0
	s_delay_alu instid0(VALU_DEP_3) | instskip(NEXT) | instid1(VALU_DEP_3)
	v_div_scale_f32 v6, null, v2, v2, 1.0
	v_rcp_f32_e32 v11, v4
	s_delay_alu instid0(VALU_DEP_2) | instskip(SKIP_1) | instid1(VALU_DEP_2)
	v_rcp_f32_e32 v12, v5
	v_div_scale_f32 v15, vcc_lo, 1.0, v0, 1.0
	v_rcp_f32_e32 v13, v6
	v_div_scale_f32 v16, s2, 1.0, v1, 1.0
	v_div_scale_f32 v17, s3, 1.0, v2, 1.0
	s_delay_alu instid0(TRANS32_DEP_3) | instskip(SKIP_4) | instid1(VALU_DEP_3)
	v_fma_f32 v10, -v4, v11, 1.0
	s_waitcnt_depctr 0xfff
	v_fma_f32 v18, -v5, v12, 1.0
	v_add_f32_e32 v3, 1.0, v3
	v_fma_f32 v19, -v6, v13, 1.0
	v_fmac_f32_e32 v12, v18, v12
	s_delay_alu instid0(VALU_DEP_3) | instskip(SKIP_1) | instid1(VALU_DEP_2)
	v_div_scale_f32 v7, null, v3, v3, 1.0
	v_div_scale_f32 v21, s4, 1.0, v3, 1.0
	v_rcp_f32_e32 v14, v7
	s_waitcnt_depctr 0xfff
	v_fma_f32 v20, -v7, v14, 1.0
	s_delay_alu instid0(VALU_DEP_1) | instskip(NEXT) | instid1(VALU_DEP_1)
	v_dual_fmac_f32 v11, v10, v11 :: v_dual_fmac_f32 v14, v20, v14
	v_mul_f32_e32 v18, v15, v11
	v_fmac_f32_e32 v13, v19, v13
	s_delay_alu instid0(VALU_DEP_3) | instskip(NEXT) | instid1(VALU_DEP_3)
	v_dual_mul_f32 v19, v16, v12 :: v_dual_mul_f32 v22, v21, v14
	v_fma_f32 v10, -v4, v18, v15
	s_delay_alu instid0(VALU_DEP_2) | instskip(NEXT) | instid1(VALU_DEP_4)
	v_fma_f32 v23, -v5, v19, v16
	v_mul_f32_e32 v20, v17, v13
	s_delay_alu instid0(VALU_DEP_4) | instskip(NEXT) | instid1(VALU_DEP_4)
	v_fma_f32 v25, -v7, v22, v21
	v_fmac_f32_e32 v18, v10, v11
	s_delay_alu instid0(VALU_DEP_4) | instskip(NEXT) | instid1(VALU_DEP_4)
	v_dual_fmac_f32 v19, v23, v12 :: v_dual_lshlrev_b32 v10, 2, v9
	v_fma_f32 v24, -v6, v20, v17
	s_delay_alu instid0(VALU_DEP_4) | instskip(NEXT) | instid1(VALU_DEP_4)
	v_fmac_f32_e32 v22, v25, v14
	v_fma_f32 v4, -v4, v18, v15
	s_delay_alu instid0(VALU_DEP_4) | instskip(NEXT) | instid1(VALU_DEP_4)
	v_fma_f32 v5, -v5, v19, v16
	v_fmac_f32_e32 v20, v24, v13
	s_delay_alu instid0(VALU_DEP_4) | instskip(NEXT) | instid1(VALU_DEP_4)
	v_fma_f32 v7, -v7, v22, v21
	v_div_fmas_f32 v4, v4, v11, v18
	s_mov_b32 vcc_lo, s2
	s_delay_alu instid0(VALU_DEP_3) | instskip(SKIP_1) | instid1(VALU_DEP_3)
	v_fma_f32 v6, -v6, v20, v17
	v_div_fmas_f32 v5, v5, v12, v19
	v_div_fixup_f32 v0, v4, v0, 1.0
	s_mov_b32 vcc_lo, s3
	s_delay_alu instid0(VALU_DEP_3)
	v_div_fmas_f32 v6, v6, v13, v20
	s_mov_b32 vcc_lo, s4
	v_div_fixup_f32 v1, v5, v1, 1.0
	v_div_fmas_f32 v4, v7, v14, v22
	v_cmp_class_f32_e64 vcc_lo, v0, 0x1f8
	v_div_fixup_f32 v2, v6, v2, 1.0
	s_delay_alu instid0(VALU_DEP_3)
	v_div_fixup_f32 v3, v4, v3, 1.0
	v_cndmask_b32_e32 v0, 0, v0, vcc_lo
	v_cmp_class_f32_e64 vcc_lo, v1, 0x1f8
	v_cndmask_b32_e32 v1, 0, v1, vcc_lo
	v_cmp_class_f32_e64 vcc_lo, v2, 0x1f8
	;; [unrolled: 2-line block ×3, first 2 shown]
	v_cndmask_b32_e32 v3, 0, v3, vcc_lo
	s_cbranch_scc1 .LBB242_31
; %bb.4:
	v_lshlrev_b32_e32 v4, 2, v10
	global_load_b128 v[4:7], v4, s[6:7]
	s_waitcnt vmcnt(0)
	v_dual_add_f32 v5, v5, v1 :: v_dual_add_f32 v4, v4, v0
	v_dual_add_f32 v7, v7, v3 :: v_dual_add_f32 v6, v6, v2
	s_cbranch_execnz .LBB242_6
.LBB242_5:
	v_dual_mov_b32 v7, v3 :: v_dual_mov_b32 v6, v2
	v_dual_mov_b32 v5, v1 :: v_dual_mov_b32 v4, v0
.LBB242_6:
	s_load_b128 s[4:7], s[0:1], 0x30
	v_cmp_eq_u32_e64 s2, 0, v9
	s_waitcnt lgkmcnt(0)
	s_bitcmp1_b32 s7, 0
	s_mov_b32 s7, 0
	s_cselect_b32 vcc_lo, -1, 0
	s_cmp_gt_i32 s4, 0
	s_cselect_b32 s3, -1, 0
	s_cmp_lt_i32 s4, 1
	s_cbranch_scc1 .LBB242_32
; %bb.7:
	v_mbcnt_lo_u32_b32 v11, -1, 0
	s_load_b128 s[8:11], s[0:1], 0x20
	s_delay_alu instid0(VALU_DEP_1)
	v_dual_mov_b32 v17, v8 :: v_dual_and_b32 v12, 16, v11
	v_xor_b32_e32 v13, 8, v11
	v_xor_b32_e32 v14, 4, v11
	;; [unrolled: 1-line block ×4, first 2 shown]
	v_add_nc_u32_e32 v12, 16, v12
	s_delay_alu instid0(VALU_DEP_1) | instskip(NEXT) | instid1(VALU_DEP_1)
	v_cmp_lt_i32_e64 s0, v13, v12
	v_cndmask_b32_e64 v13, v11, v13, s0
	v_cmp_lt_i32_e64 s0, v14, v12
	s_delay_alu instid0(VALU_DEP_2) | instskip(NEXT) | instid1(VALU_DEP_2)
	v_lshlrev_b32_e32 v13, 2, v13
	v_cndmask_b32_e64 v14, v11, v14, s0
	v_cmp_lt_i32_e64 s0, v15, v12
	s_delay_alu instid0(VALU_DEP_2) | instskip(NEXT) | instid1(VALU_DEP_2)
	v_lshlrev_b32_e32 v14, 2, v14
	v_cndmask_b32_e64 v15, v11, v15, s0
	v_cmp_lt_i32_e64 s0, v16, v12
	v_mul_lo_u32 v12, v8, s4
	s_delay_alu instid0(VALU_DEP_3) | instskip(NEXT) | instid1(VALU_DEP_3)
	v_lshlrev_b32_e32 v15, 2, v15
	v_cndmask_b32_e64 v11, v11, v16, s0
	s_delay_alu instid0(VALU_DEP_1)
	v_dual_mov_b32 v11, 0 :: v_dual_lshlrev_b32 v16, 2, v11
	s_branch .LBB242_10
.LBB242_8:                              ;   in Loop: Header=BB242_10 Depth=1
	s_or_b32 exec_lo, exec_lo, s1
.LBB242_9:                              ;   in Loop: Header=BB242_10 Depth=1
	v_add_nc_u32_e32 v17, s14, v17
	s_cmp_eq_u32 s4, s7
	s_cbranch_scc1 .LBB242_33
.LBB242_10:                             ; =>This Inner Loop Header: Depth=1
	v_cmp_gt_f32_e64 s0, v5, v4
	s_mov_b32 s17, exec_lo
	s_delay_alu instid0(VALU_DEP_1) | instskip(SKIP_2) | instid1(VALU_DEP_3)
	v_cndmask_b32_e64 v19, v4, v5, s0
	v_cndmask_b32_e64 v18, 0, 1, s0
	;; [unrolled: 1-line block ×3, first 2 shown]
	v_cmp_gt_f32_e64 s1, v6, v19
	s_delay_alu instid0(VALU_DEP_1) | instskip(NEXT) | instid1(VALU_DEP_4)
	v_cndmask_b32_e64 v19, v19, v6, s1
	v_cndmask_b32_e64 v18, v18, 2, s1
	s_waitcnt lgkmcnt(0)
	v_cndmask_b32_e64 v21, v20, v2, s1
	s_delay_alu instid0(VALU_DEP_3) | instskip(NEXT) | instid1(VALU_DEP_1)
	v_cmp_gt_f32_e64 s0, v7, v19
	v_cndmask_b32_e64 v18, v18, 3, s0
	v_cndmask_b32_e64 v20, v19, v7, s0
	s_delay_alu instid0(VALU_DEP_4) | instskip(NEXT) | instid1(VALU_DEP_3)
	v_cndmask_b32_e64 v19, v21, v3, s0
	v_or_b32_e32 v18, v10, v18
	ds_bpermute_b32 v21, v13, v20
	ds_bpermute_b32 v23, v13, v19
	;; [unrolled: 1-line block ×3, first 2 shown]
	s_waitcnt lgkmcnt(0)
	v_cmp_lt_f32_e64 s16, v20, v21
	v_cmpx_nlt_f32_e32 v20, v21
; %bb.11:                               ;   in Loop: Header=BB242_10 Depth=1
	v_cmp_eq_f32_e64 s0, v20, v21
	v_cmp_lt_i32_e64 s1, v22, v18
	s_delay_alu instid0(VALU_DEP_1) | instskip(SKIP_2) | instid1(SALU_CYCLE_1)
	s_and_b32 s0, s0, s1
	s_and_not1_b32 s1, s16, exec_lo
	s_and_b32 s0, s0, exec_lo
	s_or_b32 s16, s1, s0
; %bb.12:                               ;   in Loop: Header=BB242_10 Depth=1
	s_or_b32 exec_lo, exec_lo, s17
	s_and_saveexec_b32 s0, s16
; %bb.13:                               ;   in Loop: Header=BB242_10 Depth=1
	v_dual_mov_b32 v19, v23 :: v_dual_mov_b32 v20, v21
	v_mov_b32_e32 v18, v22
; %bb.14:                               ;   in Loop: Header=BB242_10 Depth=1
	s_or_b32 exec_lo, exec_lo, s0
	ds_bpermute_b32 v21, v14, v20
	ds_bpermute_b32 v23, v14, v19
	;; [unrolled: 1-line block ×3, first 2 shown]
	s_mov_b32 s17, exec_lo
	s_waitcnt lgkmcnt(2)
	v_cmp_lt_f32_e64 s16, v20, v21
	v_cmpx_nlt_f32_e32 v20, v21
	s_cbranch_execz .LBB242_16
; %bb.15:                               ;   in Loop: Header=BB242_10 Depth=1
	v_cmp_eq_f32_e64 s0, v20, v21
	s_waitcnt lgkmcnt(0)
	v_cmp_lt_i32_e64 s1, v22, v18
	s_delay_alu instid0(VALU_DEP_1) | instskip(SKIP_2) | instid1(SALU_CYCLE_1)
	s_and_b32 s0, s0, s1
	s_and_not1_b32 s1, s16, exec_lo
	s_and_b32 s0, s0, exec_lo
	s_or_b32 s16, s1, s0
.LBB242_16:                             ;   in Loop: Header=BB242_10 Depth=1
	s_or_b32 exec_lo, exec_lo, s17
	s_delay_alu instid0(VALU_DEP_2)
	s_and_saveexec_b32 s0, s16
	s_cbranch_execz .LBB242_18
; %bb.17:                               ;   in Loop: Header=BB242_10 Depth=1
	s_waitcnt lgkmcnt(1)
	v_dual_mov_b32 v19, v23 :: v_dual_mov_b32 v20, v21
	s_waitcnt lgkmcnt(0)
	v_mov_b32_e32 v18, v22
.LBB242_18:                             ;   in Loop: Header=BB242_10 Depth=1
	s_or_b32 exec_lo, exec_lo, s0
	ds_bpermute_b32 v21, v15, v20
	s_waitcnt lgkmcnt(2)
	ds_bpermute_b32 v23, v15, v19
	s_waitcnt lgkmcnt(2)
	ds_bpermute_b32 v22, v15, v18
	s_mov_b32 s17, exec_lo
	s_waitcnt lgkmcnt(2)
	v_cmp_lt_f32_e64 s16, v20, v21
	v_cmpx_nlt_f32_e32 v20, v21
	s_cbranch_execz .LBB242_20
; %bb.19:                               ;   in Loop: Header=BB242_10 Depth=1
	v_cmp_eq_f32_e64 s0, v20, v21
	s_waitcnt lgkmcnt(0)
	v_cmp_lt_i32_e64 s1, v22, v18
	s_delay_alu instid0(VALU_DEP_1) | instskip(SKIP_2) | instid1(SALU_CYCLE_1)
	s_and_b32 s0, s0, s1
	s_and_not1_b32 s1, s16, exec_lo
	s_and_b32 s0, s0, exec_lo
	s_or_b32 s16, s1, s0
.LBB242_20:                             ;   in Loop: Header=BB242_10 Depth=1
	s_or_b32 exec_lo, exec_lo, s17
	s_delay_alu instid0(VALU_DEP_2)
	s_and_saveexec_b32 s0, s16
	s_cbranch_execz .LBB242_22
; %bb.21:                               ;   in Loop: Header=BB242_10 Depth=1
	s_waitcnt lgkmcnt(1)
	v_dual_mov_b32 v19, v23 :: v_dual_mov_b32 v20, v21
	s_waitcnt lgkmcnt(0)
	v_mov_b32_e32 v18, v22
.LBB242_22:                             ;   in Loop: Header=BB242_10 Depth=1
	s_or_b32 exec_lo, exec_lo, s0
	s_waitcnt lgkmcnt(1)
	ds_bpermute_b32 v23, v16, v20
	ds_bpermute_b32 v21, v16, v19
	s_waitcnt lgkmcnt(2)
	ds_bpermute_b32 v22, v16, v18
	s_mov_b32 s17, exec_lo
	s_waitcnt lgkmcnt(2)
	v_cmp_lt_f32_e64 s16, v20, v23
	v_cmpx_nlt_f32_e32 v20, v23
	s_cbranch_execnz .LBB242_26
; %bb.23:                               ;   in Loop: Header=BB242_10 Depth=1
	s_or_b32 exec_lo, exec_lo, s17
	s_delay_alu instid0(VALU_DEP_2)
	s_and_saveexec_b32 s0, s16
	s_cbranch_execnz .LBB242_27
.LBB242_24:                             ;   in Loop: Header=BB242_10 Depth=1
	s_or_b32 exec_lo, exec_lo, s0
	s_and_saveexec_b32 s16, s2
	s_cbranch_execnz .LBB242_28
.LBB242_25:                             ;   in Loop: Header=BB242_10 Depth=1
	s_or_b32 exec_lo, exec_lo, s16
	s_add_i32 s7, s7, 1
	s_delay_alu instid0(SALU_CYCLE_1)
	s_cmp_ge_i32 s7, s4
	s_cbranch_scc1 .LBB242_9
	s_branch .LBB242_29
.LBB242_26:                             ;   in Loop: Header=BB242_10 Depth=1
	v_cmp_eq_f32_e64 s0, v20, v23
	s_waitcnt lgkmcnt(0)
	v_cmp_lt_i32_e64 s1, v22, v18
	s_delay_alu instid0(VALU_DEP_1) | instskip(SKIP_2) | instid1(SALU_CYCLE_1)
	s_and_b32 s0, s0, s1
	s_and_not1_b32 s1, s16, exec_lo
	s_and_b32 s0, s0, exec_lo
	s_or_b32 s16, s1, s0
	s_or_b32 exec_lo, exec_lo, s17
	s_and_saveexec_b32 s0, s16
	s_cbranch_execz .LBB242_24
.LBB242_27:                             ;   in Loop: Header=BB242_10 Depth=1
	s_waitcnt lgkmcnt(0)
	v_dual_mov_b32 v18, v22 :: v_dual_mov_b32 v19, v21
	s_or_b32 exec_lo, exec_lo, s0
	s_and_saveexec_b32 s16, s2
	s_cbranch_execz .LBB242_25
.LBB242_28:                             ;   in Loop: Header=BB242_10 Depth=1
	v_add_nc_u32_e32 v20, s7, v12
	v_subrev_nc_u32_e32 v24, s5, v18
	v_cmp_le_i32_e64 s0, s5, v18
	v_cmp_gt_i32_e64 s1, s6, v18
	v_add_f32_e32 v28, v11, v19
	s_waitcnt lgkmcnt(1)
	v_ashrrev_i32_e32 v21, 31, v20
	v_ashrrev_i32_e32 v25, 31, v24
	s_and_b32 s0, s0, s1
	v_cndmask_b32_e32 v11, v11, v28, vcc_lo
	s_waitcnt lgkmcnt(0)
	v_lshlrev_b64 v[22:23], 2, v[20:21]
	v_lshlrev_b64 v[20:21], 3, v[20:21]
	s_and_b32 s0, s15, s0
	s_delay_alu instid0(SALU_CYCLE_1) | instskip(SKIP_1) | instid1(VALU_DEP_4)
	v_cndmask_b32_e64 v25, 0, v25, s0
	v_cndmask_b32_e64 v24, 64, v24, s0
	v_add_co_u32 v26, s0, s12, v22
	s_delay_alu instid0(VALU_DEP_1) | instskip(SKIP_1) | instid1(VALU_DEP_1)
	v_add_co_ci_u32_e64 v27, s0, s13, v23, s0
	v_add_co_u32 v20, s0, s8, v20
	v_add_co_ci_u32_e64 v21, s0, s9, v21, s0
	v_add_co_u32 v22, s0, s10, v22
	s_delay_alu instid0(VALU_DEP_1)
	v_add_co_ci_u32_e64 v23, s0, s11, v23, s0
	global_store_b32 v[26:27], v19, off
	global_store_b64 v[20:21], v[24:25], off
	global_store_b32 v[22:23], v17, off
	s_or_b32 exec_lo, exec_lo, s16
	s_add_i32 s7, s7, 1
	s_delay_alu instid0(SALU_CYCLE_1)
	s_cmp_ge_i32 s7, s4
	s_cbranch_scc1 .LBB242_9
.LBB242_29:                             ;   in Loop: Header=BB242_10 Depth=1
	v_ashrrev_i32_e32 v19, 31, v18
	s_mov_b32 s1, exec_lo
	s_delay_alu instid0(VALU_DEP_1) | instskip(NEXT) | instid1(VALU_DEP_1)
	v_lshrrev_b32_e32 v20, 30, v19
	v_add_nc_u32_e32 v20, v18, v20
	s_waitcnt lgkmcnt(1)
	s_delay_alu instid0(VALU_DEP_1) | instskip(SKIP_1) | instid1(VALU_DEP_2)
	v_ashrrev_i32_e32 v21, 31, v20
	v_ashrrev_i32_e32 v20, 2, v20
	v_lshrrev_b32_e32 v21, 28, v21
	s_delay_alu instid0(VALU_DEP_1) | instskip(NEXT) | instid1(VALU_DEP_1)
	v_add_nc_u32_e32 v21, v20, v21
	v_and_b32_e32 v21, -16, v21
	s_delay_alu instid0(VALU_DEP_1) | instskip(NEXT) | instid1(VALU_DEP_1)
	v_sub_nc_u32_e32 v21, v20, v21
	v_cmpx_eq_u32_e64 v9, v21
	s_cbranch_execz .LBB242_8
; %bb.30:                               ;   in Loop: Header=BB242_10 Depth=1
	v_lshrrev_b32_e32 v19, 26, v19
	v_lshlrev_b32_e32 v20, 2, v20
	s_delay_alu instid0(VALU_DEP_2) | instskip(NEXT) | instid1(VALU_DEP_2)
	v_add_nc_u32_e32 v19, v18, v19
	v_sub_nc_u32_e32 v18, v18, v20
	s_delay_alu instid0(VALU_DEP_2) | instskip(NEXT) | instid1(VALU_DEP_1)
	v_ashrrev_i32_e32 v19, 6, v19
	v_lshl_add_u32 v18, v19, 2, v18
	s_delay_alu instid0(VALU_DEP_1) | instskip(NEXT) | instid1(VALU_DEP_1)
	v_cmp_ne_u32_e64 s0, 3, v18
	v_cndmask_b32_e64 v7, 0xc61c4000, v7, s0
	v_cmp_ne_u32_e64 s0, 2, v18
	s_delay_alu instid0(VALU_DEP_1) | instskip(SKIP_1) | instid1(VALU_DEP_1)
	v_cndmask_b32_e64 v6, 0xc61c4000, v6, s0
	v_cmp_ne_u32_e64 s0, 1, v18
	v_cndmask_b32_e64 v5, 0xc61c4000, v5, s0
	v_cmp_ne_u32_e64 s0, 0, v18
	s_delay_alu instid0(VALU_DEP_1)
	v_cndmask_b32_e64 v4, 0xc61c4000, v4, s0
	s_branch .LBB242_8
.LBB242_31:
                                        ; implicit-def: $vgpr4_vgpr5_vgpr6_vgpr7
	s_and_not1_b32 vcc_lo, exec_lo, s8
	s_cbranch_vccz .LBB242_5
	s_branch .LBB242_6
.LBB242_32:
	v_mov_b32_e32 v11, 0
.LBB242_33:
	v_cmp_eq_u32_e64 s0, 0, v9
	s_delay_alu instid0(VALU_DEP_1) | instskip(NEXT) | instid1(SALU_CYCLE_1)
	s_and_b32 s0, s0, vcc_lo
	s_and_b32 exec_lo, exec_lo, s0
	s_cbranch_execz .LBB242_37
; %bb.34:
	s_and_not1_b32 vcc_lo, exec_lo, s3
	s_cbranch_vccnz .LBB242_37
; %bb.35:
	v_mul_lo_u32 v0, v8, s4
	v_cmp_lt_f32_e32 vcc_lo, 0, v11
	v_cndmask_b32_e32 v2, 1.0, v11, vcc_lo
	s_delay_alu instid0(VALU_DEP_3) | instskip(NEXT) | instid1(VALU_DEP_1)
	v_ashrrev_i32_e32 v1, 31, v0
	v_lshlrev_b64 v[0:1], 2, v[0:1]
	s_delay_alu instid0(VALU_DEP_1) | instskip(NEXT) | instid1(VALU_DEP_2)
	v_add_co_u32 v0, vcc_lo, s12, v0
	v_add_co_ci_u32_e32 v1, vcc_lo, s13, v1, vcc_lo
	.p2align	6
.LBB242_36:                             ; =>This Inner Loop Header: Depth=1
	global_load_b32 v3, v[0:1], off
	s_add_i32 s4, s4, -1
	s_delay_alu instid0(SALU_CYCLE_1) | instskip(SKIP_3) | instid1(VALU_DEP_2)
	s_cmp_lg_u32 s4, 0
	s_waitcnt vmcnt(0)
	v_div_scale_f32 v4, null, v2, v2, v3
	v_div_scale_f32 v7, vcc_lo, v3, v2, v3
	v_rcp_f32_e32 v5, v4
	s_waitcnt_depctr 0xfff
	v_fma_f32 v6, -v4, v5, 1.0
	s_delay_alu instid0(VALU_DEP_1) | instskip(NEXT) | instid1(VALU_DEP_1)
	v_fmac_f32_e32 v5, v6, v5
	v_mul_f32_e32 v6, v7, v5
	s_delay_alu instid0(VALU_DEP_1) | instskip(NEXT) | instid1(VALU_DEP_1)
	v_fma_f32 v8, -v4, v6, v7
	v_fmac_f32_e32 v6, v8, v5
	s_delay_alu instid0(VALU_DEP_1) | instskip(NEXT) | instid1(VALU_DEP_1)
	v_fma_f32 v4, -v4, v6, v7
	v_div_fmas_f32 v4, v4, v5, v6
	s_delay_alu instid0(VALU_DEP_1)
	v_div_fixup_f32 v3, v4, v2, v3
	global_store_b32 v[0:1], v3, off
	v_add_co_u32 v0, vcc_lo, v0, 4
	v_add_co_ci_u32_e32 v1, vcc_lo, 0, v1, vcc_lo
	s_cbranch_scc1 .LBB242_36
.LBB242_37:
	s_nop 0
	s_sendmsg sendmsg(MSG_DEALLOC_VGPRS)
	s_endpgm
	.section	.rodata,"a",@progbits
	.p2align	6, 0x0
	.amdhsa_kernel _ZN4vllm3moe10topkGatingILi4ELi64ELi4ELi16ELi32ElfLNS0_11ScoringFuncE1EEEvPKT5_PKbPfiPT4_PiiiibPKf
		.amdhsa_group_segment_fixed_size 0
		.amdhsa_private_segment_fixed_size 0
		.amdhsa_kernarg_size 72
		.amdhsa_user_sgpr_count 15
		.amdhsa_user_sgpr_dispatch_ptr 0
		.amdhsa_user_sgpr_queue_ptr 0
		.amdhsa_user_sgpr_kernarg_segment_ptr 1
		.amdhsa_user_sgpr_dispatch_id 0
		.amdhsa_user_sgpr_private_segment_size 0
		.amdhsa_wavefront_size32 1
		.amdhsa_uses_dynamic_stack 0
		.amdhsa_enable_private_segment 0
		.amdhsa_system_sgpr_workgroup_id_x 1
		.amdhsa_system_sgpr_workgroup_id_y 0
		.amdhsa_system_sgpr_workgroup_id_z 0
		.amdhsa_system_sgpr_workgroup_info 0
		.amdhsa_system_vgpr_workitem_id 1
		.amdhsa_next_free_vgpr 29
		.amdhsa_next_free_sgpr 18
		.amdhsa_reserve_vcc 1
		.amdhsa_float_round_mode_32 0
		.amdhsa_float_round_mode_16_64 0
		.amdhsa_float_denorm_mode_32 3
		.amdhsa_float_denorm_mode_16_64 3
		.amdhsa_dx10_clamp 1
		.amdhsa_ieee_mode 1
		.amdhsa_fp16_overflow 0
		.amdhsa_workgroup_processor_mode 1
		.amdhsa_memory_ordered 1
		.amdhsa_forward_progress 0
		.amdhsa_shared_vgpr_count 0
		.amdhsa_exception_fp_ieee_invalid_op 0
		.amdhsa_exception_fp_denorm_src 0
		.amdhsa_exception_fp_ieee_div_zero 0
		.amdhsa_exception_fp_ieee_overflow 0
		.amdhsa_exception_fp_ieee_underflow 0
		.amdhsa_exception_fp_ieee_inexact 0
		.amdhsa_exception_int_div_zero 0
	.end_amdhsa_kernel
	.section	.text._ZN4vllm3moe10topkGatingILi4ELi64ELi4ELi16ELi32ElfLNS0_11ScoringFuncE1EEEvPKT5_PKbPfiPT4_PiiiibPKf,"axG",@progbits,_ZN4vllm3moe10topkGatingILi4ELi64ELi4ELi16ELi32ElfLNS0_11ScoringFuncE1EEEvPKT5_PKbPfiPT4_PiiiibPKf,comdat
.Lfunc_end242:
	.size	_ZN4vllm3moe10topkGatingILi4ELi64ELi4ELi16ELi32ElfLNS0_11ScoringFuncE1EEEvPKT5_PKbPfiPT4_PiiiibPKf, .Lfunc_end242-_ZN4vllm3moe10topkGatingILi4ELi64ELi4ELi16ELi32ElfLNS0_11ScoringFuncE1EEEvPKT5_PKbPfiPT4_PiiiibPKf
                                        ; -- End function
	.section	.AMDGPU.csdata,"",@progbits
; Kernel info:
; codeLenInByte = 2364
; NumSgprs: 20
; NumVgprs: 29
; ScratchSize: 0
; MemoryBound: 0
; FloatMode: 240
; IeeeMode: 1
; LDSByteSize: 0 bytes/workgroup (compile time only)
; SGPRBlocks: 2
; VGPRBlocks: 3
; NumSGPRsForWavesPerEU: 20
; NumVGPRsForWavesPerEU: 29
; Occupancy: 16
; WaveLimiterHint : 0
; COMPUTE_PGM_RSRC2:SCRATCH_EN: 0
; COMPUTE_PGM_RSRC2:USER_SGPR: 15
; COMPUTE_PGM_RSRC2:TRAP_HANDLER: 0
; COMPUTE_PGM_RSRC2:TGID_X_EN: 1
; COMPUTE_PGM_RSRC2:TGID_Y_EN: 0
; COMPUTE_PGM_RSRC2:TGID_Z_EN: 0
; COMPUTE_PGM_RSRC2:TIDIG_COMP_CNT: 1
	.section	.text._ZN4vllm3moe10topkGatingILi4ELi128ELi4ELi16ELi64ElfLNS0_11ScoringFuncE1EEEvPKT5_PKbPfiPT4_PiiiibPKf,"axG",@progbits,_ZN4vllm3moe10topkGatingILi4ELi128ELi4ELi16ELi64ElfLNS0_11ScoringFuncE1EEEvPKT5_PKbPfiPT4_PiiiibPKf,comdat
	.protected	_ZN4vllm3moe10topkGatingILi4ELi128ELi4ELi16ELi64ElfLNS0_11ScoringFuncE1EEEvPKT5_PKbPfiPT4_PiiiibPKf ; -- Begin function _ZN4vllm3moe10topkGatingILi4ELi128ELi4ELi16ELi64ElfLNS0_11ScoringFuncE1EEEvPKT5_PKbPfiPT4_PiiiibPKf
	.globl	_ZN4vllm3moe10topkGatingILi4ELi128ELi4ELi16ELi64ElfLNS0_11ScoringFuncE1EEEvPKT5_PKbPfiPT4_PiiiibPKf
	.p2align	8
	.type	_ZN4vllm3moe10topkGatingILi4ELi128ELi4ELi16ELi64ElfLNS0_11ScoringFuncE1EEEvPKT5_PKbPfiPT4_PiiiibPKf,@function
_ZN4vllm3moe10topkGatingILi4ELi128ELi4ELi16ELi64ElfLNS0_11ScoringFuncE1EEEvPKT5_PKbPfiPT4_PiiiibPKf: ; @_ZN4vllm3moe10topkGatingILi4ELi128ELi4ELi16ELi64ElfLNS0_11ScoringFuncE1EEEvPKT5_PKbPfiPT4_PiiiibPKf
; %bb.0:
	s_load_b32 s14, s[0:1], 0x18
	v_bfe_u32 v1, v0, 10, 10
	v_and_b32_e32 v0, 0x3ff, v0
	s_lshl_b32 s2, s15, 3
	s_delay_alu instid0(VALU_DEP_2) | instskip(NEXT) | instid1(VALU_DEP_2)
	v_lshlrev_b32_e32 v1, 1, v1
	v_lshrrev_b32_e32 v2, 5, v0
	s_delay_alu instid0(VALU_DEP_1) | instskip(SKIP_2) | instid1(VALU_DEP_1)
	v_add3_u32 v8, s2, v1, v2
	s_mov_b32 s2, exec_lo
	s_waitcnt lgkmcnt(0)
	v_cmpx_gt_i32_e64 s14, v8
	s_cbranch_execz .LBB243_41
; %bb.1:
	s_clause 0x1
	s_load_b128 s[4:7], s[0:1], 0x0
	s_load_b64 s[12:13], s[0:1], 0x10
	s_mov_b32 s8, -1
	s_mov_b32 s15, -1
	s_waitcnt lgkmcnt(0)
	s_cmp_eq_u64 s[6:7], 0
	s_cbranch_scc1 .LBB243_3
; %bb.2:
	v_ashrrev_i32_e32 v2, 31, v8
	v_add_co_u32 v1, vcc_lo, s6, v8
	s_delay_alu instid0(VALU_DEP_2) | instskip(SKIP_3) | instid1(VALU_DEP_1)
	v_add_co_ci_u32_e32 v2, vcc_lo, s7, v2, vcc_lo
	global_load_u8 v1, v[1:2], off
	s_waitcnt vmcnt(0)
	v_and_b32_e32 v1, 1, v1
	v_cmp_eq_u32_e32 vcc_lo, 1, v1
	s_xor_b32 s2, vcc_lo, -1
	s_delay_alu instid0(SALU_CYCLE_1)
	s_or_not1_b32 s15, s2, exec_lo
.LBB243_3:
	v_lshlrev_b32_e32 v1, 7, v8
	v_and_b32_e32 v9, 31, v0
	s_load_b64 s[6:7], s[0:1], 0x40
	s_delay_alu instid0(VALU_DEP_2) | instskip(NEXT) | instid1(VALU_DEP_1)
	v_ashrrev_i32_e32 v2, 31, v1
	v_lshlrev_b64 v[0:1], 2, v[1:2]
	s_delay_alu instid0(VALU_DEP_3) | instskip(NEXT) | instid1(VALU_DEP_2)
	v_lshlrev_b32_e32 v2, 4, v9
	v_add_co_u32 v0, vcc_lo, s4, v0
	s_delay_alu instid0(VALU_DEP_3) | instskip(NEXT) | instid1(VALU_DEP_2)
	v_add_co_ci_u32_e32 v1, vcc_lo, s5, v1, vcc_lo
	v_add_co_u32 v0, vcc_lo, v0, v2
	s_delay_alu instid0(VALU_DEP_2)
	v_add_co_ci_u32_e32 v1, vcc_lo, 0, v1, vcc_lo
	s_waitcnt lgkmcnt(0)
	s_cmp_eq_u64 s[6:7], 0
	global_load_b128 v[0:3], v[0:1], off
	s_waitcnt vmcnt(0)
	v_dual_mul_f32 v3, 0xbfb8aa3b, v3 :: v_dual_mul_f32 v0, 0xbfb8aa3b, v0
	v_dual_mul_f32 v1, 0xbfb8aa3b, v1 :: v_dual_mul_f32 v2, 0xbfb8aa3b, v2
	s_delay_alu instid0(VALU_DEP_2) | instskip(NEXT) | instid1(VALU_DEP_2)
	v_exp_f32_e32 v3, v3
	v_exp_f32_e32 v0, v0
	s_delay_alu instid0(VALU_DEP_1) | instskip(NEXT) | instid1(VALU_DEP_1)
	v_exp_f32_e32 v1, v1
	v_exp_f32_e32 v2, v2
	s_waitcnt_depctr 0xfff
	v_dual_add_f32 v0, 1.0, v0 :: v_dual_add_f32 v1, 1.0, v1
	v_add_f32_e32 v2, 1.0, v2
	s_delay_alu instid0(VALU_DEP_2) | instskip(NEXT) | instid1(VALU_DEP_3)
	v_div_scale_f32 v4, null, v0, v0, 1.0
	v_div_scale_f32 v5, null, v1, v1, 1.0
	s_delay_alu instid0(VALU_DEP_3) | instskip(NEXT) | instid1(VALU_DEP_3)
	v_div_scale_f32 v6, null, v2, v2, 1.0
	v_rcp_f32_e32 v11, v4
	s_delay_alu instid0(VALU_DEP_2) | instskip(SKIP_1) | instid1(VALU_DEP_2)
	v_rcp_f32_e32 v12, v5
	v_div_scale_f32 v15, vcc_lo, 1.0, v0, 1.0
	v_rcp_f32_e32 v13, v6
	v_div_scale_f32 v16, s2, 1.0, v1, 1.0
	v_div_scale_f32 v17, s3, 1.0, v2, 1.0
	s_delay_alu instid0(TRANS32_DEP_3) | instskip(SKIP_4) | instid1(VALU_DEP_3)
	v_fma_f32 v10, -v4, v11, 1.0
	s_waitcnt_depctr 0xfff
	v_fma_f32 v18, -v5, v12, 1.0
	v_add_f32_e32 v3, 1.0, v3
	v_fma_f32 v19, -v6, v13, 1.0
	v_fmac_f32_e32 v12, v18, v12
	s_delay_alu instid0(VALU_DEP_3) | instskip(SKIP_1) | instid1(VALU_DEP_2)
	v_div_scale_f32 v7, null, v3, v3, 1.0
	v_div_scale_f32 v21, s4, 1.0, v3, 1.0
	v_rcp_f32_e32 v14, v7
	s_waitcnt_depctr 0xfff
	v_fma_f32 v20, -v7, v14, 1.0
	s_delay_alu instid0(VALU_DEP_1) | instskip(NEXT) | instid1(VALU_DEP_1)
	v_dual_fmac_f32 v11, v10, v11 :: v_dual_fmac_f32 v14, v20, v14
	v_mul_f32_e32 v18, v15, v11
	v_fmac_f32_e32 v13, v19, v13
	s_delay_alu instid0(VALU_DEP_3) | instskip(NEXT) | instid1(VALU_DEP_3)
	v_dual_mul_f32 v19, v16, v12 :: v_dual_mul_f32 v22, v21, v14
	v_fma_f32 v10, -v4, v18, v15
	s_delay_alu instid0(VALU_DEP_2) | instskip(NEXT) | instid1(VALU_DEP_4)
	v_fma_f32 v23, -v5, v19, v16
	v_mul_f32_e32 v20, v17, v13
	s_delay_alu instid0(VALU_DEP_4) | instskip(NEXT) | instid1(VALU_DEP_4)
	v_fma_f32 v25, -v7, v22, v21
	v_fmac_f32_e32 v18, v10, v11
	s_delay_alu instid0(VALU_DEP_4) | instskip(NEXT) | instid1(VALU_DEP_4)
	v_dual_fmac_f32 v19, v23, v12 :: v_dual_lshlrev_b32 v10, 2, v9
	v_fma_f32 v24, -v6, v20, v17
	s_delay_alu instid0(VALU_DEP_4) | instskip(NEXT) | instid1(VALU_DEP_4)
	v_fmac_f32_e32 v22, v25, v14
	v_fma_f32 v4, -v4, v18, v15
	s_delay_alu instid0(VALU_DEP_4) | instskip(NEXT) | instid1(VALU_DEP_4)
	v_fma_f32 v5, -v5, v19, v16
	v_fmac_f32_e32 v20, v24, v13
	s_delay_alu instid0(VALU_DEP_4) | instskip(NEXT) | instid1(VALU_DEP_4)
	v_fma_f32 v7, -v7, v22, v21
	v_div_fmas_f32 v4, v4, v11, v18
	s_mov_b32 vcc_lo, s2
	s_delay_alu instid0(VALU_DEP_3) | instskip(SKIP_1) | instid1(VALU_DEP_3)
	v_fma_f32 v6, -v6, v20, v17
	v_div_fmas_f32 v5, v5, v12, v19
	v_div_fixup_f32 v0, v4, v0, 1.0
	s_mov_b32 vcc_lo, s3
	s_delay_alu instid0(VALU_DEP_3)
	v_div_fmas_f32 v6, v6, v13, v20
	s_mov_b32 vcc_lo, s4
	v_div_fixup_f32 v1, v5, v1, 1.0
	v_div_fmas_f32 v4, v7, v14, v22
	v_cmp_class_f32_e64 vcc_lo, v0, 0x1f8
	v_div_fixup_f32 v2, v6, v2, 1.0
	s_delay_alu instid0(VALU_DEP_3)
	v_div_fixup_f32 v3, v4, v3, 1.0
	v_cndmask_b32_e32 v0, 0, v0, vcc_lo
	v_cmp_class_f32_e64 vcc_lo, v1, 0x1f8
	v_cndmask_b32_e32 v1, 0, v1, vcc_lo
	v_cmp_class_f32_e64 vcc_lo, v2, 0x1f8
	;; [unrolled: 2-line block ×3, first 2 shown]
	v_cndmask_b32_e32 v3, 0, v3, vcc_lo
	s_cbranch_scc1 .LBB243_35
; %bb.4:
	v_lshlrev_b32_e32 v4, 2, v10
	global_load_b128 v[4:7], v4, s[6:7]
	s_waitcnt vmcnt(0)
	v_dual_add_f32 v5, v5, v1 :: v_dual_add_f32 v4, v4, v0
	v_dual_add_f32 v7, v7, v3 :: v_dual_add_f32 v6, v6, v2
	s_cbranch_execnz .LBB243_6
.LBB243_5:
	v_dual_mov_b32 v7, v3 :: v_dual_mov_b32 v6, v2
	v_dual_mov_b32 v5, v1 :: v_dual_mov_b32 v4, v0
.LBB243_6:
	s_load_b128 s[4:7], s[0:1], 0x30
	v_cmp_eq_u32_e64 s2, 0, v9
	s_waitcnt lgkmcnt(0)
	s_bitcmp1_b32 s7, 0
	s_mov_b32 s7, 0
	s_cselect_b32 vcc_lo, -1, 0
	s_cmp_gt_i32 s4, 0
	s_cselect_b32 s3, -1, 0
	s_cmp_lt_i32 s4, 1
	s_cbranch_scc1 .LBB243_36
; %bb.7:
	v_mbcnt_lo_u32_b32 v12, -1, 0
	s_load_b128 s[8:11], s[0:1], 0x20
	v_mul_lo_u32 v11, v8, s4
	v_mov_b32_e32 v18, v8
	s_delay_alu instid0(VALU_DEP_3)
	v_xor_b32_e32 v13, 16, v12
	v_xor_b32_e32 v14, 8, v12
	;; [unrolled: 1-line block ×5, first 2 shown]
	v_cmp_gt_i32_e64 s0, 32, v13
	s_delay_alu instid0(VALU_DEP_1) | instskip(SKIP_1) | instid1(VALU_DEP_2)
	v_cndmask_b32_e64 v13, v12, v13, s0
	v_cmp_gt_i32_e64 s0, 32, v14
	v_lshlrev_b32_e32 v13, 2, v13
	s_delay_alu instid0(VALU_DEP_2) | instskip(SKIP_1) | instid1(VALU_DEP_2)
	v_cndmask_b32_e64 v14, v12, v14, s0
	v_cmp_gt_i32_e64 s0, 32, v15
	v_lshlrev_b32_e32 v14, 2, v14
	s_delay_alu instid0(VALU_DEP_2) | instskip(SKIP_1) | instid1(VALU_DEP_2)
	v_cndmask_b32_e64 v15, v12, v15, s0
	v_cmp_gt_i32_e64 s0, 32, v16
	v_lshlrev_b32_e32 v15, 2, v15
	s_delay_alu instid0(VALU_DEP_2) | instskip(SKIP_1) | instid1(VALU_DEP_2)
	v_cndmask_b32_e64 v16, v12, v16, s0
	v_cmp_gt_i32_e64 s0, 32, v17
	v_lshlrev_b32_e32 v16, 2, v16
	s_delay_alu instid0(VALU_DEP_2) | instskip(NEXT) | instid1(VALU_DEP_1)
	v_cndmask_b32_e64 v12, v12, v17, s0
	v_dual_mov_b32 v12, 0 :: v_dual_lshlrev_b32 v17, 2, v12
	s_branch .LBB243_10
.LBB243_8:                              ;   in Loop: Header=BB243_10 Depth=1
	s_or_b32 exec_lo, exec_lo, s1
.LBB243_9:                              ;   in Loop: Header=BB243_10 Depth=1
	v_add_nc_u32_e32 v18, s14, v18
	s_cmp_eq_u32 s4, s7
	s_cbranch_scc1 .LBB243_37
.LBB243_10:                             ; =>This Inner Loop Header: Depth=1
	v_cmp_gt_f32_e64 s0, v5, v4
	s_mov_b32 s17, exec_lo
	s_delay_alu instid0(VALU_DEP_1) | instskip(SKIP_2) | instid1(VALU_DEP_3)
	v_cndmask_b32_e64 v20, v4, v5, s0
	v_cndmask_b32_e64 v19, 0, 1, s0
	v_cndmask_b32_e64 v21, v0, v1, s0
	v_cmp_gt_f32_e64 s1, v6, v20
	s_delay_alu instid0(VALU_DEP_1) | instskip(NEXT) | instid1(VALU_DEP_4)
	v_cndmask_b32_e64 v20, v20, v6, s1
	v_cndmask_b32_e64 v19, v19, 2, s1
	s_waitcnt lgkmcnt(0)
	v_cndmask_b32_e64 v22, v21, v2, s1
	s_delay_alu instid0(VALU_DEP_3) | instskip(NEXT) | instid1(VALU_DEP_1)
	v_cmp_gt_f32_e64 s0, v7, v20
	v_cndmask_b32_e64 v19, v19, 3, s0
	v_cndmask_b32_e64 v21, v20, v7, s0
	s_delay_alu instid0(VALU_DEP_4) | instskip(NEXT) | instid1(VALU_DEP_3)
	v_cndmask_b32_e64 v20, v22, v3, s0
	v_or_b32_e32 v19, v10, v19
	ds_bpermute_b32 v22, v13, v21
	ds_bpermute_b32 v24, v13, v20
	;; [unrolled: 1-line block ×3, first 2 shown]
	s_waitcnt lgkmcnt(0)
	v_cmp_lt_f32_e64 s16, v21, v22
	v_cmpx_nlt_f32_e32 v21, v22
; %bb.11:                               ;   in Loop: Header=BB243_10 Depth=1
	v_cmp_eq_f32_e64 s0, v21, v22
	v_cmp_lt_i32_e64 s1, v23, v19
	s_delay_alu instid0(VALU_DEP_1) | instskip(SKIP_2) | instid1(SALU_CYCLE_1)
	s_and_b32 s0, s0, s1
	s_and_not1_b32 s1, s16, exec_lo
	s_and_b32 s0, s0, exec_lo
	s_or_b32 s16, s1, s0
; %bb.12:                               ;   in Loop: Header=BB243_10 Depth=1
	s_or_b32 exec_lo, exec_lo, s17
	s_and_saveexec_b32 s0, s16
; %bb.13:                               ;   in Loop: Header=BB243_10 Depth=1
	v_dual_mov_b32 v20, v24 :: v_dual_mov_b32 v21, v22
	v_mov_b32_e32 v19, v23
; %bb.14:                               ;   in Loop: Header=BB243_10 Depth=1
	s_or_b32 exec_lo, exec_lo, s0
	ds_bpermute_b32 v22, v14, v21
	ds_bpermute_b32 v24, v14, v20
	;; [unrolled: 1-line block ×3, first 2 shown]
	s_mov_b32 s17, exec_lo
	s_waitcnt lgkmcnt(2)
	v_cmp_lt_f32_e64 s16, v21, v22
	v_cmpx_nlt_f32_e32 v21, v22
	s_cbranch_execz .LBB243_16
; %bb.15:                               ;   in Loop: Header=BB243_10 Depth=1
	v_cmp_eq_f32_e64 s0, v21, v22
	s_waitcnt lgkmcnt(0)
	v_cmp_lt_i32_e64 s1, v23, v19
	s_delay_alu instid0(VALU_DEP_1) | instskip(SKIP_2) | instid1(SALU_CYCLE_1)
	s_and_b32 s0, s0, s1
	s_and_not1_b32 s1, s16, exec_lo
	s_and_b32 s0, s0, exec_lo
	s_or_b32 s16, s1, s0
.LBB243_16:                             ;   in Loop: Header=BB243_10 Depth=1
	s_or_b32 exec_lo, exec_lo, s17
	s_delay_alu instid0(VALU_DEP_2)
	s_and_saveexec_b32 s0, s16
	s_cbranch_execz .LBB243_18
; %bb.17:                               ;   in Loop: Header=BB243_10 Depth=1
	s_waitcnt lgkmcnt(1)
	v_dual_mov_b32 v20, v24 :: v_dual_mov_b32 v21, v22
	s_waitcnt lgkmcnt(0)
	v_mov_b32_e32 v19, v23
.LBB243_18:                             ;   in Loop: Header=BB243_10 Depth=1
	s_or_b32 exec_lo, exec_lo, s0
	ds_bpermute_b32 v22, v15, v21
	s_waitcnt lgkmcnt(2)
	ds_bpermute_b32 v24, v15, v20
	s_waitcnt lgkmcnt(2)
	ds_bpermute_b32 v23, v15, v19
	s_mov_b32 s17, exec_lo
	s_waitcnt lgkmcnt(2)
	v_cmp_lt_f32_e64 s16, v21, v22
	v_cmpx_nlt_f32_e32 v21, v22
	s_cbranch_execz .LBB243_20
; %bb.19:                               ;   in Loop: Header=BB243_10 Depth=1
	v_cmp_eq_f32_e64 s0, v21, v22
	s_waitcnt lgkmcnt(0)
	v_cmp_lt_i32_e64 s1, v23, v19
	s_delay_alu instid0(VALU_DEP_1) | instskip(SKIP_2) | instid1(SALU_CYCLE_1)
	s_and_b32 s0, s0, s1
	s_and_not1_b32 s1, s16, exec_lo
	s_and_b32 s0, s0, exec_lo
	s_or_b32 s16, s1, s0
.LBB243_20:                             ;   in Loop: Header=BB243_10 Depth=1
	s_or_b32 exec_lo, exec_lo, s17
	s_delay_alu instid0(VALU_DEP_2)
	s_and_saveexec_b32 s0, s16
	s_cbranch_execz .LBB243_22
; %bb.21:                               ;   in Loop: Header=BB243_10 Depth=1
	s_waitcnt lgkmcnt(1)
	v_dual_mov_b32 v20, v24 :: v_dual_mov_b32 v21, v22
	s_waitcnt lgkmcnt(0)
	v_mov_b32_e32 v19, v23
.LBB243_22:                             ;   in Loop: Header=BB243_10 Depth=1
	s_or_b32 exec_lo, exec_lo, s0
	ds_bpermute_b32 v22, v16, v21
	s_waitcnt lgkmcnt(2)
	ds_bpermute_b32 v24, v16, v20
	s_waitcnt lgkmcnt(2)
	ds_bpermute_b32 v23, v16, v19
	s_mov_b32 s17, exec_lo
	s_waitcnt lgkmcnt(2)
	v_cmp_lt_f32_e64 s16, v21, v22
	v_cmpx_nlt_f32_e32 v21, v22
	s_cbranch_execz .LBB243_24
; %bb.23:                               ;   in Loop: Header=BB243_10 Depth=1
	v_cmp_eq_f32_e64 s0, v21, v22
	s_waitcnt lgkmcnt(0)
	v_cmp_lt_i32_e64 s1, v23, v19
	s_delay_alu instid0(VALU_DEP_1) | instskip(SKIP_2) | instid1(SALU_CYCLE_1)
	s_and_b32 s0, s0, s1
	s_and_not1_b32 s1, s16, exec_lo
	s_and_b32 s0, s0, exec_lo
	s_or_b32 s16, s1, s0
.LBB243_24:                             ;   in Loop: Header=BB243_10 Depth=1
	s_or_b32 exec_lo, exec_lo, s17
	s_delay_alu instid0(VALU_DEP_2)
	s_and_saveexec_b32 s0, s16
	s_cbranch_execz .LBB243_26
; %bb.25:                               ;   in Loop: Header=BB243_10 Depth=1
	s_waitcnt lgkmcnt(1)
	v_dual_mov_b32 v20, v24 :: v_dual_mov_b32 v21, v22
	s_waitcnt lgkmcnt(0)
	v_mov_b32_e32 v19, v23
.LBB243_26:                             ;   in Loop: Header=BB243_10 Depth=1
	s_or_b32 exec_lo, exec_lo, s0
	s_waitcnt lgkmcnt(1)
	ds_bpermute_b32 v24, v17, v21
	ds_bpermute_b32 v22, v17, v20
	s_waitcnt lgkmcnt(2)
	ds_bpermute_b32 v23, v17, v19
	s_mov_b32 s17, exec_lo
	s_waitcnt lgkmcnt(2)
	v_cmp_lt_f32_e64 s16, v21, v24
	v_cmpx_nlt_f32_e32 v21, v24
	s_cbranch_execnz .LBB243_30
; %bb.27:                               ;   in Loop: Header=BB243_10 Depth=1
	s_or_b32 exec_lo, exec_lo, s17
	s_delay_alu instid0(VALU_DEP_2)
	s_and_saveexec_b32 s0, s16
	s_cbranch_execnz .LBB243_31
.LBB243_28:                             ;   in Loop: Header=BB243_10 Depth=1
	s_or_b32 exec_lo, exec_lo, s0
	s_and_saveexec_b32 s16, s2
	s_cbranch_execnz .LBB243_32
.LBB243_29:                             ;   in Loop: Header=BB243_10 Depth=1
	s_or_b32 exec_lo, exec_lo, s16
	s_add_i32 s7, s7, 1
	s_delay_alu instid0(SALU_CYCLE_1)
	s_cmp_ge_i32 s7, s4
	s_cbranch_scc1 .LBB243_9
	s_branch .LBB243_33
.LBB243_30:                             ;   in Loop: Header=BB243_10 Depth=1
	v_cmp_eq_f32_e64 s0, v21, v24
	s_waitcnt lgkmcnt(0)
	v_cmp_lt_i32_e64 s1, v23, v19
	s_delay_alu instid0(VALU_DEP_1) | instskip(SKIP_2) | instid1(SALU_CYCLE_1)
	s_and_b32 s0, s0, s1
	s_and_not1_b32 s1, s16, exec_lo
	s_and_b32 s0, s0, exec_lo
	s_or_b32 s16, s1, s0
	s_or_b32 exec_lo, exec_lo, s17
	s_and_saveexec_b32 s0, s16
	s_cbranch_execz .LBB243_28
.LBB243_31:                             ;   in Loop: Header=BB243_10 Depth=1
	s_waitcnt lgkmcnt(0)
	v_dual_mov_b32 v19, v23 :: v_dual_mov_b32 v20, v22
	s_or_b32 exec_lo, exec_lo, s0
	s_and_saveexec_b32 s16, s2
	s_cbranch_execz .LBB243_29
.LBB243_32:                             ;   in Loop: Header=BB243_10 Depth=1
	s_delay_alu instid0(VALU_DEP_1)
	v_add_f32_e32 v29, v12, v20
	v_add_nc_u32_e32 v21, s7, v11
	v_subrev_nc_u32_e32 v25, s5, v19
	v_cmp_le_i32_e64 s0, s5, v19
	v_cmp_gt_i32_e64 s1, s6, v19
	v_cndmask_b32_e32 v12, v12, v29, vcc_lo
	s_waitcnt lgkmcnt(1)
	v_ashrrev_i32_e32 v22, 31, v21
	v_ashrrev_i32_e32 v26, 31, v25
	s_and_b32 s0, s0, s1
	s_waitcnt lgkmcnt(0)
	s_delay_alu instid0(VALU_DEP_2) | instskip(SKIP_2) | instid1(SALU_CYCLE_1)
	v_lshlrev_b64 v[23:24], 2, v[21:22]
	v_lshlrev_b64 v[21:22], 3, v[21:22]
	s_and_b32 s0, s15, s0
	v_cndmask_b32_e64 v26, 0, v26, s0
	v_cndmask_b32_e64 v25, 0x80, v25, s0
	s_delay_alu instid0(VALU_DEP_4) | instskip(NEXT) | instid1(VALU_DEP_1)
	v_add_co_u32 v27, s0, s12, v23
	v_add_co_ci_u32_e64 v28, s0, s13, v24, s0
	v_add_co_u32 v21, s0, s8, v21
	s_delay_alu instid0(VALU_DEP_1) | instskip(SKIP_1) | instid1(VALU_DEP_1)
	v_add_co_ci_u32_e64 v22, s0, s9, v22, s0
	v_add_co_u32 v23, s0, s10, v23
	v_add_co_ci_u32_e64 v24, s0, s11, v24, s0
	global_store_b32 v[27:28], v20, off
	global_store_b64 v[21:22], v[25:26], off
	global_store_b32 v[23:24], v18, off
	s_or_b32 exec_lo, exec_lo, s16
	s_add_i32 s7, s7, 1
	s_delay_alu instid0(SALU_CYCLE_1)
	s_cmp_ge_i32 s7, s4
	s_cbranch_scc1 .LBB243_9
.LBB243_33:                             ;   in Loop: Header=BB243_10 Depth=1
	v_ashrrev_i32_e32 v20, 31, v19
	s_mov_b32 s1, exec_lo
	s_delay_alu instid0(VALU_DEP_1) | instskip(NEXT) | instid1(VALU_DEP_1)
	v_lshrrev_b32_e32 v21, 30, v20
	v_add_nc_u32_e32 v21, v19, v21
	s_waitcnt lgkmcnt(1)
	s_delay_alu instid0(VALU_DEP_1) | instskip(SKIP_1) | instid1(VALU_DEP_2)
	v_ashrrev_i32_e32 v22, 31, v21
	v_ashrrev_i32_e32 v21, 2, v21
	v_lshrrev_b32_e32 v22, 27, v22
	s_delay_alu instid0(VALU_DEP_1) | instskip(NEXT) | instid1(VALU_DEP_1)
	v_add_nc_u32_e32 v22, v21, v22
	v_and_b32_e32 v22, 0xffffffe0, v22
	s_delay_alu instid0(VALU_DEP_1) | instskip(NEXT) | instid1(VALU_DEP_1)
	v_sub_nc_u32_e32 v22, v21, v22
	v_cmpx_eq_u32_e64 v9, v22
	s_cbranch_execz .LBB243_8
; %bb.34:                               ;   in Loop: Header=BB243_10 Depth=1
	v_lshrrev_b32_e32 v20, 25, v20
	v_lshlrev_b32_e32 v21, 2, v21
	s_delay_alu instid0(VALU_DEP_2) | instskip(NEXT) | instid1(VALU_DEP_2)
	v_add_nc_u32_e32 v20, v19, v20
	v_sub_nc_u32_e32 v19, v19, v21
	s_delay_alu instid0(VALU_DEP_2) | instskip(NEXT) | instid1(VALU_DEP_1)
	v_ashrrev_i32_e32 v20, 7, v20
	v_lshl_add_u32 v19, v20, 2, v19
	s_delay_alu instid0(VALU_DEP_1) | instskip(NEXT) | instid1(VALU_DEP_1)
	v_cmp_ne_u32_e64 s0, 3, v19
	v_cndmask_b32_e64 v7, 0xc61c4000, v7, s0
	v_cmp_ne_u32_e64 s0, 2, v19
	s_delay_alu instid0(VALU_DEP_1) | instskip(SKIP_1) | instid1(VALU_DEP_1)
	v_cndmask_b32_e64 v6, 0xc61c4000, v6, s0
	v_cmp_ne_u32_e64 s0, 1, v19
	v_cndmask_b32_e64 v5, 0xc61c4000, v5, s0
	v_cmp_ne_u32_e64 s0, 0, v19
	s_delay_alu instid0(VALU_DEP_1)
	v_cndmask_b32_e64 v4, 0xc61c4000, v4, s0
	s_branch .LBB243_8
.LBB243_35:
                                        ; implicit-def: $vgpr4_vgpr5_vgpr6_vgpr7
	s_and_not1_b32 vcc_lo, exec_lo, s8
	s_cbranch_vccz .LBB243_5
	s_branch .LBB243_6
.LBB243_36:
	v_mov_b32_e32 v12, 0
.LBB243_37:
	v_cmp_eq_u32_e64 s0, 0, v9
	s_delay_alu instid0(VALU_DEP_1) | instskip(NEXT) | instid1(SALU_CYCLE_1)
	s_and_b32 s0, s0, vcc_lo
	s_and_b32 exec_lo, exec_lo, s0
	s_cbranch_execz .LBB243_41
; %bb.38:
	s_and_not1_b32 vcc_lo, exec_lo, s3
	s_cbranch_vccnz .LBB243_41
; %bb.39:
	v_mul_lo_u32 v0, v8, s4
	v_cmp_lt_f32_e32 vcc_lo, 0, v12
	v_cndmask_b32_e32 v2, 1.0, v12, vcc_lo
	s_delay_alu instid0(VALU_DEP_3) | instskip(NEXT) | instid1(VALU_DEP_1)
	v_ashrrev_i32_e32 v1, 31, v0
	v_lshlrev_b64 v[0:1], 2, v[0:1]
	s_delay_alu instid0(VALU_DEP_1) | instskip(NEXT) | instid1(VALU_DEP_2)
	v_add_co_u32 v0, vcc_lo, s12, v0
	v_add_co_ci_u32_e32 v1, vcc_lo, s13, v1, vcc_lo
	.p2align	6
.LBB243_40:                             ; =>This Inner Loop Header: Depth=1
	global_load_b32 v3, v[0:1], off
	s_add_i32 s4, s4, -1
	s_delay_alu instid0(SALU_CYCLE_1) | instskip(SKIP_3) | instid1(VALU_DEP_2)
	s_cmp_lg_u32 s4, 0
	s_waitcnt vmcnt(0)
	v_div_scale_f32 v4, null, v2, v2, v3
	v_div_scale_f32 v7, vcc_lo, v3, v2, v3
	v_rcp_f32_e32 v5, v4
	s_waitcnt_depctr 0xfff
	v_fma_f32 v6, -v4, v5, 1.0
	s_delay_alu instid0(VALU_DEP_1) | instskip(NEXT) | instid1(VALU_DEP_1)
	v_fmac_f32_e32 v5, v6, v5
	v_mul_f32_e32 v6, v7, v5
	s_delay_alu instid0(VALU_DEP_1) | instskip(NEXT) | instid1(VALU_DEP_1)
	v_fma_f32 v8, -v4, v6, v7
	v_fmac_f32_e32 v6, v8, v5
	s_delay_alu instid0(VALU_DEP_1) | instskip(NEXT) | instid1(VALU_DEP_1)
	v_fma_f32 v4, -v4, v6, v7
	v_div_fmas_f32 v4, v4, v5, v6
	s_delay_alu instid0(VALU_DEP_1)
	v_div_fixup_f32 v3, v4, v2, v3
	global_store_b32 v[0:1], v3, off
	v_add_co_u32 v0, vcc_lo, v0, 4
	v_add_co_ci_u32_e32 v1, vcc_lo, 0, v1, vcc_lo
	s_cbranch_scc1 .LBB243_40
.LBB243_41:
	s_nop 0
	s_sendmsg sendmsg(MSG_DEALLOC_VGPRS)
	s_endpgm
	.section	.rodata,"a",@progbits
	.p2align	6, 0x0
	.amdhsa_kernel _ZN4vllm3moe10topkGatingILi4ELi128ELi4ELi16ELi64ElfLNS0_11ScoringFuncE1EEEvPKT5_PKbPfiPT4_PiiiibPKf
		.amdhsa_group_segment_fixed_size 0
		.amdhsa_private_segment_fixed_size 0
		.amdhsa_kernarg_size 72
		.amdhsa_user_sgpr_count 15
		.amdhsa_user_sgpr_dispatch_ptr 0
		.amdhsa_user_sgpr_queue_ptr 0
		.amdhsa_user_sgpr_kernarg_segment_ptr 1
		.amdhsa_user_sgpr_dispatch_id 0
		.amdhsa_user_sgpr_private_segment_size 0
		.amdhsa_wavefront_size32 1
		.amdhsa_uses_dynamic_stack 0
		.amdhsa_enable_private_segment 0
		.amdhsa_system_sgpr_workgroup_id_x 1
		.amdhsa_system_sgpr_workgroup_id_y 0
		.amdhsa_system_sgpr_workgroup_id_z 0
		.amdhsa_system_sgpr_workgroup_info 0
		.amdhsa_system_vgpr_workitem_id 1
		.amdhsa_next_free_vgpr 30
		.amdhsa_next_free_sgpr 18
		.amdhsa_reserve_vcc 1
		.amdhsa_float_round_mode_32 0
		.amdhsa_float_round_mode_16_64 0
		.amdhsa_float_denorm_mode_32 3
		.amdhsa_float_denorm_mode_16_64 3
		.amdhsa_dx10_clamp 1
		.amdhsa_ieee_mode 1
		.amdhsa_fp16_overflow 0
		.amdhsa_workgroup_processor_mode 1
		.amdhsa_memory_ordered 1
		.amdhsa_forward_progress 0
		.amdhsa_shared_vgpr_count 0
		.amdhsa_exception_fp_ieee_invalid_op 0
		.amdhsa_exception_fp_denorm_src 0
		.amdhsa_exception_fp_ieee_div_zero 0
		.amdhsa_exception_fp_ieee_overflow 0
		.amdhsa_exception_fp_ieee_underflow 0
		.amdhsa_exception_fp_ieee_inexact 0
		.amdhsa_exception_int_div_zero 0
	.end_amdhsa_kernel
	.section	.text._ZN4vllm3moe10topkGatingILi4ELi128ELi4ELi16ELi64ElfLNS0_11ScoringFuncE1EEEvPKT5_PKbPfiPT4_PiiiibPKf,"axG",@progbits,_ZN4vllm3moe10topkGatingILi4ELi128ELi4ELi16ELi64ElfLNS0_11ScoringFuncE1EEEvPKT5_PKbPfiPT4_PiiiibPKf,comdat
.Lfunc_end243:
	.size	_ZN4vllm3moe10topkGatingILi4ELi128ELi4ELi16ELi64ElfLNS0_11ScoringFuncE1EEEvPKT5_PKbPfiPT4_PiiiibPKf, .Lfunc_end243-_ZN4vllm3moe10topkGatingILi4ELi128ELi4ELi16ELi64ElfLNS0_11ScoringFuncE1EEEvPKT5_PKbPfiPT4_PiiiibPKf
                                        ; -- End function
	.section	.AMDGPU.csdata,"",@progbits
; Kernel info:
; codeLenInByte = 2528
; NumSgprs: 20
; NumVgprs: 30
; ScratchSize: 0
; MemoryBound: 0
; FloatMode: 240
; IeeeMode: 1
; LDSByteSize: 0 bytes/workgroup (compile time only)
; SGPRBlocks: 2
; VGPRBlocks: 3
; NumSGPRsForWavesPerEU: 20
; NumVGPRsForWavesPerEU: 30
; Occupancy: 16
; WaveLimiterHint : 0
; COMPUTE_PGM_RSRC2:SCRATCH_EN: 0
; COMPUTE_PGM_RSRC2:USER_SGPR: 15
; COMPUTE_PGM_RSRC2:TRAP_HANDLER: 0
; COMPUTE_PGM_RSRC2:TGID_X_EN: 1
; COMPUTE_PGM_RSRC2:TGID_Y_EN: 0
; COMPUTE_PGM_RSRC2:TGID_Z_EN: 0
; COMPUTE_PGM_RSRC2:TIDIG_COMP_CNT: 1
	.section	.text._ZN4vllm3moe10topkGatingILi4ELi128ELi4ELi16ELi32ElfLNS0_11ScoringFuncE1EEEvPKT5_PKbPfiPT4_PiiiibPKf,"axG",@progbits,_ZN4vllm3moe10topkGatingILi4ELi128ELi4ELi16ELi32ElfLNS0_11ScoringFuncE1EEEvPKT5_PKbPfiPT4_PiiiibPKf,comdat
	.protected	_ZN4vllm3moe10topkGatingILi4ELi128ELi4ELi16ELi32ElfLNS0_11ScoringFuncE1EEEvPKT5_PKbPfiPT4_PiiiibPKf ; -- Begin function _ZN4vllm3moe10topkGatingILi4ELi128ELi4ELi16ELi32ElfLNS0_11ScoringFuncE1EEEvPKT5_PKbPfiPT4_PiiiibPKf
	.globl	_ZN4vllm3moe10topkGatingILi4ELi128ELi4ELi16ELi32ElfLNS0_11ScoringFuncE1EEEvPKT5_PKbPfiPT4_PiiiibPKf
	.p2align	8
	.type	_ZN4vllm3moe10topkGatingILi4ELi128ELi4ELi16ELi32ElfLNS0_11ScoringFuncE1EEEvPKT5_PKbPfiPT4_PiiiibPKf,@function
_ZN4vllm3moe10topkGatingILi4ELi128ELi4ELi16ELi32ElfLNS0_11ScoringFuncE1EEEvPKT5_PKbPfiPT4_PiiiibPKf: ; @_ZN4vllm3moe10topkGatingILi4ELi128ELi4ELi16ELi32ElfLNS0_11ScoringFuncE1EEEvPKT5_PKbPfiPT4_PiiiibPKf
; %bb.0:
	s_load_b32 s14, s[0:1], 0x18
	v_and_b32_e32 v1, 0x3ff, v0
	v_bfe_u32 v0, v0, 10, 10
	s_lshl_b32 s2, s15, 2
	s_delay_alu instid0(VALU_DEP_2) | instskip(NEXT) | instid1(VALU_DEP_1)
	v_lshrrev_b32_e32 v2, 5, v1
	v_add3_u32 v8, s2, v0, v2
	s_mov_b32 s2, exec_lo
	s_waitcnt lgkmcnt(0)
	s_delay_alu instid0(VALU_DEP_1)
	v_cmpx_gt_i32_e64 s14, v8
	s_cbranch_execz .LBB244_41
; %bb.1:
	s_clause 0x1
	s_load_b128 s[4:7], s[0:1], 0x0
	s_load_b64 s[12:13], s[0:1], 0x10
	s_mov_b32 s8, -1
	s_mov_b32 s15, -1
	s_waitcnt lgkmcnt(0)
	s_cmp_eq_u64 s[6:7], 0
	s_cbranch_scc1 .LBB244_3
; %bb.2:
	v_ashrrev_i32_e32 v0, 31, v8
	v_add_co_u32 v2, vcc_lo, s6, v8
	s_delay_alu instid0(VALU_DEP_2) | instskip(SKIP_3) | instid1(VALU_DEP_1)
	v_add_co_ci_u32_e32 v3, vcc_lo, s7, v0, vcc_lo
	global_load_u8 v0, v[2:3], off
	s_waitcnt vmcnt(0)
	v_and_b32_e32 v0, 1, v0
	v_cmp_eq_u32_e32 vcc_lo, 1, v0
	s_xor_b32 s2, vcc_lo, -1
	s_delay_alu instid0(SALU_CYCLE_1)
	s_or_not1_b32 s15, s2, exec_lo
.LBB244_3:
	v_lshlrev_b32_e32 v2, 7, v8
	v_and_b32_e32 v9, 31, v1
	s_load_b64 s[6:7], s[0:1], 0x40
	s_delay_alu instid0(VALU_DEP_2) | instskip(NEXT) | instid1(VALU_DEP_1)
	v_ashrrev_i32_e32 v3, 31, v2
	v_lshlrev_b64 v[0:1], 2, v[2:3]
	s_delay_alu instid0(VALU_DEP_3) | instskip(NEXT) | instid1(VALU_DEP_2)
	v_lshlrev_b32_e32 v2, 4, v9
	v_add_co_u32 v0, vcc_lo, s4, v0
	s_delay_alu instid0(VALU_DEP_3) | instskip(NEXT) | instid1(VALU_DEP_2)
	v_add_co_ci_u32_e32 v1, vcc_lo, s5, v1, vcc_lo
	v_add_co_u32 v0, vcc_lo, v0, v2
	s_delay_alu instid0(VALU_DEP_2)
	v_add_co_ci_u32_e32 v1, vcc_lo, 0, v1, vcc_lo
	s_waitcnt lgkmcnt(0)
	s_cmp_eq_u64 s[6:7], 0
	global_load_b128 v[0:3], v[0:1], off
	s_waitcnt vmcnt(0)
	v_dual_mul_f32 v3, 0xbfb8aa3b, v3 :: v_dual_mul_f32 v0, 0xbfb8aa3b, v0
	v_mul_f32_e32 v1, 0xbfb8aa3b, v1
	s_delay_alu instid0(VALU_DEP_2) | instskip(NEXT) | instid1(VALU_DEP_2)
	v_exp_f32_e32 v3, v3
	v_exp_f32_e32 v0, v0
	s_delay_alu instid0(VALU_DEP_1) | instskip(NEXT) | instid1(TRANS32_DEP_3)
	v_exp_f32_e32 v1, v1
	v_dual_mul_f32 v2, 0xbfb8aa3b, v2 :: v_dual_add_f32 v3, 1.0, v3
	s_waitcnt_depctr 0xfff
	v_dual_add_f32 v0, 1.0, v0 :: v_dual_add_f32 v1, 1.0, v1
	v_exp_f32_e32 v2, v2
	v_div_scale_f32 v7, null, v3, v3, 1.0
	s_delay_alu instid0(VALU_DEP_2) | instskip(NEXT) | instid1(VALU_DEP_3)
	v_div_scale_f32 v4, null, v0, v0, 1.0
	v_div_scale_f32 v5, null, v1, v1, 1.0
	v_div_scale_f32 v15, vcc_lo, 1.0, v0, 1.0
	s_delay_alu instid0(VALU_DEP_3) | instskip(NEXT) | instid1(VALU_DEP_2)
	v_rcp_f32_e32 v11, v4
	v_rcp_f32_e32 v12, v5
	;; [unrolled: 1-line block ×3, first 2 shown]
	v_div_scale_f32 v16, s2, 1.0, v1, 1.0
	v_div_scale_f32 v21, s4, 1.0, v3, 1.0
	s_delay_alu instid0(TRANS32_DEP_3)
	v_fma_f32 v10, -v4, v11, 1.0
	v_add_f32_e32 v2, 1.0, v2
	s_waitcnt_depctr 0xfff
	v_fma_f32 v18, -v5, v12, 1.0
	v_fma_f32 v20, -v7, v14, 1.0
	v_fmac_f32_e32 v11, v10, v11
	v_div_scale_f32 v6, null, v2, v2, 1.0
	v_div_scale_f32 v17, s3, 1.0, v2, 1.0
	s_delay_alu instid0(VALU_DEP_2) | instskip(SKIP_4) | instid1(VALU_DEP_3)
	v_rcp_f32_e32 v13, v6
	s_waitcnt_depctr 0xfff
	v_fma_f32 v19, -v6, v13, 1.0
	v_fmac_f32_e32 v12, v18, v12
	v_mul_f32_e32 v18, v15, v11
	v_fmac_f32_e32 v13, v19, v13
	s_delay_alu instid0(VALU_DEP_3) | instskip(NEXT) | instid1(VALU_DEP_3)
	v_mul_f32_e32 v19, v16, v12
	v_fma_f32 v10, -v4, v18, v15
	s_delay_alu instid0(VALU_DEP_2) | instskip(NEXT) | instid1(VALU_DEP_2)
	v_fma_f32 v23, -v5, v19, v16
	v_fmac_f32_e32 v18, v10, v11
	v_fmac_f32_e32 v14, v20, v14
	v_mul_f32_e32 v20, v17, v13
	s_delay_alu instid0(VALU_DEP_4) | instskip(NEXT) | instid1(VALU_DEP_4)
	v_dual_fmac_f32 v19, v23, v12 :: v_dual_lshlrev_b32 v10, 2, v9
	v_fma_f32 v4, -v4, v18, v15
	s_delay_alu instid0(VALU_DEP_3) | instskip(NEXT) | instid1(VALU_DEP_3)
	v_fma_f32 v24, -v6, v20, v17
	v_fma_f32 v5, -v5, v19, v16
	s_delay_alu instid0(VALU_DEP_3) | instskip(SKIP_1) | instid1(VALU_DEP_3)
	v_div_fmas_f32 v4, v4, v11, v18
	s_mov_b32 vcc_lo, s2
	v_fmac_f32_e32 v20, v24, v13
	s_delay_alu instid0(VALU_DEP_3) | instskip(NEXT) | instid1(VALU_DEP_3)
	v_div_fmas_f32 v5, v5, v12, v19
	v_div_fixup_f32 v0, v4, v0, 1.0
	s_mov_b32 vcc_lo, s3
	s_delay_alu instid0(VALU_DEP_3) | instskip(NEXT) | instid1(VALU_DEP_3)
	v_fma_f32 v6, -v6, v20, v17
	v_div_fixup_f32 v1, v5, v1, 1.0
	v_mul_f32_e32 v22, v21, v14
	s_delay_alu instid0(VALU_DEP_3) | instskip(SKIP_1) | instid1(VALU_DEP_2)
	v_div_fmas_f32 v6, v6, v13, v20
	s_mov_b32 vcc_lo, s4
	v_fma_f32 v25, -v7, v22, v21
	s_delay_alu instid0(VALU_DEP_2) | instskip(NEXT) | instid1(VALU_DEP_2)
	v_div_fixup_f32 v2, v6, v2, 1.0
	v_fmac_f32_e32 v22, v25, v14
	s_delay_alu instid0(VALU_DEP_1) | instskip(NEXT) | instid1(VALU_DEP_1)
	v_fma_f32 v7, -v7, v22, v21
	v_div_fmas_f32 v4, v7, v14, v22
	v_cmp_class_f32_e64 vcc_lo, v0, 0x1f8
	s_delay_alu instid0(VALU_DEP_2)
	v_div_fixup_f32 v3, v4, v3, 1.0
	v_cndmask_b32_e32 v0, 0, v0, vcc_lo
	v_cmp_class_f32_e64 vcc_lo, v1, 0x1f8
	v_cndmask_b32_e32 v1, 0, v1, vcc_lo
	v_cmp_class_f32_e64 vcc_lo, v2, 0x1f8
	;; [unrolled: 2-line block ×3, first 2 shown]
	v_cndmask_b32_e32 v3, 0, v3, vcc_lo
	s_cbranch_scc1 .LBB244_35
; %bb.4:
	v_lshlrev_b32_e32 v4, 2, v10
	global_load_b128 v[4:7], v4, s[6:7]
	s_waitcnt vmcnt(0)
	v_dual_add_f32 v5, v5, v1 :: v_dual_add_f32 v4, v4, v0
	v_dual_add_f32 v7, v7, v3 :: v_dual_add_f32 v6, v6, v2
	s_cbranch_execnz .LBB244_6
.LBB244_5:
	v_dual_mov_b32 v7, v3 :: v_dual_mov_b32 v6, v2
	v_dual_mov_b32 v5, v1 :: v_dual_mov_b32 v4, v0
.LBB244_6:
	s_load_b128 s[4:7], s[0:1], 0x30
	v_cmp_eq_u32_e64 s2, 0, v9
	s_waitcnt lgkmcnt(0)
	s_bitcmp1_b32 s7, 0
	s_mov_b32 s7, 0
	s_cselect_b32 vcc_lo, -1, 0
	s_cmp_gt_i32 s4, 0
	s_cselect_b32 s3, -1, 0
	s_cmp_lt_i32 s4, 1
	s_cbranch_scc1 .LBB244_36
; %bb.7:
	v_mbcnt_lo_u32_b32 v12, -1, 0
	s_load_b128 s[8:11], s[0:1], 0x20
	v_mul_lo_u32 v11, v8, s4
	v_mov_b32_e32 v18, v8
	s_delay_alu instid0(VALU_DEP_3)
	v_xor_b32_e32 v13, 16, v12
	v_xor_b32_e32 v14, 8, v12
	;; [unrolled: 1-line block ×5, first 2 shown]
	v_cmp_gt_i32_e64 s0, 32, v13
	s_delay_alu instid0(VALU_DEP_1) | instskip(SKIP_1) | instid1(VALU_DEP_2)
	v_cndmask_b32_e64 v13, v12, v13, s0
	v_cmp_gt_i32_e64 s0, 32, v14
	v_lshlrev_b32_e32 v13, 2, v13
	s_delay_alu instid0(VALU_DEP_2) | instskip(SKIP_1) | instid1(VALU_DEP_2)
	v_cndmask_b32_e64 v14, v12, v14, s0
	v_cmp_gt_i32_e64 s0, 32, v15
	v_lshlrev_b32_e32 v14, 2, v14
	s_delay_alu instid0(VALU_DEP_2) | instskip(SKIP_1) | instid1(VALU_DEP_2)
	;; [unrolled: 4-line block ×3, first 2 shown]
	v_cndmask_b32_e64 v16, v12, v16, s0
	v_cmp_gt_i32_e64 s0, 32, v17
	v_lshlrev_b32_e32 v16, 2, v16
	s_delay_alu instid0(VALU_DEP_2) | instskip(NEXT) | instid1(VALU_DEP_1)
	v_cndmask_b32_e64 v12, v12, v17, s0
	v_dual_mov_b32 v12, 0 :: v_dual_lshlrev_b32 v17, 2, v12
	s_branch .LBB244_10
.LBB244_8:                              ;   in Loop: Header=BB244_10 Depth=1
	s_or_b32 exec_lo, exec_lo, s1
.LBB244_9:                              ;   in Loop: Header=BB244_10 Depth=1
	v_add_nc_u32_e32 v18, s14, v18
	s_cmp_eq_u32 s4, s7
	s_cbranch_scc1 .LBB244_37
.LBB244_10:                             ; =>This Inner Loop Header: Depth=1
	v_cmp_gt_f32_e64 s0, v5, v4
	s_mov_b32 s17, exec_lo
	s_delay_alu instid0(VALU_DEP_1) | instskip(SKIP_2) | instid1(VALU_DEP_3)
	v_cndmask_b32_e64 v20, v4, v5, s0
	v_cndmask_b32_e64 v19, 0, 1, s0
	;; [unrolled: 1-line block ×3, first 2 shown]
	v_cmp_gt_f32_e64 s1, v6, v20
	s_delay_alu instid0(VALU_DEP_1) | instskip(NEXT) | instid1(VALU_DEP_4)
	v_cndmask_b32_e64 v20, v20, v6, s1
	v_cndmask_b32_e64 v19, v19, 2, s1
	s_waitcnt lgkmcnt(0)
	v_cndmask_b32_e64 v22, v21, v2, s1
	s_delay_alu instid0(VALU_DEP_3) | instskip(NEXT) | instid1(VALU_DEP_1)
	v_cmp_gt_f32_e64 s0, v7, v20
	v_cndmask_b32_e64 v19, v19, 3, s0
	v_cndmask_b32_e64 v21, v20, v7, s0
	s_delay_alu instid0(VALU_DEP_4) | instskip(NEXT) | instid1(VALU_DEP_3)
	v_cndmask_b32_e64 v20, v22, v3, s0
	v_or_b32_e32 v19, v10, v19
	ds_bpermute_b32 v22, v13, v21
	ds_bpermute_b32 v24, v13, v20
	;; [unrolled: 1-line block ×3, first 2 shown]
	s_waitcnt lgkmcnt(0)
	v_cmp_lt_f32_e64 s16, v21, v22
	v_cmpx_nlt_f32_e32 v21, v22
; %bb.11:                               ;   in Loop: Header=BB244_10 Depth=1
	v_cmp_eq_f32_e64 s0, v21, v22
	v_cmp_lt_i32_e64 s1, v23, v19
	s_delay_alu instid0(VALU_DEP_1) | instskip(SKIP_2) | instid1(SALU_CYCLE_1)
	s_and_b32 s0, s0, s1
	s_and_not1_b32 s1, s16, exec_lo
	s_and_b32 s0, s0, exec_lo
	s_or_b32 s16, s1, s0
; %bb.12:                               ;   in Loop: Header=BB244_10 Depth=1
	s_or_b32 exec_lo, exec_lo, s17
	s_and_saveexec_b32 s0, s16
; %bb.13:                               ;   in Loop: Header=BB244_10 Depth=1
	v_dual_mov_b32 v20, v24 :: v_dual_mov_b32 v21, v22
	v_mov_b32_e32 v19, v23
; %bb.14:                               ;   in Loop: Header=BB244_10 Depth=1
	s_or_b32 exec_lo, exec_lo, s0
	ds_bpermute_b32 v22, v14, v21
	ds_bpermute_b32 v24, v14, v20
	;; [unrolled: 1-line block ×3, first 2 shown]
	s_mov_b32 s17, exec_lo
	s_waitcnt lgkmcnt(2)
	v_cmp_lt_f32_e64 s16, v21, v22
	v_cmpx_nlt_f32_e32 v21, v22
	s_cbranch_execz .LBB244_16
; %bb.15:                               ;   in Loop: Header=BB244_10 Depth=1
	v_cmp_eq_f32_e64 s0, v21, v22
	s_waitcnt lgkmcnt(0)
	v_cmp_lt_i32_e64 s1, v23, v19
	s_delay_alu instid0(VALU_DEP_1) | instskip(SKIP_2) | instid1(SALU_CYCLE_1)
	s_and_b32 s0, s0, s1
	s_and_not1_b32 s1, s16, exec_lo
	s_and_b32 s0, s0, exec_lo
	s_or_b32 s16, s1, s0
.LBB244_16:                             ;   in Loop: Header=BB244_10 Depth=1
	s_or_b32 exec_lo, exec_lo, s17
	s_delay_alu instid0(VALU_DEP_2)
	s_and_saveexec_b32 s0, s16
	s_cbranch_execz .LBB244_18
; %bb.17:                               ;   in Loop: Header=BB244_10 Depth=1
	s_waitcnt lgkmcnt(1)
	v_dual_mov_b32 v20, v24 :: v_dual_mov_b32 v21, v22
	s_waitcnt lgkmcnt(0)
	v_mov_b32_e32 v19, v23
.LBB244_18:                             ;   in Loop: Header=BB244_10 Depth=1
	s_or_b32 exec_lo, exec_lo, s0
	ds_bpermute_b32 v22, v15, v21
	s_waitcnt lgkmcnt(2)
	ds_bpermute_b32 v24, v15, v20
	s_waitcnt lgkmcnt(2)
	ds_bpermute_b32 v23, v15, v19
	s_mov_b32 s17, exec_lo
	s_waitcnt lgkmcnt(2)
	v_cmp_lt_f32_e64 s16, v21, v22
	v_cmpx_nlt_f32_e32 v21, v22
	s_cbranch_execz .LBB244_20
; %bb.19:                               ;   in Loop: Header=BB244_10 Depth=1
	v_cmp_eq_f32_e64 s0, v21, v22
	s_waitcnt lgkmcnt(0)
	v_cmp_lt_i32_e64 s1, v23, v19
	s_delay_alu instid0(VALU_DEP_1) | instskip(SKIP_2) | instid1(SALU_CYCLE_1)
	s_and_b32 s0, s0, s1
	s_and_not1_b32 s1, s16, exec_lo
	s_and_b32 s0, s0, exec_lo
	s_or_b32 s16, s1, s0
.LBB244_20:                             ;   in Loop: Header=BB244_10 Depth=1
	s_or_b32 exec_lo, exec_lo, s17
	s_delay_alu instid0(VALU_DEP_2)
	s_and_saveexec_b32 s0, s16
	s_cbranch_execz .LBB244_22
; %bb.21:                               ;   in Loop: Header=BB244_10 Depth=1
	s_waitcnt lgkmcnt(1)
	v_dual_mov_b32 v20, v24 :: v_dual_mov_b32 v21, v22
	s_waitcnt lgkmcnt(0)
	v_mov_b32_e32 v19, v23
.LBB244_22:                             ;   in Loop: Header=BB244_10 Depth=1
	s_or_b32 exec_lo, exec_lo, s0
	ds_bpermute_b32 v22, v16, v21
	s_waitcnt lgkmcnt(2)
	ds_bpermute_b32 v24, v16, v20
	s_waitcnt lgkmcnt(2)
	ds_bpermute_b32 v23, v16, v19
	s_mov_b32 s17, exec_lo
	s_waitcnt lgkmcnt(2)
	v_cmp_lt_f32_e64 s16, v21, v22
	v_cmpx_nlt_f32_e32 v21, v22
	s_cbranch_execz .LBB244_24
; %bb.23:                               ;   in Loop: Header=BB244_10 Depth=1
	v_cmp_eq_f32_e64 s0, v21, v22
	s_waitcnt lgkmcnt(0)
	v_cmp_lt_i32_e64 s1, v23, v19
	s_delay_alu instid0(VALU_DEP_1) | instskip(SKIP_2) | instid1(SALU_CYCLE_1)
	s_and_b32 s0, s0, s1
	s_and_not1_b32 s1, s16, exec_lo
	s_and_b32 s0, s0, exec_lo
	s_or_b32 s16, s1, s0
.LBB244_24:                             ;   in Loop: Header=BB244_10 Depth=1
	s_or_b32 exec_lo, exec_lo, s17
	s_delay_alu instid0(VALU_DEP_2)
	s_and_saveexec_b32 s0, s16
	s_cbranch_execz .LBB244_26
; %bb.25:                               ;   in Loop: Header=BB244_10 Depth=1
	s_waitcnt lgkmcnt(1)
	v_dual_mov_b32 v20, v24 :: v_dual_mov_b32 v21, v22
	s_waitcnt lgkmcnt(0)
	v_mov_b32_e32 v19, v23
.LBB244_26:                             ;   in Loop: Header=BB244_10 Depth=1
	s_or_b32 exec_lo, exec_lo, s0
	s_waitcnt lgkmcnt(1)
	ds_bpermute_b32 v24, v17, v21
	ds_bpermute_b32 v22, v17, v20
	s_waitcnt lgkmcnt(2)
	ds_bpermute_b32 v23, v17, v19
	s_mov_b32 s17, exec_lo
	s_waitcnt lgkmcnt(2)
	v_cmp_lt_f32_e64 s16, v21, v24
	v_cmpx_nlt_f32_e32 v21, v24
	s_cbranch_execnz .LBB244_30
; %bb.27:                               ;   in Loop: Header=BB244_10 Depth=1
	s_or_b32 exec_lo, exec_lo, s17
	s_delay_alu instid0(VALU_DEP_2)
	s_and_saveexec_b32 s0, s16
	s_cbranch_execnz .LBB244_31
.LBB244_28:                             ;   in Loop: Header=BB244_10 Depth=1
	s_or_b32 exec_lo, exec_lo, s0
	s_and_saveexec_b32 s16, s2
	s_cbranch_execnz .LBB244_32
.LBB244_29:                             ;   in Loop: Header=BB244_10 Depth=1
	s_or_b32 exec_lo, exec_lo, s16
	s_add_i32 s7, s7, 1
	s_delay_alu instid0(SALU_CYCLE_1)
	s_cmp_ge_i32 s7, s4
	s_cbranch_scc1 .LBB244_9
	s_branch .LBB244_33
.LBB244_30:                             ;   in Loop: Header=BB244_10 Depth=1
	v_cmp_eq_f32_e64 s0, v21, v24
	s_waitcnt lgkmcnt(0)
	v_cmp_lt_i32_e64 s1, v23, v19
	s_delay_alu instid0(VALU_DEP_1) | instskip(SKIP_2) | instid1(SALU_CYCLE_1)
	s_and_b32 s0, s0, s1
	s_and_not1_b32 s1, s16, exec_lo
	s_and_b32 s0, s0, exec_lo
	s_or_b32 s16, s1, s0
	s_or_b32 exec_lo, exec_lo, s17
	s_and_saveexec_b32 s0, s16
	s_cbranch_execz .LBB244_28
.LBB244_31:                             ;   in Loop: Header=BB244_10 Depth=1
	s_waitcnt lgkmcnt(0)
	v_dual_mov_b32 v19, v23 :: v_dual_mov_b32 v20, v22
	s_or_b32 exec_lo, exec_lo, s0
	s_and_saveexec_b32 s16, s2
	s_cbranch_execz .LBB244_29
.LBB244_32:                             ;   in Loop: Header=BB244_10 Depth=1
	s_delay_alu instid0(VALU_DEP_1)
	v_add_f32_e32 v29, v12, v20
	v_add_nc_u32_e32 v21, s7, v11
	v_subrev_nc_u32_e32 v25, s5, v19
	v_cmp_le_i32_e64 s0, s5, v19
	v_cmp_gt_i32_e64 s1, s6, v19
	v_cndmask_b32_e32 v12, v12, v29, vcc_lo
	s_waitcnt lgkmcnt(1)
	v_ashrrev_i32_e32 v22, 31, v21
	v_ashrrev_i32_e32 v26, 31, v25
	s_and_b32 s0, s0, s1
	s_waitcnt lgkmcnt(0)
	s_delay_alu instid0(VALU_DEP_2) | instskip(SKIP_2) | instid1(SALU_CYCLE_1)
	v_lshlrev_b64 v[23:24], 2, v[21:22]
	v_lshlrev_b64 v[21:22], 3, v[21:22]
	s_and_b32 s0, s15, s0
	v_cndmask_b32_e64 v26, 0, v26, s0
	v_cndmask_b32_e64 v25, 0x80, v25, s0
	s_delay_alu instid0(VALU_DEP_4) | instskip(NEXT) | instid1(VALU_DEP_1)
	v_add_co_u32 v27, s0, s12, v23
	v_add_co_ci_u32_e64 v28, s0, s13, v24, s0
	v_add_co_u32 v21, s0, s8, v21
	s_delay_alu instid0(VALU_DEP_1) | instskip(SKIP_1) | instid1(VALU_DEP_1)
	v_add_co_ci_u32_e64 v22, s0, s9, v22, s0
	v_add_co_u32 v23, s0, s10, v23
	v_add_co_ci_u32_e64 v24, s0, s11, v24, s0
	global_store_b32 v[27:28], v20, off
	global_store_b64 v[21:22], v[25:26], off
	global_store_b32 v[23:24], v18, off
	s_or_b32 exec_lo, exec_lo, s16
	s_add_i32 s7, s7, 1
	s_delay_alu instid0(SALU_CYCLE_1)
	s_cmp_ge_i32 s7, s4
	s_cbranch_scc1 .LBB244_9
.LBB244_33:                             ;   in Loop: Header=BB244_10 Depth=1
	v_ashrrev_i32_e32 v20, 31, v19
	s_mov_b32 s1, exec_lo
	s_delay_alu instid0(VALU_DEP_1) | instskip(NEXT) | instid1(VALU_DEP_1)
	v_lshrrev_b32_e32 v21, 30, v20
	v_add_nc_u32_e32 v21, v19, v21
	s_waitcnt lgkmcnt(1)
	s_delay_alu instid0(VALU_DEP_1) | instskip(SKIP_1) | instid1(VALU_DEP_2)
	v_ashrrev_i32_e32 v22, 31, v21
	v_ashrrev_i32_e32 v21, 2, v21
	v_lshrrev_b32_e32 v22, 27, v22
	s_delay_alu instid0(VALU_DEP_1) | instskip(NEXT) | instid1(VALU_DEP_1)
	v_add_nc_u32_e32 v22, v21, v22
	v_and_b32_e32 v22, 0xffffffe0, v22
	s_delay_alu instid0(VALU_DEP_1) | instskip(NEXT) | instid1(VALU_DEP_1)
	v_sub_nc_u32_e32 v22, v21, v22
	v_cmpx_eq_u32_e64 v9, v22
	s_cbranch_execz .LBB244_8
; %bb.34:                               ;   in Loop: Header=BB244_10 Depth=1
	v_lshrrev_b32_e32 v20, 25, v20
	v_lshlrev_b32_e32 v21, 2, v21
	s_delay_alu instid0(VALU_DEP_2) | instskip(NEXT) | instid1(VALU_DEP_2)
	v_add_nc_u32_e32 v20, v19, v20
	v_sub_nc_u32_e32 v19, v19, v21
	s_delay_alu instid0(VALU_DEP_2) | instskip(NEXT) | instid1(VALU_DEP_1)
	v_ashrrev_i32_e32 v20, 7, v20
	v_lshl_add_u32 v19, v20, 2, v19
	s_delay_alu instid0(VALU_DEP_1) | instskip(NEXT) | instid1(VALU_DEP_1)
	v_cmp_ne_u32_e64 s0, 3, v19
	v_cndmask_b32_e64 v7, 0xc61c4000, v7, s0
	v_cmp_ne_u32_e64 s0, 2, v19
	s_delay_alu instid0(VALU_DEP_1) | instskip(SKIP_1) | instid1(VALU_DEP_1)
	v_cndmask_b32_e64 v6, 0xc61c4000, v6, s0
	v_cmp_ne_u32_e64 s0, 1, v19
	v_cndmask_b32_e64 v5, 0xc61c4000, v5, s0
	v_cmp_ne_u32_e64 s0, 0, v19
	s_delay_alu instid0(VALU_DEP_1)
	v_cndmask_b32_e64 v4, 0xc61c4000, v4, s0
	s_branch .LBB244_8
.LBB244_35:
                                        ; implicit-def: $vgpr4_vgpr5_vgpr6_vgpr7
	s_and_not1_b32 vcc_lo, exec_lo, s8
	s_cbranch_vccz .LBB244_5
	s_branch .LBB244_6
.LBB244_36:
	v_mov_b32_e32 v12, 0
.LBB244_37:
	v_cmp_eq_u32_e64 s0, 0, v9
	s_delay_alu instid0(VALU_DEP_1) | instskip(NEXT) | instid1(SALU_CYCLE_1)
	s_and_b32 s0, s0, vcc_lo
	s_and_b32 exec_lo, exec_lo, s0
	s_cbranch_execz .LBB244_41
; %bb.38:
	s_and_not1_b32 vcc_lo, exec_lo, s3
	s_cbranch_vccnz .LBB244_41
; %bb.39:
	v_mul_lo_u32 v0, v8, s4
	v_cmp_lt_f32_e32 vcc_lo, 0, v12
	v_cndmask_b32_e32 v2, 1.0, v12, vcc_lo
	s_delay_alu instid0(VALU_DEP_3) | instskip(NEXT) | instid1(VALU_DEP_1)
	v_ashrrev_i32_e32 v1, 31, v0
	v_lshlrev_b64 v[0:1], 2, v[0:1]
	s_delay_alu instid0(VALU_DEP_1) | instskip(NEXT) | instid1(VALU_DEP_2)
	v_add_co_u32 v0, vcc_lo, s12, v0
	v_add_co_ci_u32_e32 v1, vcc_lo, s13, v1, vcc_lo
	.p2align	6
.LBB244_40:                             ; =>This Inner Loop Header: Depth=1
	global_load_b32 v3, v[0:1], off
	s_add_i32 s4, s4, -1
	s_delay_alu instid0(SALU_CYCLE_1) | instskip(SKIP_3) | instid1(VALU_DEP_2)
	s_cmp_lg_u32 s4, 0
	s_waitcnt vmcnt(0)
	v_div_scale_f32 v4, null, v2, v2, v3
	v_div_scale_f32 v7, vcc_lo, v3, v2, v3
	v_rcp_f32_e32 v5, v4
	s_waitcnt_depctr 0xfff
	v_fma_f32 v6, -v4, v5, 1.0
	s_delay_alu instid0(VALU_DEP_1) | instskip(NEXT) | instid1(VALU_DEP_1)
	v_fmac_f32_e32 v5, v6, v5
	v_mul_f32_e32 v6, v7, v5
	s_delay_alu instid0(VALU_DEP_1) | instskip(NEXT) | instid1(VALU_DEP_1)
	v_fma_f32 v8, -v4, v6, v7
	v_fmac_f32_e32 v6, v8, v5
	s_delay_alu instid0(VALU_DEP_1) | instskip(NEXT) | instid1(VALU_DEP_1)
	v_fma_f32 v4, -v4, v6, v7
	v_div_fmas_f32 v4, v4, v5, v6
	s_delay_alu instid0(VALU_DEP_1)
	v_div_fixup_f32 v3, v4, v2, v3
	global_store_b32 v[0:1], v3, off
	v_add_co_u32 v0, vcc_lo, v0, 4
	v_add_co_ci_u32_e32 v1, vcc_lo, 0, v1, vcc_lo
	s_cbranch_scc1 .LBB244_40
.LBB244_41:
	s_nop 0
	s_sendmsg sendmsg(MSG_DEALLOC_VGPRS)
	s_endpgm
	.section	.rodata,"a",@progbits
	.p2align	6, 0x0
	.amdhsa_kernel _ZN4vllm3moe10topkGatingILi4ELi128ELi4ELi16ELi32ElfLNS0_11ScoringFuncE1EEEvPKT5_PKbPfiPT4_PiiiibPKf
		.amdhsa_group_segment_fixed_size 0
		.amdhsa_private_segment_fixed_size 0
		.amdhsa_kernarg_size 72
		.amdhsa_user_sgpr_count 15
		.amdhsa_user_sgpr_dispatch_ptr 0
		.amdhsa_user_sgpr_queue_ptr 0
		.amdhsa_user_sgpr_kernarg_segment_ptr 1
		.amdhsa_user_sgpr_dispatch_id 0
		.amdhsa_user_sgpr_private_segment_size 0
		.amdhsa_wavefront_size32 1
		.amdhsa_uses_dynamic_stack 0
		.amdhsa_enable_private_segment 0
		.amdhsa_system_sgpr_workgroup_id_x 1
		.amdhsa_system_sgpr_workgroup_id_y 0
		.amdhsa_system_sgpr_workgroup_id_z 0
		.amdhsa_system_sgpr_workgroup_info 0
		.amdhsa_system_vgpr_workitem_id 1
		.amdhsa_next_free_vgpr 30
		.amdhsa_next_free_sgpr 18
		.amdhsa_reserve_vcc 1
		.amdhsa_float_round_mode_32 0
		.amdhsa_float_round_mode_16_64 0
		.amdhsa_float_denorm_mode_32 3
		.amdhsa_float_denorm_mode_16_64 3
		.amdhsa_dx10_clamp 1
		.amdhsa_ieee_mode 1
		.amdhsa_fp16_overflow 0
		.amdhsa_workgroup_processor_mode 1
		.amdhsa_memory_ordered 1
		.amdhsa_forward_progress 0
		.amdhsa_shared_vgpr_count 0
		.amdhsa_exception_fp_ieee_invalid_op 0
		.amdhsa_exception_fp_denorm_src 0
		.amdhsa_exception_fp_ieee_div_zero 0
		.amdhsa_exception_fp_ieee_overflow 0
		.amdhsa_exception_fp_ieee_underflow 0
		.amdhsa_exception_fp_ieee_inexact 0
		.amdhsa_exception_int_div_zero 0
	.end_amdhsa_kernel
	.section	.text._ZN4vllm3moe10topkGatingILi4ELi128ELi4ELi16ELi32ElfLNS0_11ScoringFuncE1EEEvPKT5_PKbPfiPT4_PiiiibPKf,"axG",@progbits,_ZN4vllm3moe10topkGatingILi4ELi128ELi4ELi16ELi32ElfLNS0_11ScoringFuncE1EEEvPKT5_PKbPfiPT4_PiiiibPKf,comdat
.Lfunc_end244:
	.size	_ZN4vllm3moe10topkGatingILi4ELi128ELi4ELi16ELi32ElfLNS0_11ScoringFuncE1EEEvPKT5_PKbPfiPT4_PiiiibPKf, .Lfunc_end244-_ZN4vllm3moe10topkGatingILi4ELi128ELi4ELi16ELi32ElfLNS0_11ScoringFuncE1EEEvPKT5_PKbPfiPT4_PiiiibPKf
                                        ; -- End function
	.section	.AMDGPU.csdata,"",@progbits
; Kernel info:
; codeLenInByte = 2524
; NumSgprs: 20
; NumVgprs: 30
; ScratchSize: 0
; MemoryBound: 0
; FloatMode: 240
; IeeeMode: 1
; LDSByteSize: 0 bytes/workgroup (compile time only)
; SGPRBlocks: 2
; VGPRBlocks: 3
; NumSGPRsForWavesPerEU: 20
; NumVGPRsForWavesPerEU: 30
; Occupancy: 16
; WaveLimiterHint : 0
; COMPUTE_PGM_RSRC2:SCRATCH_EN: 0
; COMPUTE_PGM_RSRC2:USER_SGPR: 15
; COMPUTE_PGM_RSRC2:TRAP_HANDLER: 0
; COMPUTE_PGM_RSRC2:TGID_X_EN: 1
; COMPUTE_PGM_RSRC2:TGID_Y_EN: 0
; COMPUTE_PGM_RSRC2:TGID_Z_EN: 0
; COMPUTE_PGM_RSRC2:TIDIG_COMP_CNT: 1
	.section	.text._ZN4vllm3moe10topkGatingILi4ELi256ELi4ELi16ELi64ElfLNS0_11ScoringFuncE1EEEvPKT5_PKbPfiPT4_PiiiibPKf,"axG",@progbits,_ZN4vllm3moe10topkGatingILi4ELi256ELi4ELi16ELi64ElfLNS0_11ScoringFuncE1EEEvPKT5_PKbPfiPT4_PiiiibPKf,comdat
	.protected	_ZN4vllm3moe10topkGatingILi4ELi256ELi4ELi16ELi64ElfLNS0_11ScoringFuncE1EEEvPKT5_PKbPfiPT4_PiiiibPKf ; -- Begin function _ZN4vllm3moe10topkGatingILi4ELi256ELi4ELi16ELi64ElfLNS0_11ScoringFuncE1EEEvPKT5_PKbPfiPT4_PiiiibPKf
	.globl	_ZN4vllm3moe10topkGatingILi4ELi256ELi4ELi16ELi64ElfLNS0_11ScoringFuncE1EEEvPKT5_PKbPfiPT4_PiiiibPKf
	.p2align	8
	.type	_ZN4vllm3moe10topkGatingILi4ELi256ELi4ELi16ELi64ElfLNS0_11ScoringFuncE1EEEvPKT5_PKbPfiPT4_PiiiibPKf,@function
_ZN4vllm3moe10topkGatingILi4ELi256ELi4ELi16ELi64ElfLNS0_11ScoringFuncE1EEEvPKT5_PKbPfiPT4_PiiiibPKf: ; @_ZN4vllm3moe10topkGatingILi4ELi256ELi4ELi16ELi64ElfLNS0_11ScoringFuncE1EEEvPKT5_PKbPfiPT4_PiiiibPKf
; %bb.0:
	s_load_b32 s14, s[0:1], 0x18
	v_and_b32_e32 v1, 0x3ff, v0
	v_bfe_u32 v0, v0, 10, 10
	s_lshl_b32 s2, s15, 2
	s_delay_alu instid0(VALU_DEP_2) | instskip(NEXT) | instid1(VALU_DEP_1)
	v_lshrrev_b32_e32 v2, 6, v1
	v_add3_u32 v8, s2, v0, v2
	s_mov_b32 s2, exec_lo
	s_waitcnt lgkmcnt(0)
	s_delay_alu instid0(VALU_DEP_1)
	v_cmpx_gt_i32_e64 s14, v8
	s_cbranch_execz .LBB245_45
; %bb.1:
	s_clause 0x1
	s_load_b128 s[4:7], s[0:1], 0x0
	s_load_b64 s[12:13], s[0:1], 0x10
	s_mov_b32 s8, -1
	s_mov_b32 s15, -1
	s_waitcnt lgkmcnt(0)
	s_cmp_eq_u64 s[6:7], 0
	s_cbranch_scc1 .LBB245_3
; %bb.2:
	v_ashrrev_i32_e32 v0, 31, v8
	v_add_co_u32 v2, vcc_lo, s6, v8
	s_delay_alu instid0(VALU_DEP_2) | instskip(SKIP_3) | instid1(VALU_DEP_1)
	v_add_co_ci_u32_e32 v3, vcc_lo, s7, v0, vcc_lo
	global_load_u8 v0, v[2:3], off
	s_waitcnt vmcnt(0)
	v_and_b32_e32 v0, 1, v0
	v_cmp_eq_u32_e32 vcc_lo, 1, v0
	s_xor_b32 s2, vcc_lo, -1
	s_delay_alu instid0(SALU_CYCLE_1)
	s_or_not1_b32 s15, s2, exec_lo
.LBB245_3:
	v_lshlrev_b32_e32 v2, 8, v8
	v_and_b32_e32 v9, 63, v1
	s_load_b64 s[6:7], s[0:1], 0x40
	s_delay_alu instid0(VALU_DEP_2) | instskip(NEXT) | instid1(VALU_DEP_1)
	v_ashrrev_i32_e32 v3, 31, v2
	v_lshlrev_b64 v[0:1], 2, v[2:3]
	s_delay_alu instid0(VALU_DEP_3) | instskip(NEXT) | instid1(VALU_DEP_2)
	v_lshlrev_b32_e32 v2, 4, v9
	v_add_co_u32 v0, vcc_lo, s4, v0
	s_delay_alu instid0(VALU_DEP_3) | instskip(NEXT) | instid1(VALU_DEP_2)
	v_add_co_ci_u32_e32 v1, vcc_lo, s5, v1, vcc_lo
	v_add_co_u32 v0, vcc_lo, v0, v2
	s_delay_alu instid0(VALU_DEP_2)
	v_add_co_ci_u32_e32 v1, vcc_lo, 0, v1, vcc_lo
	s_waitcnt lgkmcnt(0)
	s_cmp_eq_u64 s[6:7], 0
	global_load_b128 v[0:3], v[0:1], off
	s_waitcnt vmcnt(0)
	v_dual_mul_f32 v3, 0xbfb8aa3b, v3 :: v_dual_mul_f32 v0, 0xbfb8aa3b, v0
	v_mul_f32_e32 v1, 0xbfb8aa3b, v1
	s_delay_alu instid0(VALU_DEP_2) | instskip(NEXT) | instid1(VALU_DEP_2)
	v_exp_f32_e32 v3, v3
	v_exp_f32_e32 v0, v0
	s_delay_alu instid0(VALU_DEP_1) | instskip(NEXT) | instid1(TRANS32_DEP_3)
	v_exp_f32_e32 v1, v1
	v_dual_mul_f32 v2, 0xbfb8aa3b, v2 :: v_dual_add_f32 v3, 1.0, v3
	s_waitcnt_depctr 0xfff
	v_dual_add_f32 v0, 1.0, v0 :: v_dual_add_f32 v1, 1.0, v1
	v_exp_f32_e32 v2, v2
	v_div_scale_f32 v7, null, v3, v3, 1.0
	s_delay_alu instid0(VALU_DEP_2) | instskip(NEXT) | instid1(VALU_DEP_3)
	v_div_scale_f32 v4, null, v0, v0, 1.0
	v_div_scale_f32 v5, null, v1, v1, 1.0
	v_div_scale_f32 v15, vcc_lo, 1.0, v0, 1.0
	s_delay_alu instid0(VALU_DEP_3) | instskip(NEXT) | instid1(VALU_DEP_2)
	v_rcp_f32_e32 v11, v4
	v_rcp_f32_e32 v12, v5
	;; [unrolled: 1-line block ×3, first 2 shown]
	v_div_scale_f32 v16, s2, 1.0, v1, 1.0
	v_div_scale_f32 v21, s4, 1.0, v3, 1.0
	s_delay_alu instid0(TRANS32_DEP_3)
	v_fma_f32 v10, -v4, v11, 1.0
	v_add_f32_e32 v2, 1.0, v2
	s_waitcnt_depctr 0xfff
	v_fma_f32 v18, -v5, v12, 1.0
	v_fma_f32 v20, -v7, v14, 1.0
	v_fmac_f32_e32 v11, v10, v11
	v_div_scale_f32 v6, null, v2, v2, 1.0
	v_div_scale_f32 v17, s3, 1.0, v2, 1.0
	s_delay_alu instid0(VALU_DEP_2) | instskip(SKIP_4) | instid1(VALU_DEP_3)
	v_rcp_f32_e32 v13, v6
	s_waitcnt_depctr 0xfff
	v_fma_f32 v19, -v6, v13, 1.0
	v_fmac_f32_e32 v12, v18, v12
	v_mul_f32_e32 v18, v15, v11
	v_fmac_f32_e32 v13, v19, v13
	s_delay_alu instid0(VALU_DEP_3) | instskip(NEXT) | instid1(VALU_DEP_3)
	v_mul_f32_e32 v19, v16, v12
	v_fma_f32 v10, -v4, v18, v15
	s_delay_alu instid0(VALU_DEP_2) | instskip(NEXT) | instid1(VALU_DEP_2)
	v_fma_f32 v23, -v5, v19, v16
	v_fmac_f32_e32 v18, v10, v11
	v_fmac_f32_e32 v14, v20, v14
	v_mul_f32_e32 v20, v17, v13
	s_delay_alu instid0(VALU_DEP_4) | instskip(NEXT) | instid1(VALU_DEP_4)
	v_dual_fmac_f32 v19, v23, v12 :: v_dual_lshlrev_b32 v10, 2, v9
	v_fma_f32 v4, -v4, v18, v15
	s_delay_alu instid0(VALU_DEP_3) | instskip(NEXT) | instid1(VALU_DEP_3)
	v_fma_f32 v24, -v6, v20, v17
	v_fma_f32 v5, -v5, v19, v16
	s_delay_alu instid0(VALU_DEP_3) | instskip(SKIP_1) | instid1(VALU_DEP_3)
	v_div_fmas_f32 v4, v4, v11, v18
	s_mov_b32 vcc_lo, s2
	v_fmac_f32_e32 v20, v24, v13
	s_delay_alu instid0(VALU_DEP_3) | instskip(NEXT) | instid1(VALU_DEP_3)
	v_div_fmas_f32 v5, v5, v12, v19
	v_div_fixup_f32 v0, v4, v0, 1.0
	s_mov_b32 vcc_lo, s3
	s_delay_alu instid0(VALU_DEP_3) | instskip(NEXT) | instid1(VALU_DEP_3)
	v_fma_f32 v6, -v6, v20, v17
	v_div_fixup_f32 v1, v5, v1, 1.0
	v_mul_f32_e32 v22, v21, v14
	s_delay_alu instid0(VALU_DEP_3) | instskip(SKIP_1) | instid1(VALU_DEP_2)
	v_div_fmas_f32 v6, v6, v13, v20
	s_mov_b32 vcc_lo, s4
	v_fma_f32 v25, -v7, v22, v21
	s_delay_alu instid0(VALU_DEP_2) | instskip(NEXT) | instid1(VALU_DEP_2)
	v_div_fixup_f32 v2, v6, v2, 1.0
	v_fmac_f32_e32 v22, v25, v14
	s_delay_alu instid0(VALU_DEP_1) | instskip(NEXT) | instid1(VALU_DEP_1)
	v_fma_f32 v7, -v7, v22, v21
	v_div_fmas_f32 v4, v7, v14, v22
	v_cmp_class_f32_e64 vcc_lo, v0, 0x1f8
	s_delay_alu instid0(VALU_DEP_2)
	v_div_fixup_f32 v3, v4, v3, 1.0
	v_cndmask_b32_e32 v0, 0, v0, vcc_lo
	v_cmp_class_f32_e64 vcc_lo, v1, 0x1f8
	v_cndmask_b32_e32 v1, 0, v1, vcc_lo
	v_cmp_class_f32_e64 vcc_lo, v2, 0x1f8
	;; [unrolled: 2-line block ×3, first 2 shown]
	v_cndmask_b32_e32 v3, 0, v3, vcc_lo
	s_cbranch_scc1 .LBB245_39
; %bb.4:
	v_lshlrev_b32_e32 v4, 2, v10
	global_load_b128 v[4:7], v4, s[6:7]
	s_waitcnt vmcnt(0)
	v_dual_add_f32 v5, v5, v1 :: v_dual_add_f32 v4, v4, v0
	v_dual_add_f32 v7, v7, v3 :: v_dual_add_f32 v6, v6, v2
	s_cbranch_execnz .LBB245_6
.LBB245_5:
	v_dual_mov_b32 v7, v3 :: v_dual_mov_b32 v6, v2
	v_dual_mov_b32 v5, v1 :: v_dual_mov_b32 v4, v0
.LBB245_6:
	s_load_b128 s[4:7], s[0:1], 0x30
	v_cmp_eq_u32_e64 s2, 0, v9
	s_waitcnt lgkmcnt(0)
	s_bitcmp1_b32 s7, 0
	s_mov_b32 s7, 0
	s_cselect_b32 vcc_lo, -1, 0
	s_cmp_gt_i32 s4, 0
	s_cselect_b32 s3, -1, 0
	s_cmp_lt_i32 s4, 1
	s_cbranch_scc1 .LBB245_40
; %bb.7:
	v_mbcnt_lo_u32_b32 v12, -1, 0
	s_load_b128 s[8:11], s[0:1], 0x20
	v_mul_lo_u32 v11, v8, s4
	v_mov_b32_e32 v19, v8
	s_delay_alu instid0(VALU_DEP_3)
	v_or_b32_e32 v13, 32, v12
	v_xor_b32_e32 v14, 16, v12
	v_xor_b32_e32 v15, 8, v12
	;; [unrolled: 1-line block ×4, first 2 shown]
	v_cmp_gt_i32_e64 s0, 64, v13
	v_xor_b32_e32 v18, 1, v12
	s_delay_alu instid0(VALU_DEP_2) | instskip(SKIP_1) | instid1(VALU_DEP_2)
	v_cndmask_b32_e64 v13, v12, v13, s0
	v_cmp_gt_i32_e64 s0, 64, v14
	v_lshlrev_b32_e32 v13, 2, v13
	s_delay_alu instid0(VALU_DEP_2) | instskip(SKIP_1) | instid1(VALU_DEP_2)
	v_cndmask_b32_e64 v14, v12, v14, s0
	v_cmp_gt_i32_e64 s0, 64, v15
	v_lshlrev_b32_e32 v14, 2, v14
	;; [unrolled: 4-line block ×5, first 2 shown]
	s_delay_alu instid0(VALU_DEP_2) | instskip(NEXT) | instid1(VALU_DEP_1)
	v_cndmask_b32_e64 v12, v12, v18, s0
	v_lshlrev_b32_e32 v18, 2, v12
	v_mov_b32_e32 v12, 0
	s_branch .LBB245_10
.LBB245_8:                              ;   in Loop: Header=BB245_10 Depth=1
	s_or_b32 exec_lo, exec_lo, s1
.LBB245_9:                              ;   in Loop: Header=BB245_10 Depth=1
	v_add_nc_u32_e32 v19, s14, v19
	s_cmp_eq_u32 s4, s7
	s_cbranch_scc1 .LBB245_41
.LBB245_10:                             ; =>This Inner Loop Header: Depth=1
	v_cmp_gt_f32_e64 s0, v5, v4
	s_mov_b32 s17, exec_lo
	s_delay_alu instid0(VALU_DEP_1) | instskip(SKIP_2) | instid1(VALU_DEP_3)
	v_cndmask_b32_e64 v21, v4, v5, s0
	v_cndmask_b32_e64 v20, 0, 1, s0
	;; [unrolled: 1-line block ×3, first 2 shown]
	v_cmp_gt_f32_e64 s1, v6, v21
	s_delay_alu instid0(VALU_DEP_1) | instskip(NEXT) | instid1(VALU_DEP_4)
	v_cndmask_b32_e64 v21, v21, v6, s1
	v_cndmask_b32_e64 v20, v20, 2, s1
	s_waitcnt lgkmcnt(0)
	v_cndmask_b32_e64 v23, v22, v2, s1
	s_delay_alu instid0(VALU_DEP_3) | instskip(NEXT) | instid1(VALU_DEP_1)
	v_cmp_gt_f32_e64 s0, v7, v21
	v_cndmask_b32_e64 v20, v20, 3, s0
	v_cndmask_b32_e64 v22, v21, v7, s0
	s_delay_alu instid0(VALU_DEP_4) | instskip(NEXT) | instid1(VALU_DEP_3)
	v_cndmask_b32_e64 v21, v23, v3, s0
	v_or_b32_e32 v20, v10, v20
	ds_bpermute_b32 v23, v13, v22
	ds_bpermute_b32 v25, v13, v21
	;; [unrolled: 1-line block ×3, first 2 shown]
	s_waitcnt lgkmcnt(0)
	v_cmp_lt_f32_e64 s16, v22, v23
	v_cmpx_nlt_f32_e32 v22, v23
; %bb.11:                               ;   in Loop: Header=BB245_10 Depth=1
	v_cmp_eq_f32_e64 s0, v22, v23
	v_cmp_lt_i32_e64 s1, v24, v20
	s_delay_alu instid0(VALU_DEP_1) | instskip(SKIP_2) | instid1(SALU_CYCLE_1)
	s_and_b32 s0, s0, s1
	s_and_not1_b32 s1, s16, exec_lo
	s_and_b32 s0, s0, exec_lo
	s_or_b32 s16, s1, s0
; %bb.12:                               ;   in Loop: Header=BB245_10 Depth=1
	s_or_b32 exec_lo, exec_lo, s17
	s_and_saveexec_b32 s0, s16
; %bb.13:                               ;   in Loop: Header=BB245_10 Depth=1
	v_dual_mov_b32 v21, v25 :: v_dual_mov_b32 v22, v23
	v_mov_b32_e32 v20, v24
; %bb.14:                               ;   in Loop: Header=BB245_10 Depth=1
	s_or_b32 exec_lo, exec_lo, s0
	ds_bpermute_b32 v23, v14, v22
	ds_bpermute_b32 v25, v14, v21
	;; [unrolled: 1-line block ×3, first 2 shown]
	s_mov_b32 s17, exec_lo
	s_waitcnt lgkmcnt(2)
	v_cmp_lt_f32_e64 s16, v22, v23
	v_cmpx_nlt_f32_e32 v22, v23
	s_cbranch_execz .LBB245_16
; %bb.15:                               ;   in Loop: Header=BB245_10 Depth=1
	v_cmp_eq_f32_e64 s0, v22, v23
	s_waitcnt lgkmcnt(0)
	v_cmp_lt_i32_e64 s1, v24, v20
	s_delay_alu instid0(VALU_DEP_1) | instskip(SKIP_2) | instid1(SALU_CYCLE_1)
	s_and_b32 s0, s0, s1
	s_and_not1_b32 s1, s16, exec_lo
	s_and_b32 s0, s0, exec_lo
	s_or_b32 s16, s1, s0
.LBB245_16:                             ;   in Loop: Header=BB245_10 Depth=1
	s_or_b32 exec_lo, exec_lo, s17
	s_delay_alu instid0(VALU_DEP_2)
	s_and_saveexec_b32 s0, s16
	s_cbranch_execz .LBB245_18
; %bb.17:                               ;   in Loop: Header=BB245_10 Depth=1
	s_waitcnt lgkmcnt(1)
	v_dual_mov_b32 v21, v25 :: v_dual_mov_b32 v22, v23
	s_waitcnt lgkmcnt(0)
	v_mov_b32_e32 v20, v24
.LBB245_18:                             ;   in Loop: Header=BB245_10 Depth=1
	s_or_b32 exec_lo, exec_lo, s0
	ds_bpermute_b32 v23, v15, v22
	s_waitcnt lgkmcnt(2)
	ds_bpermute_b32 v25, v15, v21
	s_waitcnt lgkmcnt(2)
	ds_bpermute_b32 v24, v15, v20
	s_mov_b32 s17, exec_lo
	s_waitcnt lgkmcnt(2)
	v_cmp_lt_f32_e64 s16, v22, v23
	v_cmpx_nlt_f32_e32 v22, v23
	s_cbranch_execz .LBB245_20
; %bb.19:                               ;   in Loop: Header=BB245_10 Depth=1
	v_cmp_eq_f32_e64 s0, v22, v23
	s_waitcnt lgkmcnt(0)
	v_cmp_lt_i32_e64 s1, v24, v20
	s_delay_alu instid0(VALU_DEP_1) | instskip(SKIP_2) | instid1(SALU_CYCLE_1)
	s_and_b32 s0, s0, s1
	s_and_not1_b32 s1, s16, exec_lo
	s_and_b32 s0, s0, exec_lo
	s_or_b32 s16, s1, s0
.LBB245_20:                             ;   in Loop: Header=BB245_10 Depth=1
	s_or_b32 exec_lo, exec_lo, s17
	s_delay_alu instid0(VALU_DEP_2)
	s_and_saveexec_b32 s0, s16
	s_cbranch_execz .LBB245_22
; %bb.21:                               ;   in Loop: Header=BB245_10 Depth=1
	s_waitcnt lgkmcnt(1)
	v_dual_mov_b32 v21, v25 :: v_dual_mov_b32 v22, v23
	s_waitcnt lgkmcnt(0)
	v_mov_b32_e32 v20, v24
.LBB245_22:                             ;   in Loop: Header=BB245_10 Depth=1
	s_or_b32 exec_lo, exec_lo, s0
	ds_bpermute_b32 v23, v16, v22
	s_waitcnt lgkmcnt(2)
	ds_bpermute_b32 v25, v16, v21
	s_waitcnt lgkmcnt(2)
	ds_bpermute_b32 v24, v16, v20
	;; [unrolled: 31-line block ×3, first 2 shown]
	s_mov_b32 s17, exec_lo
	s_waitcnt lgkmcnt(2)
	v_cmp_lt_f32_e64 s16, v22, v23
	v_cmpx_nlt_f32_e32 v22, v23
	s_cbranch_execz .LBB245_28
; %bb.27:                               ;   in Loop: Header=BB245_10 Depth=1
	v_cmp_eq_f32_e64 s0, v22, v23
	s_waitcnt lgkmcnt(0)
	v_cmp_lt_i32_e64 s1, v24, v20
	s_delay_alu instid0(VALU_DEP_1) | instskip(SKIP_2) | instid1(SALU_CYCLE_1)
	s_and_b32 s0, s0, s1
	s_and_not1_b32 s1, s16, exec_lo
	s_and_b32 s0, s0, exec_lo
	s_or_b32 s16, s1, s0
.LBB245_28:                             ;   in Loop: Header=BB245_10 Depth=1
	s_or_b32 exec_lo, exec_lo, s17
	s_delay_alu instid0(VALU_DEP_2)
	s_and_saveexec_b32 s0, s16
	s_cbranch_execz .LBB245_30
; %bb.29:                               ;   in Loop: Header=BB245_10 Depth=1
	s_waitcnt lgkmcnt(1)
	v_dual_mov_b32 v21, v25 :: v_dual_mov_b32 v22, v23
	s_waitcnt lgkmcnt(0)
	v_mov_b32_e32 v20, v24
.LBB245_30:                             ;   in Loop: Header=BB245_10 Depth=1
	s_or_b32 exec_lo, exec_lo, s0
	s_waitcnt lgkmcnt(1)
	ds_bpermute_b32 v25, v18, v22
	ds_bpermute_b32 v23, v18, v21
	s_waitcnt lgkmcnt(2)
	ds_bpermute_b32 v24, v18, v20
	s_mov_b32 s17, exec_lo
	s_waitcnt lgkmcnt(2)
	v_cmp_lt_f32_e64 s16, v22, v25
	v_cmpx_nlt_f32_e32 v22, v25
	s_cbranch_execnz .LBB245_34
; %bb.31:                               ;   in Loop: Header=BB245_10 Depth=1
	s_or_b32 exec_lo, exec_lo, s17
	s_delay_alu instid0(VALU_DEP_2)
	s_and_saveexec_b32 s0, s16
	s_cbranch_execnz .LBB245_35
.LBB245_32:                             ;   in Loop: Header=BB245_10 Depth=1
	s_or_b32 exec_lo, exec_lo, s0
	s_and_saveexec_b32 s16, s2
	s_cbranch_execnz .LBB245_36
.LBB245_33:                             ;   in Loop: Header=BB245_10 Depth=1
	s_or_b32 exec_lo, exec_lo, s16
	s_add_i32 s7, s7, 1
	s_delay_alu instid0(SALU_CYCLE_1)
	s_cmp_ge_i32 s7, s4
	s_cbranch_scc1 .LBB245_9
	s_branch .LBB245_37
.LBB245_34:                             ;   in Loop: Header=BB245_10 Depth=1
	v_cmp_eq_f32_e64 s0, v22, v25
	s_waitcnt lgkmcnt(0)
	v_cmp_lt_i32_e64 s1, v24, v20
	s_delay_alu instid0(VALU_DEP_1) | instskip(SKIP_2) | instid1(SALU_CYCLE_1)
	s_and_b32 s0, s0, s1
	s_and_not1_b32 s1, s16, exec_lo
	s_and_b32 s0, s0, exec_lo
	s_or_b32 s16, s1, s0
	s_or_b32 exec_lo, exec_lo, s17
	s_and_saveexec_b32 s0, s16
	s_cbranch_execz .LBB245_32
.LBB245_35:                             ;   in Loop: Header=BB245_10 Depth=1
	s_waitcnt lgkmcnt(0)
	v_dual_mov_b32 v20, v24 :: v_dual_mov_b32 v21, v23
	s_or_b32 exec_lo, exec_lo, s0
	s_and_saveexec_b32 s16, s2
	s_cbranch_execz .LBB245_33
.LBB245_36:                             ;   in Loop: Header=BB245_10 Depth=1
	v_add_nc_u32_e32 v22, s7, v11
	v_subrev_nc_u32_e32 v26, s5, v20
	v_cmp_le_i32_e64 s0, s5, v20
	v_cmp_gt_i32_e64 s1, s6, v20
	v_add_f32_e32 v30, v12, v21
	s_waitcnt lgkmcnt(1)
	v_ashrrev_i32_e32 v23, 31, v22
	v_ashrrev_i32_e32 v27, 31, v26
	s_and_b32 s0, s0, s1
	v_cndmask_b32_e32 v12, v12, v30, vcc_lo
	s_waitcnt lgkmcnt(0)
	v_lshlrev_b64 v[24:25], 2, v[22:23]
	v_lshlrev_b64 v[22:23], 3, v[22:23]
	s_and_b32 s0, s15, s0
	s_delay_alu instid0(SALU_CYCLE_1) | instskip(SKIP_1) | instid1(VALU_DEP_4)
	v_cndmask_b32_e64 v27, 0, v27, s0
	v_cndmask_b32_e64 v26, 0x100, v26, s0
	v_add_co_u32 v28, s0, s12, v24
	s_delay_alu instid0(VALU_DEP_1) | instskip(SKIP_1) | instid1(VALU_DEP_1)
	v_add_co_ci_u32_e64 v29, s0, s13, v25, s0
	v_add_co_u32 v22, s0, s8, v22
	v_add_co_ci_u32_e64 v23, s0, s9, v23, s0
	v_add_co_u32 v24, s0, s10, v24
	s_delay_alu instid0(VALU_DEP_1)
	v_add_co_ci_u32_e64 v25, s0, s11, v25, s0
	global_store_b32 v[28:29], v21, off
	global_store_b64 v[22:23], v[26:27], off
	global_store_b32 v[24:25], v19, off
	s_or_b32 exec_lo, exec_lo, s16
	s_add_i32 s7, s7, 1
	s_delay_alu instid0(SALU_CYCLE_1)
	s_cmp_ge_i32 s7, s4
	s_cbranch_scc1 .LBB245_9
.LBB245_37:                             ;   in Loop: Header=BB245_10 Depth=1
	v_ashrrev_i32_e32 v21, 31, v20
	s_mov_b32 s1, exec_lo
	s_delay_alu instid0(VALU_DEP_1) | instskip(NEXT) | instid1(VALU_DEP_1)
	v_lshrrev_b32_e32 v22, 30, v21
	v_add_nc_u32_e32 v22, v20, v22
	s_waitcnt lgkmcnt(1)
	s_delay_alu instid0(VALU_DEP_1) | instskip(SKIP_1) | instid1(VALU_DEP_2)
	v_ashrrev_i32_e32 v23, 31, v22
	v_ashrrev_i32_e32 v22, 2, v22
	v_lshrrev_b32_e32 v23, 26, v23
	s_delay_alu instid0(VALU_DEP_1) | instskip(NEXT) | instid1(VALU_DEP_1)
	v_add_nc_u32_e32 v23, v22, v23
	v_and_b32_e32 v23, 0xffffffc0, v23
	s_delay_alu instid0(VALU_DEP_1) | instskip(NEXT) | instid1(VALU_DEP_1)
	v_sub_nc_u32_e32 v23, v22, v23
	v_cmpx_eq_u32_e64 v9, v23
	s_cbranch_execz .LBB245_8
; %bb.38:                               ;   in Loop: Header=BB245_10 Depth=1
	v_lshrrev_b32_e32 v21, 24, v21
	v_lshlrev_b32_e32 v22, 2, v22
	s_delay_alu instid0(VALU_DEP_2) | instskip(NEXT) | instid1(VALU_DEP_2)
	v_add_nc_u32_e32 v21, v20, v21
	v_sub_nc_u32_e32 v20, v20, v22
	s_delay_alu instid0(VALU_DEP_2) | instskip(NEXT) | instid1(VALU_DEP_1)
	v_ashrrev_i32_e32 v21, 8, v21
	v_lshl_add_u32 v20, v21, 2, v20
	s_delay_alu instid0(VALU_DEP_1) | instskip(NEXT) | instid1(VALU_DEP_1)
	v_cmp_ne_u32_e64 s0, 3, v20
	v_cndmask_b32_e64 v7, 0xc61c4000, v7, s0
	v_cmp_ne_u32_e64 s0, 2, v20
	s_delay_alu instid0(VALU_DEP_1) | instskip(SKIP_1) | instid1(VALU_DEP_1)
	v_cndmask_b32_e64 v6, 0xc61c4000, v6, s0
	v_cmp_ne_u32_e64 s0, 1, v20
	v_cndmask_b32_e64 v5, 0xc61c4000, v5, s0
	v_cmp_ne_u32_e64 s0, 0, v20
	s_delay_alu instid0(VALU_DEP_1)
	v_cndmask_b32_e64 v4, 0xc61c4000, v4, s0
	s_branch .LBB245_8
.LBB245_39:
                                        ; implicit-def: $vgpr4_vgpr5_vgpr6_vgpr7
	s_and_not1_b32 vcc_lo, exec_lo, s8
	s_cbranch_vccz .LBB245_5
	s_branch .LBB245_6
.LBB245_40:
	v_mov_b32_e32 v12, 0
.LBB245_41:
	v_cmp_eq_u32_e64 s0, 0, v9
	s_delay_alu instid0(VALU_DEP_1) | instskip(NEXT) | instid1(SALU_CYCLE_1)
	s_and_b32 s0, s0, vcc_lo
	s_and_b32 exec_lo, exec_lo, s0
	s_cbranch_execz .LBB245_45
; %bb.42:
	s_and_not1_b32 vcc_lo, exec_lo, s3
	s_cbranch_vccnz .LBB245_45
; %bb.43:
	v_mul_lo_u32 v0, v8, s4
	v_cmp_lt_f32_e32 vcc_lo, 0, v12
	v_cndmask_b32_e32 v2, 1.0, v12, vcc_lo
	s_delay_alu instid0(VALU_DEP_3) | instskip(NEXT) | instid1(VALU_DEP_1)
	v_ashrrev_i32_e32 v1, 31, v0
	v_lshlrev_b64 v[0:1], 2, v[0:1]
	s_delay_alu instid0(VALU_DEP_1) | instskip(NEXT) | instid1(VALU_DEP_2)
	v_add_co_u32 v0, vcc_lo, s12, v0
	v_add_co_ci_u32_e32 v1, vcc_lo, s13, v1, vcc_lo
	.p2align	6
.LBB245_44:                             ; =>This Inner Loop Header: Depth=1
	global_load_b32 v3, v[0:1], off
	s_add_i32 s4, s4, -1
	s_delay_alu instid0(SALU_CYCLE_1) | instskip(SKIP_3) | instid1(VALU_DEP_2)
	s_cmp_lg_u32 s4, 0
	s_waitcnt vmcnt(0)
	v_div_scale_f32 v4, null, v2, v2, v3
	v_div_scale_f32 v7, vcc_lo, v3, v2, v3
	v_rcp_f32_e32 v5, v4
	s_waitcnt_depctr 0xfff
	v_fma_f32 v6, -v4, v5, 1.0
	s_delay_alu instid0(VALU_DEP_1) | instskip(NEXT) | instid1(VALU_DEP_1)
	v_fmac_f32_e32 v5, v6, v5
	v_mul_f32_e32 v6, v7, v5
	s_delay_alu instid0(VALU_DEP_1) | instskip(NEXT) | instid1(VALU_DEP_1)
	v_fma_f32 v8, -v4, v6, v7
	v_fmac_f32_e32 v6, v8, v5
	s_delay_alu instid0(VALU_DEP_1) | instskip(NEXT) | instid1(VALU_DEP_1)
	v_fma_f32 v4, -v4, v6, v7
	v_div_fmas_f32 v4, v4, v5, v6
	s_delay_alu instid0(VALU_DEP_1)
	v_div_fixup_f32 v3, v4, v2, v3
	global_store_b32 v[0:1], v3, off
	v_add_co_u32 v0, vcc_lo, v0, 4
	v_add_co_ci_u32_e32 v1, vcc_lo, 0, v1, vcc_lo
	s_cbranch_scc1 .LBB245_44
.LBB245_45:
	s_nop 0
	s_sendmsg sendmsg(MSG_DEALLOC_VGPRS)
	s_endpgm
	.section	.rodata,"a",@progbits
	.p2align	6, 0x0
	.amdhsa_kernel _ZN4vllm3moe10topkGatingILi4ELi256ELi4ELi16ELi64ElfLNS0_11ScoringFuncE1EEEvPKT5_PKbPfiPT4_PiiiibPKf
		.amdhsa_group_segment_fixed_size 0
		.amdhsa_private_segment_fixed_size 0
		.amdhsa_kernarg_size 72
		.amdhsa_user_sgpr_count 15
		.amdhsa_user_sgpr_dispatch_ptr 0
		.amdhsa_user_sgpr_queue_ptr 0
		.amdhsa_user_sgpr_kernarg_segment_ptr 1
		.amdhsa_user_sgpr_dispatch_id 0
		.amdhsa_user_sgpr_private_segment_size 0
		.amdhsa_wavefront_size32 1
		.amdhsa_uses_dynamic_stack 0
		.amdhsa_enable_private_segment 0
		.amdhsa_system_sgpr_workgroup_id_x 1
		.amdhsa_system_sgpr_workgroup_id_y 0
		.amdhsa_system_sgpr_workgroup_id_z 0
		.amdhsa_system_sgpr_workgroup_info 0
		.amdhsa_system_vgpr_workitem_id 1
		.amdhsa_next_free_vgpr 31
		.amdhsa_next_free_sgpr 18
		.amdhsa_reserve_vcc 1
		.amdhsa_float_round_mode_32 0
		.amdhsa_float_round_mode_16_64 0
		.amdhsa_float_denorm_mode_32 3
		.amdhsa_float_denorm_mode_16_64 3
		.amdhsa_dx10_clamp 1
		.amdhsa_ieee_mode 1
		.amdhsa_fp16_overflow 0
		.amdhsa_workgroup_processor_mode 1
		.amdhsa_memory_ordered 1
		.amdhsa_forward_progress 0
		.amdhsa_shared_vgpr_count 0
		.amdhsa_exception_fp_ieee_invalid_op 0
		.amdhsa_exception_fp_denorm_src 0
		.amdhsa_exception_fp_ieee_div_zero 0
		.amdhsa_exception_fp_ieee_overflow 0
		.amdhsa_exception_fp_ieee_underflow 0
		.amdhsa_exception_fp_ieee_inexact 0
		.amdhsa_exception_int_div_zero 0
	.end_amdhsa_kernel
	.section	.text._ZN4vllm3moe10topkGatingILi4ELi256ELi4ELi16ELi64ElfLNS0_11ScoringFuncE1EEEvPKT5_PKbPfiPT4_PiiiibPKf,"axG",@progbits,_ZN4vllm3moe10topkGatingILi4ELi256ELi4ELi16ELi64ElfLNS0_11ScoringFuncE1EEEvPKT5_PKbPfiPT4_PiiiibPKf,comdat
.Lfunc_end245:
	.size	_ZN4vllm3moe10topkGatingILi4ELi256ELi4ELi16ELi64ElfLNS0_11ScoringFuncE1EEEvPKT5_PKbPfiPT4_PiiiibPKf, .Lfunc_end245-_ZN4vllm3moe10topkGatingILi4ELi256ELi4ELi16ELi64ElfLNS0_11ScoringFuncE1EEEvPKT5_PKbPfiPT4_PiiiibPKf
                                        ; -- End function
	.section	.AMDGPU.csdata,"",@progbits
; Kernel info:
; codeLenInByte = 2684
; NumSgprs: 20
; NumVgprs: 31
; ScratchSize: 0
; MemoryBound: 0
; FloatMode: 240
; IeeeMode: 1
; LDSByteSize: 0 bytes/workgroup (compile time only)
; SGPRBlocks: 2
; VGPRBlocks: 3
; NumSGPRsForWavesPerEU: 20
; NumVGPRsForWavesPerEU: 31
; Occupancy: 16
; WaveLimiterHint : 0
; COMPUTE_PGM_RSRC2:SCRATCH_EN: 0
; COMPUTE_PGM_RSRC2:USER_SGPR: 15
; COMPUTE_PGM_RSRC2:TRAP_HANDLER: 0
; COMPUTE_PGM_RSRC2:TGID_X_EN: 1
; COMPUTE_PGM_RSRC2:TGID_Y_EN: 0
; COMPUTE_PGM_RSRC2:TGID_Z_EN: 0
; COMPUTE_PGM_RSRC2:TIDIG_COMP_CNT: 1
	.section	.text._ZN4vllm3moe10topkGatingILi8ELi256ELi4ELi16ELi32ElfLNS0_11ScoringFuncE1EEEvPKT5_PKbPfiPT4_PiiiibPKf,"axG",@progbits,_ZN4vllm3moe10topkGatingILi8ELi256ELi4ELi16ELi32ElfLNS0_11ScoringFuncE1EEEvPKT5_PKbPfiPT4_PiiiibPKf,comdat
	.protected	_ZN4vllm3moe10topkGatingILi8ELi256ELi4ELi16ELi32ElfLNS0_11ScoringFuncE1EEEvPKT5_PKbPfiPT4_PiiiibPKf ; -- Begin function _ZN4vllm3moe10topkGatingILi8ELi256ELi4ELi16ELi32ElfLNS0_11ScoringFuncE1EEEvPKT5_PKbPfiPT4_PiiiibPKf
	.globl	_ZN4vllm3moe10topkGatingILi8ELi256ELi4ELi16ELi32ElfLNS0_11ScoringFuncE1EEEvPKT5_PKbPfiPT4_PiiiibPKf
	.p2align	8
	.type	_ZN4vllm3moe10topkGatingILi8ELi256ELi4ELi16ELi32ElfLNS0_11ScoringFuncE1EEEvPKT5_PKbPfiPT4_PiiiibPKf,@function
_ZN4vllm3moe10topkGatingILi8ELi256ELi4ELi16ELi32ElfLNS0_11ScoringFuncE1EEEvPKT5_PKbPfiPT4_PiiiibPKf: ; @_ZN4vllm3moe10topkGatingILi8ELi256ELi4ELi16ELi32ElfLNS0_11ScoringFuncE1EEEvPKT5_PKbPfiPT4_PiiiibPKf
; %bb.0:
	s_load_b32 s18, s[0:1], 0x18
	v_and_b32_e32 v1, 0x3ff, v0
	v_bfe_u32 v0, v0, 10, 10
	s_lshl_b32 s2, s15, 2
	s_delay_alu instid0(VALU_DEP_2) | instskip(NEXT) | instid1(VALU_DEP_1)
	v_lshrrev_b32_e32 v2, 5, v1
	v_add3_u32 v16, s2, v0, v2
	s_mov_b32 s2, exec_lo
	s_waitcnt lgkmcnt(0)
	s_delay_alu instid0(VALU_DEP_1)
	v_cmpx_gt_i32_e64 s18, v16
	s_cbranch_execz .LBB246_41
; %bb.1:
	s_clause 0x1
	s_load_b128 s[4:7], s[0:1], 0x0
	s_load_b64 s[16:17], s[0:1], 0x10
	s_mov_b32 s9, -1
	s_mov_b32 s19, -1
	s_waitcnt lgkmcnt(0)
	s_cmp_eq_u64 s[6:7], 0
	s_cbranch_scc1 .LBB246_3
; %bb.2:
	v_ashrrev_i32_e32 v0, 31, v16
	v_add_co_u32 v2, vcc_lo, s6, v16
	s_delay_alu instid0(VALU_DEP_2) | instskip(SKIP_3) | instid1(VALU_DEP_1)
	v_add_co_ci_u32_e32 v3, vcc_lo, s7, v0, vcc_lo
	global_load_u8 v0, v[2:3], off
	s_waitcnt vmcnt(0)
	v_and_b32_e32 v0, 1, v0
	v_cmp_eq_u32_e32 vcc_lo, 1, v0
	s_xor_b32 s2, vcc_lo, -1
	s_delay_alu instid0(SALU_CYCLE_1)
	s_or_not1_b32 s19, s2, exec_lo
.LBB246_3:
	v_lshlrev_b32_e32 v2, 8, v16
	v_and_b32_e32 v17, 31, v1
	s_load_b64 s[10:11], s[0:1], 0x40
	s_delay_alu instid0(VALU_DEP_2) | instskip(NEXT) | instid1(VALU_DEP_1)
	v_ashrrev_i32_e32 v3, 31, v2
	v_lshlrev_b64 v[0:1], 2, v[2:3]
	s_delay_alu instid0(VALU_DEP_3) | instskip(NEXT) | instid1(VALU_DEP_2)
	v_lshlrev_b32_e32 v2, 4, v17
	v_add_co_u32 v0, vcc_lo, s4, v0
	s_delay_alu instid0(VALU_DEP_3) | instskip(NEXT) | instid1(VALU_DEP_2)
	v_add_co_ci_u32_e32 v1, vcc_lo, s5, v1, vcc_lo
	v_add_co_u32 v4, vcc_lo, v0, v2
	s_delay_alu instid0(VALU_DEP_2)
	v_add_co_ci_u32_e32 v5, vcc_lo, 0, v1, vcc_lo
	s_waitcnt lgkmcnt(0)
	s_cmp_eq_u64 s[10:11], 0
	s_clause 0x1
	global_load_b128 v[0:3], v[4:5], off
	global_load_b128 v[4:7], v[4:5], off offset:512
	s_waitcnt vmcnt(1)
	v_mul_f32_e32 v3, 0xbfb8aa3b, v3
	v_dual_mul_f32 v1, 0xbfb8aa3b, v1 :: v_dual_mul_f32 v0, 0xbfb8aa3b, v0
	s_waitcnt vmcnt(0)
	v_dual_mul_f32 v2, 0xbfb8aa3b, v2 :: v_dual_mul_f32 v5, 0xbfb8aa3b, v5
	s_delay_alu instid0(VALU_DEP_3) | instskip(NEXT) | instid1(VALU_DEP_2)
	v_exp_f32_e32 v3, v3
	v_exp_f32_e32 v1, v1
	v_mul_f32_e32 v6, 0xbfb8aa3b, v6
	v_exp_f32_e32 v0, v0
	v_dual_mul_f32 v4, 0xbfb8aa3b, v4 :: v_dual_mul_f32 v7, 0xbfb8aa3b, v7
	v_lshlrev_b32_e32 v18, 2, v17
	v_exp_f32_e32 v5, v5
	v_exp_f32_e32 v2, v2
	s_delay_alu instid0(VALU_DEP_2)
	v_exp_f32_e32 v4, v4
	v_add_f32_e32 v3, 1.0, v3
	v_add_f32_e32 v1, 1.0, v1
	v_exp_f32_e32 v7, v7
	v_add_f32_e32 v0, 1.0, v0
	v_exp_f32_e32 v6, v6
	v_div_scale_f32 v14, null, v3, v3, 1.0
	v_add_f32_e32 v5, 1.0, v5
	v_div_scale_f32 v10, null, v1, v1, 1.0
	s_delay_alu instid0(VALU_DEP_3) | instskip(SKIP_1) | instid1(VALU_DEP_2)
	v_rcp_f32_e32 v29, v14
	v_div_scale_f32 v8, null, v0, v0, 1.0
	v_rcp_f32_e32 v27, v10
	v_dual_add_f32 v2, 1.0, v2 :: v_dual_add_f32 v7, 1.0, v7
	v_div_scale_f32 v21, null, v5, v5, 1.0
	s_delay_alu instid0(VALU_DEP_3) | instskip(NEXT) | instid1(VALU_DEP_2)
	v_rcp_f32_e32 v26, v8
	v_div_scale_f32 v12, null, v2, v2, 1.0
	s_delay_alu instid0(VALU_DEP_3)
	v_div_scale_f32 v25, null, v7, v7, 1.0
	s_waitcnt_depctr 0xfff
	v_fma_f32 v36, -v10, v27, 1.0
	v_add_f32_e32 v4, 1.0, v4
	v_fma_f32 v38, -v14, v29, 1.0
	v_add_f32_e32 v6, 1.0, v6
	v_rcp_f32_e32 v31, v21
	v_fmac_f32_e32 v27, v36, v27
	v_div_scale_f32 v19, null, v4, v4, 1.0
	v_fmac_f32_e32 v29, v38, v29
	v_div_scale_f32 v23, null, v6, v6, 1.0
	v_rcp_f32_e32 v28, v12
	s_delay_alu instid0(VALU_DEP_3)
	v_rcp_f32_e32 v30, v19
	v_rcp_f32_e32 v33, v25
	v_fma_f32 v35, -v8, v26, 1.0
	v_rcp_f32_e32 v32, v23
	v_div_scale_f32 v9, vcc_lo, 1.0, v0, 1.0
	v_fma_f32 v40, -v21, v31, 1.0
	s_delay_alu instid0(VALU_DEP_3) | instskip(SKIP_2) | instid1(VALU_DEP_4)
	v_fmac_f32_e32 v26, v35, v26
	v_div_scale_f32 v11, s2, 1.0, v1, 1.0
	v_fma_f32 v37, -v12, v28, 1.0
	v_fmac_f32_e32 v31, v40, v31
	v_fma_f32 v39, -v19, v30, 1.0
	v_fma_f32 v42, -v25, v33, 1.0
	v_dual_mul_f32 v35, v9, v26 :: v_dual_mul_f32 v36, v11, v27
	v_div_scale_f32 v13, s3, 1.0, v2, 1.0
	v_div_scale_f32 v20, s5, 1.0, v4, 1.0
	v_fma_f32 v41, -v23, v32, 1.0
	v_dual_fmac_f32 v28, v37, v28 :: v_dual_fmac_f32 v33, v42, v33
	v_fmac_f32_e32 v30, v39, v30
	v_div_scale_f32 v22, s6, 1.0, v5, 1.0
	s_delay_alu instid0(VALU_DEP_3) | instskip(SKIP_1) | instid1(VALU_DEP_4)
	v_mul_f32_e32 v37, v13, v28
	v_fma_f32 v43, -v8, v35, v9
	v_dual_fmac_f32 v32, v41, v32 :: v_dual_mul_f32 v39, v20, v30
	v_fma_f32 v44, -v10, v36, v11
	v_div_scale_f32 v15, s4, 1.0, v3, 1.0
	s_delay_alu instid0(VALU_DEP_4) | instskip(NEXT) | instid1(VALU_DEP_4)
	v_dual_mul_f32 v40, v22, v31 :: v_dual_fmac_f32 v35, v43, v26
	v_fma_f32 v47, -v19, v39, v20
	s_delay_alu instid0(VALU_DEP_4) | instskip(SKIP_4) | instid1(VALU_DEP_4)
	v_fmac_f32_e32 v36, v44, v27
	v_div_scale_f32 v24, s7, 1.0, v6, 1.0
	v_mul_f32_e32 v38, v15, v29
	v_fma_f32 v8, -v8, v35, v9
	v_div_scale_f32 v34, s8, 1.0, v7, 1.0
	v_mul_f32_e32 v41, v24, v32
	v_fma_f32 v45, -v12, v37, v13
	v_fmac_f32_e32 v39, v47, v30
	v_fma_f32 v9, -v10, v36, v11
	v_fma_f32 v46, -v14, v38, v15
	v_div_fmas_f32 v8, v8, v26, v35
	s_mov_b32 vcc_lo, s2
	v_dual_mul_f32 v42, v34, v33 :: v_dual_fmac_f32 v37, v45, v28
	v_fma_f32 v48, -v21, v40, v22
	v_div_fmas_f32 v9, v9, v27, v36
	v_fma_f32 v49, -v23, v41, v24
	v_fmac_f32_e32 v38, v46, v29
	v_fma_f32 v10, -v12, v37, v13
	s_mov_b32 vcc_lo, s3
	v_div_fixup_f32 v1, v9, v1, 1.0
	v_dual_fmac_f32 v41, v49, v32 :: v_dual_fmac_f32 v40, v48, v31
	v_fma_f32 v11, -v14, v38, v15
	v_fma_f32 v12, -v19, v39, v20
	v_div_fmas_f32 v10, v10, v28, v37
	s_mov_b32 vcc_lo, s4
	v_fma_f32 v13, -v21, v40, v22
	v_div_fixup_f32 v0, v8, v0, 1.0
	v_div_fmas_f32 v8, v11, v29, v38
	s_mov_b32 vcc_lo, s5
	v_fma_f32 v50, -v25, v42, v34
	v_div_fmas_f32 v9, v12, v30, v39
	s_mov_b32 vcc_lo, s6
	v_div_fixup_f32 v2, v10, v2, 1.0
	v_div_fmas_f32 v10, v13, v31, v40
	v_cmp_class_f32_e64 vcc_lo, v0, 0x1f8
	v_fma_f32 v14, -v23, v41, v24
	v_div_fixup_f32 v3, v8, v3, 1.0
	v_fmac_f32_e32 v42, v50, v33
	v_div_fixup_f32 v5, v10, v5, 1.0
	v_cndmask_b32_e32 v0, 0, v0, vcc_lo
	s_mov_b32 vcc_lo, s7
	v_div_fixup_f32 v4, v9, v4, 1.0
	v_div_fmas_f32 v8, v14, v32, v41
	v_cmp_class_f32_e64 vcc_lo, v1, 0x1f8
	v_fma_f32 v15, -v25, v42, v34
	s_delay_alu instid0(VALU_DEP_3) | instskip(SKIP_2) | instid1(VALU_DEP_3)
	v_div_fixup_f32 v6, v8, v6, 1.0
	v_cndmask_b32_e32 v1, 0, v1, vcc_lo
	s_mov_b32 vcc_lo, s8
	v_div_fmas_f32 v9, v15, v33, v42
	v_cmp_class_f32_e64 vcc_lo, v2, 0x1f8
	s_delay_alu instid0(VALU_DEP_2)
	v_div_fixup_f32 v7, v9, v7, 1.0
	v_cndmask_b32_e32 v2, 0, v2, vcc_lo
	v_cmp_class_f32_e64 vcc_lo, v3, 0x1f8
	v_cndmask_b32_e32 v3, 0, v3, vcc_lo
	v_cmp_class_f32_e64 vcc_lo, v4, 0x1f8
	;; [unrolled: 2-line block ×5, first 2 shown]
	v_cndmask_b32_e32 v7, 0, v7, vcc_lo
	s_cbranch_scc1 .LBB246_35
; %bb.4:
	v_lshlrev_b32_e32 v12, 2, v18
	s_clause 0x1
	global_load_b128 v[8:11], v12, s[10:11]
	global_load_b128 v[12:15], v12, s[10:11] offset:512
	s_waitcnt vmcnt(1)
	v_dual_add_f32 v9, v9, v1 :: v_dual_add_f32 v8, v8, v0
	v_dual_add_f32 v11, v11, v3 :: v_dual_add_f32 v10, v10, v2
	s_waitcnt vmcnt(0)
	v_dual_add_f32 v13, v13, v5 :: v_dual_add_f32 v12, v12, v4
	v_dual_add_f32 v15, v15, v7 :: v_dual_add_f32 v14, v14, v6
	s_cbranch_execnz .LBB246_6
.LBB246_5:
	v_dual_mov_b32 v15, v7 :: v_dual_mov_b32 v14, v6
	v_dual_mov_b32 v13, v5 :: v_dual_mov_b32 v12, v4
	v_dual_mov_b32 v11, v3 :: v_dual_mov_b32 v10, v2
	v_dual_mov_b32 v9, v1 :: v_dual_mov_b32 v8, v0
.LBB246_6:
	s_load_b128 s[8:11], s[0:1], 0x30
	v_cmp_eq_u32_e64 s2, 0, v17
	s_mov_b32 s6, 0
	s_waitcnt lgkmcnt(0)
	s_bitcmp1_b32 s11, 0
	s_cselect_b32 vcc_lo, -1, 0
	s_cmp_gt_i32 s8, 0
	s_cselect_b32 s5, -1, 0
	s_cmp_lt_i32 s8, 1
	s_cbranch_scc1 .LBB246_36
; %bb.7:
	v_mbcnt_lo_u32_b32 v20, -1, 0
	s_load_b128 s[12:15], s[0:1], 0x20
	v_mul_lo_u32 v19, v16, s8
	v_mov_b32_e32 v26, v16
	s_delay_alu instid0(VALU_DEP_3)
	v_xor_b32_e32 v21, 16, v20
	v_xor_b32_e32 v22, 8, v20
	v_xor_b32_e32 v23, 4, v20
	v_xor_b32_e32 v24, 2, v20
	v_xor_b32_e32 v25, 1, v20
	v_cmp_gt_i32_e64 s0, 32, v21
	s_delay_alu instid0(VALU_DEP_1) | instskip(SKIP_1) | instid1(VALU_DEP_2)
	v_cndmask_b32_e64 v21, v20, v21, s0
	v_cmp_gt_i32_e64 s0, 32, v22
	v_lshlrev_b32_e32 v21, 2, v21
	s_delay_alu instid0(VALU_DEP_2) | instskip(SKIP_1) | instid1(VALU_DEP_2)
	v_cndmask_b32_e64 v22, v20, v22, s0
	v_cmp_gt_i32_e64 s0, 32, v23
	v_lshlrev_b32_e32 v22, 2, v22
	s_delay_alu instid0(VALU_DEP_2) | instskip(SKIP_1) | instid1(VALU_DEP_2)
	;; [unrolled: 4-line block ×3, first 2 shown]
	v_cndmask_b32_e64 v24, v20, v24, s0
	v_cmp_gt_i32_e64 s0, 32, v25
	v_lshlrev_b32_e32 v24, 2, v24
	s_delay_alu instid0(VALU_DEP_2) | instskip(NEXT) | instid1(VALU_DEP_1)
	v_cndmask_b32_e64 v20, v20, v25, s0
	v_dual_mov_b32 v20, 0 :: v_dual_lshlrev_b32 v25, 2, v20
	s_branch .LBB246_10
.LBB246_8:                              ;   in Loop: Header=BB246_10 Depth=1
	s_or_b32 exec_lo, exec_lo, s1
.LBB246_9:                              ;   in Loop: Header=BB246_10 Depth=1
	v_add_nc_u32_e32 v26, s18, v26
	s_cmp_eq_u32 s8, s6
	s_cbranch_scc1 .LBB246_37
.LBB246_10:                             ; =>This Inner Loop Header: Depth=1
	v_cmp_gt_f32_e64 s0, v9, v8
	s_delay_alu instid0(VALU_DEP_1) | instskip(SKIP_2) | instid1(VALU_DEP_3)
	v_cndmask_b32_e64 v28, v8, v9, s0
	v_cndmask_b32_e64 v27, 0, 1, s0
	;; [unrolled: 1-line block ×3, first 2 shown]
	v_cmp_gt_f32_e64 s1, v10, v28
	s_delay_alu instid0(VALU_DEP_1) | instskip(NEXT) | instid1(VALU_DEP_4)
	v_cndmask_b32_e64 v28, v28, v10, s1
	v_cndmask_b32_e64 v27, v27, 2, s1
	s_delay_alu instid0(VALU_DEP_4) | instskip(NEXT) | instid1(VALU_DEP_3)
	v_cndmask_b32_e64 v29, v29, v2, s1
	v_cmp_gt_f32_e64 s3, v11, v28
	s_delay_alu instid0(VALU_DEP_1) | instskip(NEXT) | instid1(VALU_DEP_4)
	v_cndmask_b32_e64 v28, v28, v11, s3
	v_cndmask_b32_e64 v27, v27, 3, s3
	s_delay_alu instid0(VALU_DEP_4) | instskip(NEXT) | instid1(VALU_DEP_3)
	v_cndmask_b32_e64 v29, v29, v3, s3
	v_cmp_gt_f32_e64 s4, v12, v28
	s_delay_alu instid0(VALU_DEP_1) | instskip(NEXT) | instid1(VALU_DEP_4)
	v_cndmask_b32_e64 v28, v28, v12, s4
	v_cndmask_b32_e64 v27, v27, 0x80, s4
	s_delay_alu instid0(VALU_DEP_4) | instskip(SKIP_1) | instid1(VALU_DEP_3)
	v_cndmask_b32_e64 v29, v29, v4, s4
	s_mov_b32 s4, exec_lo
	v_cmp_gt_f32_e64 s0, v13, v28
	s_delay_alu instid0(VALU_DEP_1) | instskip(SKIP_2) | instid1(VALU_DEP_3)
	v_cndmask_b32_e64 v28, v28, v13, s0
	v_cndmask_b32_e64 v27, v27, 0x81, s0
	;; [unrolled: 1-line block ×3, first 2 shown]
	v_cmp_gt_f32_e64 s1, v14, v28
	s_delay_alu instid0(VALU_DEP_1) | instskip(NEXT) | instid1(VALU_DEP_4)
	v_cndmask_b32_e64 v28, v28, v14, s1
	v_cndmask_b32_e64 v27, v27, 0x82, s1
	s_waitcnt lgkmcnt(0)
	v_cndmask_b32_e64 v30, v29, v6, s1
	s_delay_alu instid0(VALU_DEP_3) | instskip(NEXT) | instid1(VALU_DEP_1)
	v_cmp_gt_f32_e64 s0, v15, v28
	v_cndmask_b32_e64 v27, v27, 0x83, s0
	v_cndmask_b32_e64 v29, v28, v15, s0
	s_delay_alu instid0(VALU_DEP_4) | instskip(NEXT) | instid1(VALU_DEP_3)
	v_cndmask_b32_e64 v28, v30, v7, s0
	v_or_b32_e32 v27, v18, v27
	ds_bpermute_b32 v30, v21, v29
	ds_bpermute_b32 v32, v21, v28
	;; [unrolled: 1-line block ×3, first 2 shown]
	s_waitcnt lgkmcnt(0)
	v_cmp_lt_f32_e64 s3, v29, v30
	v_cmpx_nlt_f32_e32 v29, v30
; %bb.11:                               ;   in Loop: Header=BB246_10 Depth=1
	v_cmp_eq_f32_e64 s0, v29, v30
	v_cmp_lt_i32_e64 s1, v31, v27
	s_delay_alu instid0(VALU_DEP_1) | instskip(SKIP_2) | instid1(SALU_CYCLE_1)
	s_and_b32 s0, s0, s1
	s_and_not1_b32 s1, s3, exec_lo
	s_and_b32 s0, s0, exec_lo
	s_or_b32 s3, s1, s0
; %bb.12:                               ;   in Loop: Header=BB246_10 Depth=1
	s_or_b32 exec_lo, exec_lo, s4
	s_and_saveexec_b32 s0, s3
; %bb.13:                               ;   in Loop: Header=BB246_10 Depth=1
	v_dual_mov_b32 v28, v32 :: v_dual_mov_b32 v29, v30
	v_mov_b32_e32 v27, v31
; %bb.14:                               ;   in Loop: Header=BB246_10 Depth=1
	s_or_b32 exec_lo, exec_lo, s0
	ds_bpermute_b32 v30, v22, v29
	ds_bpermute_b32 v32, v22, v28
	;; [unrolled: 1-line block ×3, first 2 shown]
	s_mov_b32 s4, exec_lo
	s_waitcnt lgkmcnt(2)
	v_cmp_lt_f32_e64 s3, v29, v30
	v_cmpx_nlt_f32_e32 v29, v30
	s_cbranch_execz .LBB246_16
; %bb.15:                               ;   in Loop: Header=BB246_10 Depth=1
	v_cmp_eq_f32_e64 s0, v29, v30
	s_waitcnt lgkmcnt(0)
	v_cmp_lt_i32_e64 s1, v31, v27
	s_delay_alu instid0(VALU_DEP_1) | instskip(SKIP_2) | instid1(SALU_CYCLE_1)
	s_and_b32 s0, s0, s1
	s_and_not1_b32 s1, s3, exec_lo
	s_and_b32 s0, s0, exec_lo
	s_or_b32 s3, s1, s0
.LBB246_16:                             ;   in Loop: Header=BB246_10 Depth=1
	s_or_b32 exec_lo, exec_lo, s4
	s_delay_alu instid0(VALU_DEP_2)
	s_and_saveexec_b32 s0, s3
	s_cbranch_execz .LBB246_18
; %bb.17:                               ;   in Loop: Header=BB246_10 Depth=1
	s_waitcnt lgkmcnt(1)
	v_dual_mov_b32 v28, v32 :: v_dual_mov_b32 v29, v30
	s_waitcnt lgkmcnt(0)
	v_mov_b32_e32 v27, v31
.LBB246_18:                             ;   in Loop: Header=BB246_10 Depth=1
	s_or_b32 exec_lo, exec_lo, s0
	ds_bpermute_b32 v30, v23, v29
	s_waitcnt lgkmcnt(2)
	ds_bpermute_b32 v32, v23, v28
	s_waitcnt lgkmcnt(2)
	ds_bpermute_b32 v31, v23, v27
	s_mov_b32 s4, exec_lo
	s_waitcnt lgkmcnt(2)
	v_cmp_lt_f32_e64 s3, v29, v30
	v_cmpx_nlt_f32_e32 v29, v30
	s_cbranch_execz .LBB246_20
; %bb.19:                               ;   in Loop: Header=BB246_10 Depth=1
	v_cmp_eq_f32_e64 s0, v29, v30
	s_waitcnt lgkmcnt(0)
	v_cmp_lt_i32_e64 s1, v31, v27
	s_delay_alu instid0(VALU_DEP_1) | instskip(SKIP_2) | instid1(SALU_CYCLE_1)
	s_and_b32 s0, s0, s1
	s_and_not1_b32 s1, s3, exec_lo
	s_and_b32 s0, s0, exec_lo
	s_or_b32 s3, s1, s0
.LBB246_20:                             ;   in Loop: Header=BB246_10 Depth=1
	s_or_b32 exec_lo, exec_lo, s4
	s_delay_alu instid0(VALU_DEP_2)
	s_and_saveexec_b32 s0, s3
	s_cbranch_execz .LBB246_22
; %bb.21:                               ;   in Loop: Header=BB246_10 Depth=1
	s_waitcnt lgkmcnt(1)
	v_dual_mov_b32 v28, v32 :: v_dual_mov_b32 v29, v30
	s_waitcnt lgkmcnt(0)
	v_mov_b32_e32 v27, v31
.LBB246_22:                             ;   in Loop: Header=BB246_10 Depth=1
	s_or_b32 exec_lo, exec_lo, s0
	ds_bpermute_b32 v30, v24, v29
	s_waitcnt lgkmcnt(2)
	ds_bpermute_b32 v32, v24, v28
	s_waitcnt lgkmcnt(2)
	ds_bpermute_b32 v31, v24, v27
	s_mov_b32 s4, exec_lo
	s_waitcnt lgkmcnt(2)
	v_cmp_lt_f32_e64 s3, v29, v30
	v_cmpx_nlt_f32_e32 v29, v30
	s_cbranch_execz .LBB246_24
; %bb.23:                               ;   in Loop: Header=BB246_10 Depth=1
	v_cmp_eq_f32_e64 s0, v29, v30
	s_waitcnt lgkmcnt(0)
	v_cmp_lt_i32_e64 s1, v31, v27
	s_delay_alu instid0(VALU_DEP_1) | instskip(SKIP_2) | instid1(SALU_CYCLE_1)
	s_and_b32 s0, s0, s1
	s_and_not1_b32 s1, s3, exec_lo
	s_and_b32 s0, s0, exec_lo
	s_or_b32 s3, s1, s0
.LBB246_24:                             ;   in Loop: Header=BB246_10 Depth=1
	s_or_b32 exec_lo, exec_lo, s4
	s_delay_alu instid0(VALU_DEP_2)
	s_and_saveexec_b32 s0, s3
	s_cbranch_execz .LBB246_26
; %bb.25:                               ;   in Loop: Header=BB246_10 Depth=1
	s_waitcnt lgkmcnt(1)
	v_dual_mov_b32 v28, v32 :: v_dual_mov_b32 v29, v30
	s_waitcnt lgkmcnt(0)
	v_mov_b32_e32 v27, v31
.LBB246_26:                             ;   in Loop: Header=BB246_10 Depth=1
	s_or_b32 exec_lo, exec_lo, s0
	s_waitcnt lgkmcnt(1)
	ds_bpermute_b32 v32, v25, v29
	ds_bpermute_b32 v30, v25, v28
	s_waitcnt lgkmcnt(2)
	ds_bpermute_b32 v31, v25, v27
	s_mov_b32 s4, exec_lo
	s_waitcnt lgkmcnt(2)
	v_cmp_lt_f32_e64 s3, v29, v32
	v_cmpx_nlt_f32_e32 v29, v32
	s_cbranch_execnz .LBB246_30
; %bb.27:                               ;   in Loop: Header=BB246_10 Depth=1
	s_or_b32 exec_lo, exec_lo, s4
	s_delay_alu instid0(VALU_DEP_2)
	s_and_saveexec_b32 s0, s3
	s_cbranch_execnz .LBB246_31
.LBB246_28:                             ;   in Loop: Header=BB246_10 Depth=1
	s_or_b32 exec_lo, exec_lo, s0
	s_and_saveexec_b32 s3, s2
	s_cbranch_execnz .LBB246_32
.LBB246_29:                             ;   in Loop: Header=BB246_10 Depth=1
	s_or_b32 exec_lo, exec_lo, s3
	s_add_i32 s6, s6, 1
	s_delay_alu instid0(SALU_CYCLE_1)
	s_cmp_ge_i32 s6, s8
	s_cbranch_scc1 .LBB246_9
	s_branch .LBB246_33
.LBB246_30:                             ;   in Loop: Header=BB246_10 Depth=1
	v_cmp_eq_f32_e64 s0, v29, v32
	s_waitcnt lgkmcnt(0)
	v_cmp_lt_i32_e64 s1, v31, v27
	s_delay_alu instid0(VALU_DEP_1) | instskip(SKIP_2) | instid1(SALU_CYCLE_1)
	s_and_b32 s0, s0, s1
	s_and_not1_b32 s1, s3, exec_lo
	s_and_b32 s0, s0, exec_lo
	s_or_b32 s3, s1, s0
	s_or_b32 exec_lo, exec_lo, s4
	s_and_saveexec_b32 s0, s3
	s_cbranch_execz .LBB246_28
.LBB246_31:                             ;   in Loop: Header=BB246_10 Depth=1
	s_waitcnt lgkmcnt(0)
	v_dual_mov_b32 v27, v31 :: v_dual_mov_b32 v28, v30
	s_or_b32 exec_lo, exec_lo, s0
	s_and_saveexec_b32 s3, s2
	s_cbranch_execz .LBB246_29
.LBB246_32:                             ;   in Loop: Header=BB246_10 Depth=1
	s_delay_alu instid0(VALU_DEP_1)
	v_add_f32_e32 v37, v20, v28
	v_add_nc_u32_e32 v29, s6, v19
	v_subrev_nc_u32_e32 v33, s9, v27
	v_cmp_le_i32_e64 s0, s9, v27
	v_cmp_gt_i32_e64 s1, s10, v27
	v_cndmask_b32_e32 v20, v20, v37, vcc_lo
	s_waitcnt lgkmcnt(1)
	v_ashrrev_i32_e32 v30, 31, v29
	v_ashrrev_i32_e32 v34, 31, v33
	s_and_b32 s0, s0, s1
	s_waitcnt lgkmcnt(0)
	s_delay_alu instid0(VALU_DEP_2) | instskip(SKIP_2) | instid1(SALU_CYCLE_1)
	v_lshlrev_b64 v[31:32], 2, v[29:30]
	v_lshlrev_b64 v[29:30], 3, v[29:30]
	s_and_b32 s0, s19, s0
	v_cndmask_b32_e64 v34, 0, v34, s0
	v_cndmask_b32_e64 v33, 0x100, v33, s0
	s_delay_alu instid0(VALU_DEP_4) | instskip(NEXT) | instid1(VALU_DEP_1)
	v_add_co_u32 v35, s0, s16, v31
	v_add_co_ci_u32_e64 v36, s0, s17, v32, s0
	v_add_co_u32 v29, s0, s12, v29
	s_delay_alu instid0(VALU_DEP_1) | instskip(SKIP_1) | instid1(VALU_DEP_1)
	v_add_co_ci_u32_e64 v30, s0, s13, v30, s0
	v_add_co_u32 v31, s0, s14, v31
	v_add_co_ci_u32_e64 v32, s0, s15, v32, s0
	global_store_b32 v[35:36], v28, off
	global_store_b64 v[29:30], v[33:34], off
	global_store_b32 v[31:32], v26, off
	s_or_b32 exec_lo, exec_lo, s3
	s_add_i32 s6, s6, 1
	s_delay_alu instid0(SALU_CYCLE_1)
	s_cmp_ge_i32 s6, s8
	s_cbranch_scc1 .LBB246_9
.LBB246_33:                             ;   in Loop: Header=BB246_10 Depth=1
	v_ashrrev_i32_e32 v28, 31, v27
	s_mov_b32 s1, exec_lo
	s_delay_alu instid0(VALU_DEP_1) | instskip(NEXT) | instid1(VALU_DEP_1)
	v_lshrrev_b32_e32 v29, 30, v28
	v_add_nc_u32_e32 v29, v27, v29
	s_waitcnt lgkmcnt(1)
	s_delay_alu instid0(VALU_DEP_1) | instskip(SKIP_1) | instid1(VALU_DEP_2)
	v_ashrrev_i32_e32 v30, 31, v29
	v_ashrrev_i32_e32 v29, 2, v29
	v_lshrrev_b32_e32 v30, 27, v30
	s_delay_alu instid0(VALU_DEP_1) | instskip(NEXT) | instid1(VALU_DEP_1)
	v_add_nc_u32_e32 v30, v29, v30
	v_and_b32_e32 v30, 0xffffffe0, v30
	s_delay_alu instid0(VALU_DEP_1) | instskip(NEXT) | instid1(VALU_DEP_1)
	v_sub_nc_u32_e32 v30, v29, v30
	v_cmpx_eq_u32_e64 v17, v30
	s_cbranch_execz .LBB246_8
; %bb.34:                               ;   in Loop: Header=BB246_10 Depth=1
	v_lshrrev_b32_e32 v28, 25, v28
	v_lshlrev_b32_e32 v29, 2, v29
	s_delay_alu instid0(VALU_DEP_2) | instskip(NEXT) | instid1(VALU_DEP_2)
	v_add_nc_u32_e32 v28, v27, v28
	v_sub_nc_u32_e32 v27, v27, v29
	s_delay_alu instid0(VALU_DEP_2) | instskip(NEXT) | instid1(VALU_DEP_1)
	v_ashrrev_i32_e32 v28, 7, v28
	v_lshl_add_u32 v27, v28, 2, v27
	s_delay_alu instid0(VALU_DEP_1) | instskip(NEXT) | instid1(VALU_DEP_1)
	v_cmp_ne_u32_e64 s0, 7, v27
	v_cndmask_b32_e64 v15, 0xc61c4000, v15, s0
	v_cmp_ne_u32_e64 s0, 6, v27
	s_delay_alu instid0(VALU_DEP_1) | instskip(SKIP_1) | instid1(VALU_DEP_1)
	v_cndmask_b32_e64 v14, 0xc61c4000, v14, s0
	v_cmp_ne_u32_e64 s0, 5, v27
	v_cndmask_b32_e64 v13, 0xc61c4000, v13, s0
	v_cmp_ne_u32_e64 s0, 4, v27
	s_delay_alu instid0(VALU_DEP_1) | instskip(SKIP_1) | instid1(VALU_DEP_1)
	v_cndmask_b32_e64 v12, 0xc61c4000, v12, s0
	v_cmp_ne_u32_e64 s0, 3, v27
	v_cndmask_b32_e64 v11, 0xc61c4000, v11, s0
	v_cmp_ne_u32_e64 s0, 2, v27
	s_delay_alu instid0(VALU_DEP_1) | instskip(SKIP_1) | instid1(VALU_DEP_1)
	v_cndmask_b32_e64 v10, 0xc61c4000, v10, s0
	v_cmp_ne_u32_e64 s0, 1, v27
	v_cndmask_b32_e64 v9, 0xc61c4000, v9, s0
	v_cmp_ne_u32_e64 s0, 0, v27
	s_delay_alu instid0(VALU_DEP_1)
	v_cndmask_b32_e64 v8, 0xc61c4000, v8, s0
	s_branch .LBB246_8
.LBB246_35:
                                        ; implicit-def: $vgpr8_vgpr9_vgpr10_vgpr11_vgpr12_vgpr13_vgpr14_vgpr15
	s_and_not1_b32 vcc_lo, exec_lo, s9
	s_cbranch_vccz .LBB246_5
	s_branch .LBB246_6
.LBB246_36:
	v_mov_b32_e32 v20, 0
.LBB246_37:
	v_cmp_eq_u32_e64 s0, 0, v17
	s_delay_alu instid0(VALU_DEP_1) | instskip(NEXT) | instid1(SALU_CYCLE_1)
	s_and_b32 s0, s0, vcc_lo
	s_and_b32 exec_lo, exec_lo, s0
	s_cbranch_execz .LBB246_41
; %bb.38:
	s_and_not1_b32 vcc_lo, exec_lo, s5
	s_cbranch_vccnz .LBB246_41
; %bb.39:
	v_mul_lo_u32 v0, v16, s8
	v_cmp_lt_f32_e32 vcc_lo, 0, v20
	v_cndmask_b32_e32 v2, 1.0, v20, vcc_lo
	s_delay_alu instid0(VALU_DEP_3) | instskip(NEXT) | instid1(VALU_DEP_1)
	v_ashrrev_i32_e32 v1, 31, v0
	v_lshlrev_b64 v[0:1], 2, v[0:1]
	s_delay_alu instid0(VALU_DEP_1) | instskip(NEXT) | instid1(VALU_DEP_2)
	v_add_co_u32 v0, vcc_lo, s16, v0
	v_add_co_ci_u32_e32 v1, vcc_lo, s17, v1, vcc_lo
	.p2align	6
.LBB246_40:                             ; =>This Inner Loop Header: Depth=1
	global_load_b32 v3, v[0:1], off
	s_add_i32 s8, s8, -1
	s_delay_alu instid0(SALU_CYCLE_1) | instskip(SKIP_3) | instid1(VALU_DEP_2)
	s_cmp_lg_u32 s8, 0
	s_waitcnt vmcnt(0)
	v_div_scale_f32 v4, null, v2, v2, v3
	v_div_scale_f32 v7, vcc_lo, v3, v2, v3
	v_rcp_f32_e32 v5, v4
	s_waitcnt_depctr 0xfff
	v_fma_f32 v6, -v4, v5, 1.0
	s_delay_alu instid0(VALU_DEP_1) | instskip(NEXT) | instid1(VALU_DEP_1)
	v_fmac_f32_e32 v5, v6, v5
	v_mul_f32_e32 v6, v7, v5
	s_delay_alu instid0(VALU_DEP_1) | instskip(NEXT) | instid1(VALU_DEP_1)
	v_fma_f32 v8, -v4, v6, v7
	v_fmac_f32_e32 v6, v8, v5
	s_delay_alu instid0(VALU_DEP_1) | instskip(NEXT) | instid1(VALU_DEP_1)
	v_fma_f32 v4, -v4, v6, v7
	v_div_fmas_f32 v4, v4, v5, v6
	s_delay_alu instid0(VALU_DEP_1)
	v_div_fixup_f32 v3, v4, v2, v3
	global_store_b32 v[0:1], v3, off
	v_add_co_u32 v0, vcc_lo, v0, 4
	v_add_co_ci_u32_e32 v1, vcc_lo, 0, v1, vcc_lo
	s_cbranch_scc1 .LBB246_40
.LBB246_41:
	s_nop 0
	s_sendmsg sendmsg(MSG_DEALLOC_VGPRS)
	s_endpgm
	.section	.rodata,"a",@progbits
	.p2align	6, 0x0
	.amdhsa_kernel _ZN4vllm3moe10topkGatingILi8ELi256ELi4ELi16ELi32ElfLNS0_11ScoringFuncE1EEEvPKT5_PKbPfiPT4_PiiiibPKf
		.amdhsa_group_segment_fixed_size 0
		.amdhsa_private_segment_fixed_size 0
		.amdhsa_kernarg_size 72
		.amdhsa_user_sgpr_count 15
		.amdhsa_user_sgpr_dispatch_ptr 0
		.amdhsa_user_sgpr_queue_ptr 0
		.amdhsa_user_sgpr_kernarg_segment_ptr 1
		.amdhsa_user_sgpr_dispatch_id 0
		.amdhsa_user_sgpr_private_segment_size 0
		.amdhsa_wavefront_size32 1
		.amdhsa_uses_dynamic_stack 0
		.amdhsa_enable_private_segment 0
		.amdhsa_system_sgpr_workgroup_id_x 1
		.amdhsa_system_sgpr_workgroup_id_y 0
		.amdhsa_system_sgpr_workgroup_id_z 0
		.amdhsa_system_sgpr_workgroup_info 0
		.amdhsa_system_vgpr_workitem_id 1
		.amdhsa_next_free_vgpr 51
		.amdhsa_next_free_sgpr 20
		.amdhsa_reserve_vcc 1
		.amdhsa_float_round_mode_32 0
		.amdhsa_float_round_mode_16_64 0
		.amdhsa_float_denorm_mode_32 3
		.amdhsa_float_denorm_mode_16_64 3
		.amdhsa_dx10_clamp 1
		.amdhsa_ieee_mode 1
		.amdhsa_fp16_overflow 0
		.amdhsa_workgroup_processor_mode 1
		.amdhsa_memory_ordered 1
		.amdhsa_forward_progress 0
		.amdhsa_shared_vgpr_count 0
		.amdhsa_exception_fp_ieee_invalid_op 0
		.amdhsa_exception_fp_denorm_src 0
		.amdhsa_exception_fp_ieee_div_zero 0
		.amdhsa_exception_fp_ieee_overflow 0
		.amdhsa_exception_fp_ieee_underflow 0
		.amdhsa_exception_fp_ieee_inexact 0
		.amdhsa_exception_int_div_zero 0
	.end_amdhsa_kernel
	.section	.text._ZN4vllm3moe10topkGatingILi8ELi256ELi4ELi16ELi32ElfLNS0_11ScoringFuncE1EEEvPKT5_PKbPfiPT4_PiiiibPKf,"axG",@progbits,_ZN4vllm3moe10topkGatingILi8ELi256ELi4ELi16ELi32ElfLNS0_11ScoringFuncE1EEEvPKT5_PKbPfiPT4_PiiiibPKf,comdat
.Lfunc_end246:
	.size	_ZN4vllm3moe10topkGatingILi8ELi256ELi4ELi16ELi32ElfLNS0_11ScoringFuncE1EEEvPKT5_PKbPfiPT4_PiiiibPKf, .Lfunc_end246-_ZN4vllm3moe10topkGatingILi8ELi256ELi4ELi16ELi32ElfLNS0_11ScoringFuncE1EEEvPKT5_PKbPfiPT4_PiiiibPKf
                                        ; -- End function
	.section	.AMDGPU.csdata,"",@progbits
; Kernel info:
; codeLenInByte = 3244
; NumSgprs: 22
; NumVgprs: 51
; ScratchSize: 0
; MemoryBound: 0
; FloatMode: 240
; IeeeMode: 1
; LDSByteSize: 0 bytes/workgroup (compile time only)
; SGPRBlocks: 2
; VGPRBlocks: 6
; NumSGPRsForWavesPerEU: 22
; NumVGPRsForWavesPerEU: 51
; Occupancy: 16
; WaveLimiterHint : 1
; COMPUTE_PGM_RSRC2:SCRATCH_EN: 0
; COMPUTE_PGM_RSRC2:USER_SGPR: 15
; COMPUTE_PGM_RSRC2:TRAP_HANDLER: 0
; COMPUTE_PGM_RSRC2:TGID_X_EN: 1
; COMPUTE_PGM_RSRC2:TGID_Y_EN: 0
; COMPUTE_PGM_RSRC2:TGID_Z_EN: 0
; COMPUTE_PGM_RSRC2:TIDIG_COMP_CNT: 1
	.section	.text._ZN4vllm3moe10topkGatingILi8ELi512ELi4ELi16ELi64ElfLNS0_11ScoringFuncE1EEEvPKT5_PKbPfiPT4_PiiiibPKf,"axG",@progbits,_ZN4vllm3moe10topkGatingILi8ELi512ELi4ELi16ELi64ElfLNS0_11ScoringFuncE1EEEvPKT5_PKbPfiPT4_PiiiibPKf,comdat
	.protected	_ZN4vllm3moe10topkGatingILi8ELi512ELi4ELi16ELi64ElfLNS0_11ScoringFuncE1EEEvPKT5_PKbPfiPT4_PiiiibPKf ; -- Begin function _ZN4vllm3moe10topkGatingILi8ELi512ELi4ELi16ELi64ElfLNS0_11ScoringFuncE1EEEvPKT5_PKbPfiPT4_PiiiibPKf
	.globl	_ZN4vllm3moe10topkGatingILi8ELi512ELi4ELi16ELi64ElfLNS0_11ScoringFuncE1EEEvPKT5_PKbPfiPT4_PiiiibPKf
	.p2align	8
	.type	_ZN4vllm3moe10topkGatingILi8ELi512ELi4ELi16ELi64ElfLNS0_11ScoringFuncE1EEEvPKT5_PKbPfiPT4_PiiiibPKf,@function
_ZN4vllm3moe10topkGatingILi8ELi512ELi4ELi16ELi64ElfLNS0_11ScoringFuncE1EEEvPKT5_PKbPfiPT4_PiiiibPKf: ; @_ZN4vllm3moe10topkGatingILi8ELi512ELi4ELi16ELi64ElfLNS0_11ScoringFuncE1EEEvPKT5_PKbPfiPT4_PiiiibPKf
; %bb.0:
	s_load_b32 s18, s[0:1], 0x18
	v_and_b32_e32 v1, 0x3ff, v0
	v_bfe_u32 v0, v0, 10, 10
	s_lshl_b32 s2, s15, 2
	s_delay_alu instid0(VALU_DEP_2) | instskip(NEXT) | instid1(VALU_DEP_1)
	v_lshrrev_b32_e32 v2, 6, v1
	v_add3_u32 v16, s2, v0, v2
	s_mov_b32 s2, exec_lo
	s_waitcnt lgkmcnt(0)
	s_delay_alu instid0(VALU_DEP_1)
	v_cmpx_gt_i32_e64 s18, v16
	s_cbranch_execz .LBB247_45
; %bb.1:
	s_clause 0x1
	s_load_b128 s[4:7], s[0:1], 0x0
	s_load_b64 s[16:17], s[0:1], 0x10
	s_mov_b32 s9, -1
	s_mov_b32 s19, -1
	s_waitcnt lgkmcnt(0)
	s_cmp_eq_u64 s[6:7], 0
	s_cbranch_scc1 .LBB247_3
; %bb.2:
	v_ashrrev_i32_e32 v0, 31, v16
	v_add_co_u32 v2, vcc_lo, s6, v16
	s_delay_alu instid0(VALU_DEP_2) | instskip(SKIP_3) | instid1(VALU_DEP_1)
	v_add_co_ci_u32_e32 v3, vcc_lo, s7, v0, vcc_lo
	global_load_u8 v0, v[2:3], off
	s_waitcnt vmcnt(0)
	v_and_b32_e32 v0, 1, v0
	v_cmp_eq_u32_e32 vcc_lo, 1, v0
	s_xor_b32 s2, vcc_lo, -1
	s_delay_alu instid0(SALU_CYCLE_1)
	s_or_not1_b32 s19, s2, exec_lo
.LBB247_3:
	v_lshlrev_b32_e32 v2, 9, v16
	v_and_b32_e32 v17, 63, v1
	s_load_b64 s[10:11], s[0:1], 0x40
	s_delay_alu instid0(VALU_DEP_2) | instskip(NEXT) | instid1(VALU_DEP_1)
	v_ashrrev_i32_e32 v3, 31, v2
	v_lshlrev_b64 v[0:1], 2, v[2:3]
	s_delay_alu instid0(VALU_DEP_3) | instskip(NEXT) | instid1(VALU_DEP_2)
	v_lshlrev_b32_e32 v2, 4, v17
	v_add_co_u32 v0, vcc_lo, s4, v0
	s_delay_alu instid0(VALU_DEP_3) | instskip(NEXT) | instid1(VALU_DEP_2)
	v_add_co_ci_u32_e32 v1, vcc_lo, s5, v1, vcc_lo
	v_add_co_u32 v4, vcc_lo, v0, v2
	s_delay_alu instid0(VALU_DEP_2)
	v_add_co_ci_u32_e32 v5, vcc_lo, 0, v1, vcc_lo
	s_waitcnt lgkmcnt(0)
	s_cmp_eq_u64 s[10:11], 0
	s_clause 0x1
	global_load_b128 v[0:3], v[4:5], off
	global_load_b128 v[4:7], v[4:5], off offset:1024
	s_waitcnt vmcnt(1)
	v_mul_f32_e32 v3, 0xbfb8aa3b, v3
	v_dual_mul_f32 v1, 0xbfb8aa3b, v1 :: v_dual_mul_f32 v0, 0xbfb8aa3b, v0
	s_waitcnt vmcnt(0)
	v_dual_mul_f32 v2, 0xbfb8aa3b, v2 :: v_dual_mul_f32 v5, 0xbfb8aa3b, v5
	s_delay_alu instid0(VALU_DEP_3) | instskip(NEXT) | instid1(VALU_DEP_2)
	v_exp_f32_e32 v3, v3
	v_exp_f32_e32 v1, v1
	v_mul_f32_e32 v6, 0xbfb8aa3b, v6
	v_exp_f32_e32 v0, v0
	v_dual_mul_f32 v4, 0xbfb8aa3b, v4 :: v_dual_mul_f32 v7, 0xbfb8aa3b, v7
	v_lshlrev_b32_e32 v18, 2, v17
	v_exp_f32_e32 v5, v5
	v_exp_f32_e32 v2, v2
	s_delay_alu instid0(VALU_DEP_2)
	v_exp_f32_e32 v4, v4
	v_add_f32_e32 v3, 1.0, v3
	v_add_f32_e32 v1, 1.0, v1
	v_exp_f32_e32 v7, v7
	v_add_f32_e32 v0, 1.0, v0
	v_exp_f32_e32 v6, v6
	v_div_scale_f32 v14, null, v3, v3, 1.0
	v_add_f32_e32 v5, 1.0, v5
	v_div_scale_f32 v10, null, v1, v1, 1.0
	s_delay_alu instid0(VALU_DEP_3) | instskip(SKIP_1) | instid1(VALU_DEP_2)
	v_rcp_f32_e32 v29, v14
	v_div_scale_f32 v8, null, v0, v0, 1.0
	v_rcp_f32_e32 v27, v10
	v_dual_add_f32 v2, 1.0, v2 :: v_dual_add_f32 v7, 1.0, v7
	v_div_scale_f32 v21, null, v5, v5, 1.0
	s_delay_alu instid0(VALU_DEP_3) | instskip(NEXT) | instid1(VALU_DEP_2)
	v_rcp_f32_e32 v26, v8
	v_div_scale_f32 v12, null, v2, v2, 1.0
	s_delay_alu instid0(VALU_DEP_3)
	v_div_scale_f32 v25, null, v7, v7, 1.0
	s_waitcnt_depctr 0xfff
	v_fma_f32 v36, -v10, v27, 1.0
	v_add_f32_e32 v4, 1.0, v4
	v_fma_f32 v38, -v14, v29, 1.0
	v_add_f32_e32 v6, 1.0, v6
	v_rcp_f32_e32 v31, v21
	v_fmac_f32_e32 v27, v36, v27
	v_div_scale_f32 v19, null, v4, v4, 1.0
	v_fmac_f32_e32 v29, v38, v29
	v_div_scale_f32 v23, null, v6, v6, 1.0
	v_rcp_f32_e32 v28, v12
	s_delay_alu instid0(VALU_DEP_3)
	v_rcp_f32_e32 v30, v19
	v_rcp_f32_e32 v33, v25
	v_fma_f32 v35, -v8, v26, 1.0
	v_rcp_f32_e32 v32, v23
	v_div_scale_f32 v9, vcc_lo, 1.0, v0, 1.0
	v_fma_f32 v40, -v21, v31, 1.0
	s_delay_alu instid0(VALU_DEP_3) | instskip(SKIP_2) | instid1(VALU_DEP_4)
	v_fmac_f32_e32 v26, v35, v26
	v_div_scale_f32 v11, s2, 1.0, v1, 1.0
	v_fma_f32 v37, -v12, v28, 1.0
	v_fmac_f32_e32 v31, v40, v31
	v_fma_f32 v39, -v19, v30, 1.0
	v_fma_f32 v42, -v25, v33, 1.0
	v_dual_mul_f32 v35, v9, v26 :: v_dual_mul_f32 v36, v11, v27
	v_div_scale_f32 v13, s3, 1.0, v2, 1.0
	v_div_scale_f32 v20, s5, 1.0, v4, 1.0
	v_fma_f32 v41, -v23, v32, 1.0
	v_dual_fmac_f32 v28, v37, v28 :: v_dual_fmac_f32 v33, v42, v33
	v_fmac_f32_e32 v30, v39, v30
	v_div_scale_f32 v22, s6, 1.0, v5, 1.0
	s_delay_alu instid0(VALU_DEP_3) | instskip(SKIP_1) | instid1(VALU_DEP_4)
	v_mul_f32_e32 v37, v13, v28
	v_fma_f32 v43, -v8, v35, v9
	v_dual_fmac_f32 v32, v41, v32 :: v_dual_mul_f32 v39, v20, v30
	v_fma_f32 v44, -v10, v36, v11
	v_div_scale_f32 v15, s4, 1.0, v3, 1.0
	s_delay_alu instid0(VALU_DEP_4) | instskip(NEXT) | instid1(VALU_DEP_4)
	v_dual_mul_f32 v40, v22, v31 :: v_dual_fmac_f32 v35, v43, v26
	v_fma_f32 v47, -v19, v39, v20
	s_delay_alu instid0(VALU_DEP_4) | instskip(SKIP_4) | instid1(VALU_DEP_4)
	v_fmac_f32_e32 v36, v44, v27
	v_div_scale_f32 v24, s7, 1.0, v6, 1.0
	v_mul_f32_e32 v38, v15, v29
	v_fma_f32 v8, -v8, v35, v9
	v_div_scale_f32 v34, s8, 1.0, v7, 1.0
	v_mul_f32_e32 v41, v24, v32
	v_fma_f32 v45, -v12, v37, v13
	v_fmac_f32_e32 v39, v47, v30
	v_fma_f32 v9, -v10, v36, v11
	v_fma_f32 v46, -v14, v38, v15
	v_div_fmas_f32 v8, v8, v26, v35
	s_mov_b32 vcc_lo, s2
	v_dual_mul_f32 v42, v34, v33 :: v_dual_fmac_f32 v37, v45, v28
	v_fma_f32 v48, -v21, v40, v22
	v_div_fmas_f32 v9, v9, v27, v36
	v_fma_f32 v49, -v23, v41, v24
	v_fmac_f32_e32 v38, v46, v29
	v_fma_f32 v10, -v12, v37, v13
	s_mov_b32 vcc_lo, s3
	v_div_fixup_f32 v1, v9, v1, 1.0
	v_dual_fmac_f32 v41, v49, v32 :: v_dual_fmac_f32 v40, v48, v31
	v_fma_f32 v11, -v14, v38, v15
	v_fma_f32 v12, -v19, v39, v20
	v_div_fmas_f32 v10, v10, v28, v37
	s_mov_b32 vcc_lo, s4
	v_fma_f32 v13, -v21, v40, v22
	v_div_fixup_f32 v0, v8, v0, 1.0
	v_div_fmas_f32 v8, v11, v29, v38
	s_mov_b32 vcc_lo, s5
	v_fma_f32 v50, -v25, v42, v34
	v_div_fmas_f32 v9, v12, v30, v39
	s_mov_b32 vcc_lo, s6
	v_div_fixup_f32 v2, v10, v2, 1.0
	v_div_fmas_f32 v10, v13, v31, v40
	v_cmp_class_f32_e64 vcc_lo, v0, 0x1f8
	v_fma_f32 v14, -v23, v41, v24
	v_div_fixup_f32 v3, v8, v3, 1.0
	v_fmac_f32_e32 v42, v50, v33
	v_div_fixup_f32 v5, v10, v5, 1.0
	v_cndmask_b32_e32 v0, 0, v0, vcc_lo
	s_mov_b32 vcc_lo, s7
	v_div_fixup_f32 v4, v9, v4, 1.0
	v_div_fmas_f32 v8, v14, v32, v41
	v_cmp_class_f32_e64 vcc_lo, v1, 0x1f8
	v_fma_f32 v15, -v25, v42, v34
	s_delay_alu instid0(VALU_DEP_3) | instskip(SKIP_2) | instid1(VALU_DEP_3)
	v_div_fixup_f32 v6, v8, v6, 1.0
	v_cndmask_b32_e32 v1, 0, v1, vcc_lo
	s_mov_b32 vcc_lo, s8
	v_div_fmas_f32 v9, v15, v33, v42
	v_cmp_class_f32_e64 vcc_lo, v2, 0x1f8
	s_delay_alu instid0(VALU_DEP_2)
	v_div_fixup_f32 v7, v9, v7, 1.0
	v_cndmask_b32_e32 v2, 0, v2, vcc_lo
	v_cmp_class_f32_e64 vcc_lo, v3, 0x1f8
	v_cndmask_b32_e32 v3, 0, v3, vcc_lo
	v_cmp_class_f32_e64 vcc_lo, v4, 0x1f8
	;; [unrolled: 2-line block ×5, first 2 shown]
	v_cndmask_b32_e32 v7, 0, v7, vcc_lo
	s_cbranch_scc1 .LBB247_39
; %bb.4:
	v_lshlrev_b32_e32 v12, 2, v18
	s_clause 0x1
	global_load_b128 v[8:11], v12, s[10:11]
	global_load_b128 v[12:15], v12, s[10:11] offset:1024
	s_waitcnt vmcnt(1)
	v_dual_add_f32 v9, v9, v1 :: v_dual_add_f32 v8, v8, v0
	v_dual_add_f32 v11, v11, v3 :: v_dual_add_f32 v10, v10, v2
	s_waitcnt vmcnt(0)
	v_dual_add_f32 v13, v13, v5 :: v_dual_add_f32 v12, v12, v4
	v_dual_add_f32 v15, v15, v7 :: v_dual_add_f32 v14, v14, v6
	s_cbranch_execnz .LBB247_6
.LBB247_5:
	v_dual_mov_b32 v15, v7 :: v_dual_mov_b32 v14, v6
	v_dual_mov_b32 v13, v5 :: v_dual_mov_b32 v12, v4
	;; [unrolled: 1-line block ×4, first 2 shown]
.LBB247_6:
	s_load_b128 s[8:11], s[0:1], 0x30
	v_cmp_eq_u32_e64 s2, 0, v17
	s_mov_b32 s6, 0
	s_waitcnt lgkmcnt(0)
	s_bitcmp1_b32 s11, 0
	s_cselect_b32 vcc_lo, -1, 0
	s_cmp_gt_i32 s8, 0
	s_cselect_b32 s5, -1, 0
	s_cmp_lt_i32 s8, 1
	s_cbranch_scc1 .LBB247_40
; %bb.7:
	v_mbcnt_lo_u32_b32 v20, -1, 0
	s_load_b128 s[12:15], s[0:1], 0x20
	v_mul_lo_u32 v19, v16, s8
	v_mov_b32_e32 v27, v16
	s_delay_alu instid0(VALU_DEP_3)
	v_or_b32_e32 v21, 32, v20
	v_xor_b32_e32 v22, 16, v20
	v_xor_b32_e32 v23, 8, v20
	;; [unrolled: 1-line block ×4, first 2 shown]
	v_cmp_gt_i32_e64 s0, 64, v21
	v_xor_b32_e32 v26, 1, v20
	s_delay_alu instid0(VALU_DEP_2) | instskip(SKIP_1) | instid1(VALU_DEP_2)
	v_cndmask_b32_e64 v21, v20, v21, s0
	v_cmp_gt_i32_e64 s0, 64, v22
	v_lshlrev_b32_e32 v21, 2, v21
	s_delay_alu instid0(VALU_DEP_2) | instskip(SKIP_1) | instid1(VALU_DEP_2)
	v_cndmask_b32_e64 v22, v20, v22, s0
	v_cmp_gt_i32_e64 s0, 64, v23
	v_lshlrev_b32_e32 v22, 2, v22
	;; [unrolled: 4-line block ×5, first 2 shown]
	s_delay_alu instid0(VALU_DEP_2) | instskip(NEXT) | instid1(VALU_DEP_1)
	v_cndmask_b32_e64 v20, v20, v26, s0
	v_lshlrev_b32_e32 v26, 2, v20
	v_mov_b32_e32 v20, 0
	s_branch .LBB247_10
.LBB247_8:                              ;   in Loop: Header=BB247_10 Depth=1
	s_or_b32 exec_lo, exec_lo, s1
.LBB247_9:                              ;   in Loop: Header=BB247_10 Depth=1
	v_add_nc_u32_e32 v27, s18, v27
	s_cmp_eq_u32 s8, s6
	s_cbranch_scc1 .LBB247_41
.LBB247_10:                             ; =>This Inner Loop Header: Depth=1
	v_cmp_gt_f32_e64 s0, v9, v8
	s_delay_alu instid0(VALU_DEP_1) | instskip(SKIP_2) | instid1(VALU_DEP_3)
	v_cndmask_b32_e64 v29, v8, v9, s0
	v_cndmask_b32_e64 v28, 0, 1, s0
	;; [unrolled: 1-line block ×3, first 2 shown]
	v_cmp_gt_f32_e64 s1, v10, v29
	s_delay_alu instid0(VALU_DEP_1) | instskip(NEXT) | instid1(VALU_DEP_4)
	v_cndmask_b32_e64 v29, v29, v10, s1
	v_cndmask_b32_e64 v28, v28, 2, s1
	s_delay_alu instid0(VALU_DEP_4) | instskip(NEXT) | instid1(VALU_DEP_3)
	v_cndmask_b32_e64 v30, v30, v2, s1
	v_cmp_gt_f32_e64 s3, v11, v29
	s_delay_alu instid0(VALU_DEP_1) | instskip(NEXT) | instid1(VALU_DEP_4)
	v_cndmask_b32_e64 v29, v29, v11, s3
	v_cndmask_b32_e64 v28, v28, 3, s3
	s_delay_alu instid0(VALU_DEP_4) | instskip(NEXT) | instid1(VALU_DEP_3)
	v_cndmask_b32_e64 v30, v30, v3, s3
	v_cmp_gt_f32_e64 s4, v12, v29
	s_delay_alu instid0(VALU_DEP_1) | instskip(NEXT) | instid1(VALU_DEP_4)
	v_cndmask_b32_e64 v29, v29, v12, s4
	v_cndmask_b32_e64 v28, v28, 0x100, s4
	s_delay_alu instid0(VALU_DEP_4) | instskip(SKIP_1) | instid1(VALU_DEP_3)
	v_cndmask_b32_e64 v30, v30, v4, s4
	s_mov_b32 s4, exec_lo
	v_cmp_gt_f32_e64 s0, v13, v29
	s_delay_alu instid0(VALU_DEP_1) | instskip(SKIP_2) | instid1(VALU_DEP_3)
	v_cndmask_b32_e64 v29, v29, v13, s0
	v_cndmask_b32_e64 v28, v28, 0x101, s0
	;; [unrolled: 1-line block ×3, first 2 shown]
	v_cmp_gt_f32_e64 s1, v14, v29
	s_delay_alu instid0(VALU_DEP_1) | instskip(NEXT) | instid1(VALU_DEP_4)
	v_cndmask_b32_e64 v29, v29, v14, s1
	v_cndmask_b32_e64 v28, v28, 0x102, s1
	s_waitcnt lgkmcnt(0)
	v_cndmask_b32_e64 v31, v30, v6, s1
	s_delay_alu instid0(VALU_DEP_3) | instskip(NEXT) | instid1(VALU_DEP_1)
	v_cmp_gt_f32_e64 s0, v15, v29
	v_cndmask_b32_e64 v28, v28, 0x103, s0
	v_cndmask_b32_e64 v30, v29, v15, s0
	s_delay_alu instid0(VALU_DEP_4) | instskip(NEXT) | instid1(VALU_DEP_3)
	v_cndmask_b32_e64 v29, v31, v7, s0
	v_or_b32_e32 v28, v18, v28
	ds_bpermute_b32 v31, v21, v30
	ds_bpermute_b32 v33, v21, v29
	;; [unrolled: 1-line block ×3, first 2 shown]
	s_waitcnt lgkmcnt(0)
	v_cmp_lt_f32_e64 s3, v30, v31
	v_cmpx_nlt_f32_e32 v30, v31
; %bb.11:                               ;   in Loop: Header=BB247_10 Depth=1
	v_cmp_eq_f32_e64 s0, v30, v31
	v_cmp_lt_i32_e64 s1, v32, v28
	s_delay_alu instid0(VALU_DEP_1) | instskip(SKIP_2) | instid1(SALU_CYCLE_1)
	s_and_b32 s0, s0, s1
	s_and_not1_b32 s1, s3, exec_lo
	s_and_b32 s0, s0, exec_lo
	s_or_b32 s3, s1, s0
; %bb.12:                               ;   in Loop: Header=BB247_10 Depth=1
	s_or_b32 exec_lo, exec_lo, s4
	s_and_saveexec_b32 s0, s3
; %bb.13:                               ;   in Loop: Header=BB247_10 Depth=1
	v_dual_mov_b32 v29, v33 :: v_dual_mov_b32 v30, v31
	v_mov_b32_e32 v28, v32
; %bb.14:                               ;   in Loop: Header=BB247_10 Depth=1
	s_or_b32 exec_lo, exec_lo, s0
	ds_bpermute_b32 v31, v22, v30
	ds_bpermute_b32 v33, v22, v29
	;; [unrolled: 1-line block ×3, first 2 shown]
	s_mov_b32 s4, exec_lo
	s_waitcnt lgkmcnt(2)
	v_cmp_lt_f32_e64 s3, v30, v31
	v_cmpx_nlt_f32_e32 v30, v31
	s_cbranch_execz .LBB247_16
; %bb.15:                               ;   in Loop: Header=BB247_10 Depth=1
	v_cmp_eq_f32_e64 s0, v30, v31
	s_waitcnt lgkmcnt(0)
	v_cmp_lt_i32_e64 s1, v32, v28
	s_delay_alu instid0(VALU_DEP_1) | instskip(SKIP_2) | instid1(SALU_CYCLE_1)
	s_and_b32 s0, s0, s1
	s_and_not1_b32 s1, s3, exec_lo
	s_and_b32 s0, s0, exec_lo
	s_or_b32 s3, s1, s0
.LBB247_16:                             ;   in Loop: Header=BB247_10 Depth=1
	s_or_b32 exec_lo, exec_lo, s4
	s_delay_alu instid0(VALU_DEP_2)
	s_and_saveexec_b32 s0, s3
	s_cbranch_execz .LBB247_18
; %bb.17:                               ;   in Loop: Header=BB247_10 Depth=1
	s_waitcnt lgkmcnt(1)
	v_dual_mov_b32 v29, v33 :: v_dual_mov_b32 v30, v31
	s_waitcnt lgkmcnt(0)
	v_mov_b32_e32 v28, v32
.LBB247_18:                             ;   in Loop: Header=BB247_10 Depth=1
	s_or_b32 exec_lo, exec_lo, s0
	ds_bpermute_b32 v31, v23, v30
	s_waitcnt lgkmcnt(2)
	ds_bpermute_b32 v33, v23, v29
	s_waitcnt lgkmcnt(2)
	ds_bpermute_b32 v32, v23, v28
	s_mov_b32 s4, exec_lo
	s_waitcnt lgkmcnt(2)
	v_cmp_lt_f32_e64 s3, v30, v31
	v_cmpx_nlt_f32_e32 v30, v31
	s_cbranch_execz .LBB247_20
; %bb.19:                               ;   in Loop: Header=BB247_10 Depth=1
	v_cmp_eq_f32_e64 s0, v30, v31
	s_waitcnt lgkmcnt(0)
	v_cmp_lt_i32_e64 s1, v32, v28
	s_delay_alu instid0(VALU_DEP_1) | instskip(SKIP_2) | instid1(SALU_CYCLE_1)
	s_and_b32 s0, s0, s1
	s_and_not1_b32 s1, s3, exec_lo
	s_and_b32 s0, s0, exec_lo
	s_or_b32 s3, s1, s0
.LBB247_20:                             ;   in Loop: Header=BB247_10 Depth=1
	s_or_b32 exec_lo, exec_lo, s4
	s_delay_alu instid0(VALU_DEP_2)
	s_and_saveexec_b32 s0, s3
	s_cbranch_execz .LBB247_22
; %bb.21:                               ;   in Loop: Header=BB247_10 Depth=1
	s_waitcnt lgkmcnt(1)
	v_dual_mov_b32 v29, v33 :: v_dual_mov_b32 v30, v31
	s_waitcnt lgkmcnt(0)
	v_mov_b32_e32 v28, v32
.LBB247_22:                             ;   in Loop: Header=BB247_10 Depth=1
	s_or_b32 exec_lo, exec_lo, s0
	ds_bpermute_b32 v31, v24, v30
	s_waitcnt lgkmcnt(2)
	ds_bpermute_b32 v33, v24, v29
	s_waitcnt lgkmcnt(2)
	ds_bpermute_b32 v32, v24, v28
	;; [unrolled: 31-line block ×3, first 2 shown]
	s_mov_b32 s4, exec_lo
	s_waitcnt lgkmcnt(2)
	v_cmp_lt_f32_e64 s3, v30, v31
	v_cmpx_nlt_f32_e32 v30, v31
	s_cbranch_execz .LBB247_28
; %bb.27:                               ;   in Loop: Header=BB247_10 Depth=1
	v_cmp_eq_f32_e64 s0, v30, v31
	s_waitcnt lgkmcnt(0)
	v_cmp_lt_i32_e64 s1, v32, v28
	s_delay_alu instid0(VALU_DEP_1) | instskip(SKIP_2) | instid1(SALU_CYCLE_1)
	s_and_b32 s0, s0, s1
	s_and_not1_b32 s1, s3, exec_lo
	s_and_b32 s0, s0, exec_lo
	s_or_b32 s3, s1, s0
.LBB247_28:                             ;   in Loop: Header=BB247_10 Depth=1
	s_or_b32 exec_lo, exec_lo, s4
	s_delay_alu instid0(VALU_DEP_2)
	s_and_saveexec_b32 s0, s3
	s_cbranch_execz .LBB247_30
; %bb.29:                               ;   in Loop: Header=BB247_10 Depth=1
	s_waitcnt lgkmcnt(1)
	v_dual_mov_b32 v29, v33 :: v_dual_mov_b32 v30, v31
	s_waitcnt lgkmcnt(0)
	v_mov_b32_e32 v28, v32
.LBB247_30:                             ;   in Loop: Header=BB247_10 Depth=1
	s_or_b32 exec_lo, exec_lo, s0
	s_waitcnt lgkmcnt(1)
	ds_bpermute_b32 v33, v26, v30
	ds_bpermute_b32 v31, v26, v29
	s_waitcnt lgkmcnt(2)
	ds_bpermute_b32 v32, v26, v28
	s_mov_b32 s4, exec_lo
	s_waitcnt lgkmcnt(2)
	v_cmp_lt_f32_e64 s3, v30, v33
	v_cmpx_nlt_f32_e32 v30, v33
	s_cbranch_execnz .LBB247_34
; %bb.31:                               ;   in Loop: Header=BB247_10 Depth=1
	s_or_b32 exec_lo, exec_lo, s4
	s_delay_alu instid0(VALU_DEP_2)
	s_and_saveexec_b32 s0, s3
	s_cbranch_execnz .LBB247_35
.LBB247_32:                             ;   in Loop: Header=BB247_10 Depth=1
	s_or_b32 exec_lo, exec_lo, s0
	s_and_saveexec_b32 s3, s2
	s_cbranch_execnz .LBB247_36
.LBB247_33:                             ;   in Loop: Header=BB247_10 Depth=1
	s_or_b32 exec_lo, exec_lo, s3
	s_add_i32 s6, s6, 1
	s_delay_alu instid0(SALU_CYCLE_1)
	s_cmp_ge_i32 s6, s8
	s_cbranch_scc1 .LBB247_9
	s_branch .LBB247_37
.LBB247_34:                             ;   in Loop: Header=BB247_10 Depth=1
	v_cmp_eq_f32_e64 s0, v30, v33
	s_waitcnt lgkmcnt(0)
	v_cmp_lt_i32_e64 s1, v32, v28
	s_delay_alu instid0(VALU_DEP_1) | instskip(SKIP_2) | instid1(SALU_CYCLE_1)
	s_and_b32 s0, s0, s1
	s_and_not1_b32 s1, s3, exec_lo
	s_and_b32 s0, s0, exec_lo
	s_or_b32 s3, s1, s0
	s_or_b32 exec_lo, exec_lo, s4
	s_and_saveexec_b32 s0, s3
	s_cbranch_execz .LBB247_32
.LBB247_35:                             ;   in Loop: Header=BB247_10 Depth=1
	s_waitcnt lgkmcnt(0)
	v_dual_mov_b32 v28, v32 :: v_dual_mov_b32 v29, v31
	s_or_b32 exec_lo, exec_lo, s0
	s_and_saveexec_b32 s3, s2
	s_cbranch_execz .LBB247_33
.LBB247_36:                             ;   in Loop: Header=BB247_10 Depth=1
	v_add_nc_u32_e32 v30, s6, v19
	v_subrev_nc_u32_e32 v34, s9, v28
	v_cmp_le_i32_e64 s0, s9, v28
	v_cmp_gt_i32_e64 s1, s10, v28
	v_add_f32_e32 v38, v20, v29
	s_waitcnt lgkmcnt(1)
	v_ashrrev_i32_e32 v31, 31, v30
	v_ashrrev_i32_e32 v35, 31, v34
	s_and_b32 s0, s0, s1
	v_cndmask_b32_e32 v20, v20, v38, vcc_lo
	s_waitcnt lgkmcnt(0)
	v_lshlrev_b64 v[32:33], 2, v[30:31]
	v_lshlrev_b64 v[30:31], 3, v[30:31]
	s_and_b32 s0, s19, s0
	s_delay_alu instid0(SALU_CYCLE_1) | instskip(SKIP_1) | instid1(VALU_DEP_4)
	v_cndmask_b32_e64 v35, 0, v35, s0
	v_cndmask_b32_e64 v34, 0x200, v34, s0
	v_add_co_u32 v36, s0, s16, v32
	s_delay_alu instid0(VALU_DEP_1) | instskip(SKIP_1) | instid1(VALU_DEP_1)
	v_add_co_ci_u32_e64 v37, s0, s17, v33, s0
	v_add_co_u32 v30, s0, s12, v30
	v_add_co_ci_u32_e64 v31, s0, s13, v31, s0
	v_add_co_u32 v32, s0, s14, v32
	s_delay_alu instid0(VALU_DEP_1)
	v_add_co_ci_u32_e64 v33, s0, s15, v33, s0
	global_store_b32 v[36:37], v29, off
	global_store_b64 v[30:31], v[34:35], off
	global_store_b32 v[32:33], v27, off
	s_or_b32 exec_lo, exec_lo, s3
	s_add_i32 s6, s6, 1
	s_delay_alu instid0(SALU_CYCLE_1)
	s_cmp_ge_i32 s6, s8
	s_cbranch_scc1 .LBB247_9
.LBB247_37:                             ;   in Loop: Header=BB247_10 Depth=1
	v_ashrrev_i32_e32 v29, 31, v28
	s_mov_b32 s1, exec_lo
	s_delay_alu instid0(VALU_DEP_1) | instskip(NEXT) | instid1(VALU_DEP_1)
	v_lshrrev_b32_e32 v30, 30, v29
	v_add_nc_u32_e32 v30, v28, v30
	s_waitcnt lgkmcnt(1)
	s_delay_alu instid0(VALU_DEP_1) | instskip(SKIP_1) | instid1(VALU_DEP_2)
	v_ashrrev_i32_e32 v31, 31, v30
	v_ashrrev_i32_e32 v30, 2, v30
	v_lshrrev_b32_e32 v31, 26, v31
	s_delay_alu instid0(VALU_DEP_1) | instskip(NEXT) | instid1(VALU_DEP_1)
	v_add_nc_u32_e32 v31, v30, v31
	v_and_b32_e32 v31, 0xffffffc0, v31
	s_delay_alu instid0(VALU_DEP_1) | instskip(NEXT) | instid1(VALU_DEP_1)
	v_sub_nc_u32_e32 v31, v30, v31
	v_cmpx_eq_u32_e64 v17, v31
	s_cbranch_execz .LBB247_8
; %bb.38:                               ;   in Loop: Header=BB247_10 Depth=1
	v_lshrrev_b32_e32 v29, 24, v29
	v_lshlrev_b32_e32 v30, 2, v30
	s_delay_alu instid0(VALU_DEP_2) | instskip(NEXT) | instid1(VALU_DEP_2)
	v_add_nc_u32_e32 v29, v28, v29
	v_sub_nc_u32_e32 v28, v28, v30
	s_delay_alu instid0(VALU_DEP_2) | instskip(NEXT) | instid1(VALU_DEP_1)
	v_ashrrev_i32_e32 v29, 8, v29
	v_lshl_add_u32 v28, v29, 2, v28
	s_delay_alu instid0(VALU_DEP_1) | instskip(NEXT) | instid1(VALU_DEP_1)
	v_cmp_ne_u32_e64 s0, 7, v28
	v_cndmask_b32_e64 v15, 0xc61c4000, v15, s0
	v_cmp_ne_u32_e64 s0, 6, v28
	s_delay_alu instid0(VALU_DEP_1) | instskip(SKIP_1) | instid1(VALU_DEP_1)
	v_cndmask_b32_e64 v14, 0xc61c4000, v14, s0
	v_cmp_ne_u32_e64 s0, 5, v28
	v_cndmask_b32_e64 v13, 0xc61c4000, v13, s0
	v_cmp_ne_u32_e64 s0, 4, v28
	s_delay_alu instid0(VALU_DEP_1) | instskip(SKIP_1) | instid1(VALU_DEP_1)
	v_cndmask_b32_e64 v12, 0xc61c4000, v12, s0
	;; [unrolled: 5-line block ×3, first 2 shown]
	v_cmp_ne_u32_e64 s0, 1, v28
	v_cndmask_b32_e64 v9, 0xc61c4000, v9, s0
	v_cmp_ne_u32_e64 s0, 0, v28
	s_delay_alu instid0(VALU_DEP_1)
	v_cndmask_b32_e64 v8, 0xc61c4000, v8, s0
	s_branch .LBB247_8
.LBB247_39:
                                        ; implicit-def: $vgpr8_vgpr9_vgpr10_vgpr11_vgpr12_vgpr13_vgpr14_vgpr15
	s_and_not1_b32 vcc_lo, exec_lo, s9
	s_cbranch_vccz .LBB247_5
	s_branch .LBB247_6
.LBB247_40:
	v_mov_b32_e32 v20, 0
.LBB247_41:
	v_cmp_eq_u32_e64 s0, 0, v17
	s_delay_alu instid0(VALU_DEP_1) | instskip(NEXT) | instid1(SALU_CYCLE_1)
	s_and_b32 s0, s0, vcc_lo
	s_and_b32 exec_lo, exec_lo, s0
	s_cbranch_execz .LBB247_45
; %bb.42:
	s_and_not1_b32 vcc_lo, exec_lo, s5
	s_cbranch_vccnz .LBB247_45
; %bb.43:
	v_mul_lo_u32 v0, v16, s8
	v_cmp_lt_f32_e32 vcc_lo, 0, v20
	v_cndmask_b32_e32 v2, 1.0, v20, vcc_lo
	s_delay_alu instid0(VALU_DEP_3) | instskip(NEXT) | instid1(VALU_DEP_1)
	v_ashrrev_i32_e32 v1, 31, v0
	v_lshlrev_b64 v[0:1], 2, v[0:1]
	s_delay_alu instid0(VALU_DEP_1) | instskip(NEXT) | instid1(VALU_DEP_2)
	v_add_co_u32 v0, vcc_lo, s16, v0
	v_add_co_ci_u32_e32 v1, vcc_lo, s17, v1, vcc_lo
	.p2align	6
.LBB247_44:                             ; =>This Inner Loop Header: Depth=1
	global_load_b32 v3, v[0:1], off
	s_add_i32 s8, s8, -1
	s_delay_alu instid0(SALU_CYCLE_1) | instskip(SKIP_3) | instid1(VALU_DEP_2)
	s_cmp_lg_u32 s8, 0
	s_waitcnt vmcnt(0)
	v_div_scale_f32 v4, null, v2, v2, v3
	v_div_scale_f32 v7, vcc_lo, v3, v2, v3
	v_rcp_f32_e32 v5, v4
	s_waitcnt_depctr 0xfff
	v_fma_f32 v6, -v4, v5, 1.0
	s_delay_alu instid0(VALU_DEP_1) | instskip(NEXT) | instid1(VALU_DEP_1)
	v_fmac_f32_e32 v5, v6, v5
	v_mul_f32_e32 v6, v7, v5
	s_delay_alu instid0(VALU_DEP_1) | instskip(NEXT) | instid1(VALU_DEP_1)
	v_fma_f32 v8, -v4, v6, v7
	v_fmac_f32_e32 v6, v8, v5
	s_delay_alu instid0(VALU_DEP_1) | instskip(NEXT) | instid1(VALU_DEP_1)
	v_fma_f32 v4, -v4, v6, v7
	v_div_fmas_f32 v4, v4, v5, v6
	s_delay_alu instid0(VALU_DEP_1)
	v_div_fixup_f32 v3, v4, v2, v3
	global_store_b32 v[0:1], v3, off
	v_add_co_u32 v0, vcc_lo, v0, 4
	v_add_co_ci_u32_e32 v1, vcc_lo, 0, v1, vcc_lo
	s_cbranch_scc1 .LBB247_44
.LBB247_45:
	s_nop 0
	s_sendmsg sendmsg(MSG_DEALLOC_VGPRS)
	s_endpgm
	.section	.rodata,"a",@progbits
	.p2align	6, 0x0
	.amdhsa_kernel _ZN4vllm3moe10topkGatingILi8ELi512ELi4ELi16ELi64ElfLNS0_11ScoringFuncE1EEEvPKT5_PKbPfiPT4_PiiiibPKf
		.amdhsa_group_segment_fixed_size 0
		.amdhsa_private_segment_fixed_size 0
		.amdhsa_kernarg_size 72
		.amdhsa_user_sgpr_count 15
		.amdhsa_user_sgpr_dispatch_ptr 0
		.amdhsa_user_sgpr_queue_ptr 0
		.amdhsa_user_sgpr_kernarg_segment_ptr 1
		.amdhsa_user_sgpr_dispatch_id 0
		.amdhsa_user_sgpr_private_segment_size 0
		.amdhsa_wavefront_size32 1
		.amdhsa_uses_dynamic_stack 0
		.amdhsa_enable_private_segment 0
		.amdhsa_system_sgpr_workgroup_id_x 1
		.amdhsa_system_sgpr_workgroup_id_y 0
		.amdhsa_system_sgpr_workgroup_id_z 0
		.amdhsa_system_sgpr_workgroup_info 0
		.amdhsa_system_vgpr_workitem_id 1
		.amdhsa_next_free_vgpr 51
		.amdhsa_next_free_sgpr 20
		.amdhsa_reserve_vcc 1
		.amdhsa_float_round_mode_32 0
		.amdhsa_float_round_mode_16_64 0
		.amdhsa_float_denorm_mode_32 3
		.amdhsa_float_denorm_mode_16_64 3
		.amdhsa_dx10_clamp 1
		.amdhsa_ieee_mode 1
		.amdhsa_fp16_overflow 0
		.amdhsa_workgroup_processor_mode 1
		.amdhsa_memory_ordered 1
		.amdhsa_forward_progress 0
		.amdhsa_shared_vgpr_count 0
		.amdhsa_exception_fp_ieee_invalid_op 0
		.amdhsa_exception_fp_denorm_src 0
		.amdhsa_exception_fp_ieee_div_zero 0
		.amdhsa_exception_fp_ieee_overflow 0
		.amdhsa_exception_fp_ieee_underflow 0
		.amdhsa_exception_fp_ieee_inexact 0
		.amdhsa_exception_int_div_zero 0
	.end_amdhsa_kernel
	.section	.text._ZN4vllm3moe10topkGatingILi8ELi512ELi4ELi16ELi64ElfLNS0_11ScoringFuncE1EEEvPKT5_PKbPfiPT4_PiiiibPKf,"axG",@progbits,_ZN4vllm3moe10topkGatingILi8ELi512ELi4ELi16ELi64ElfLNS0_11ScoringFuncE1EEEvPKT5_PKbPfiPT4_PiiiibPKf,comdat
.Lfunc_end247:
	.size	_ZN4vllm3moe10topkGatingILi8ELi512ELi4ELi16ELi64ElfLNS0_11ScoringFuncE1EEEvPKT5_PKbPfiPT4_PiiiibPKf, .Lfunc_end247-_ZN4vllm3moe10topkGatingILi8ELi512ELi4ELi16ELi64ElfLNS0_11ScoringFuncE1EEEvPKT5_PKbPfiPT4_PiiiibPKf
                                        ; -- End function
	.section	.AMDGPU.csdata,"",@progbits
; Kernel info:
; codeLenInByte = 3404
; NumSgprs: 22
; NumVgprs: 51
; ScratchSize: 0
; MemoryBound: 0
; FloatMode: 240
; IeeeMode: 1
; LDSByteSize: 0 bytes/workgroup (compile time only)
; SGPRBlocks: 2
; VGPRBlocks: 6
; NumSGPRsForWavesPerEU: 22
; NumVGPRsForWavesPerEU: 51
; Occupancy: 16
; WaveLimiterHint : 1
; COMPUTE_PGM_RSRC2:SCRATCH_EN: 0
; COMPUTE_PGM_RSRC2:USER_SGPR: 15
; COMPUTE_PGM_RSRC2:TRAP_HANDLER: 0
; COMPUTE_PGM_RSRC2:TGID_X_EN: 1
; COMPUTE_PGM_RSRC2:TGID_Y_EN: 0
; COMPUTE_PGM_RSRC2:TGID_Z_EN: 0
; COMPUTE_PGM_RSRC2:TIDIG_COMP_CNT: 1
	.section	.text._ZN4vllm3moe10topkGatingILi16ELi512ELi4ELi16ELi32ElfLNS0_11ScoringFuncE1EEEvPKT5_PKbPfiPT4_PiiiibPKf,"axG",@progbits,_ZN4vllm3moe10topkGatingILi16ELi512ELi4ELi16ELi32ElfLNS0_11ScoringFuncE1EEEvPKT5_PKbPfiPT4_PiiiibPKf,comdat
	.protected	_ZN4vllm3moe10topkGatingILi16ELi512ELi4ELi16ELi32ElfLNS0_11ScoringFuncE1EEEvPKT5_PKbPfiPT4_PiiiibPKf ; -- Begin function _ZN4vllm3moe10topkGatingILi16ELi512ELi4ELi16ELi32ElfLNS0_11ScoringFuncE1EEEvPKT5_PKbPfiPT4_PiiiibPKf
	.globl	_ZN4vllm3moe10topkGatingILi16ELi512ELi4ELi16ELi32ElfLNS0_11ScoringFuncE1EEEvPKT5_PKbPfiPT4_PiiiibPKf
	.p2align	8
	.type	_ZN4vllm3moe10topkGatingILi16ELi512ELi4ELi16ELi32ElfLNS0_11ScoringFuncE1EEEvPKT5_PKbPfiPT4_PiiiibPKf,@function
_ZN4vllm3moe10topkGatingILi16ELi512ELi4ELi16ELi32ElfLNS0_11ScoringFuncE1EEEvPKT5_PKbPfiPT4_PiiiibPKf: ; @_ZN4vllm3moe10topkGatingILi16ELi512ELi4ELi16ELi32ElfLNS0_11ScoringFuncE1EEEvPKT5_PKbPfiPT4_PiiiibPKf
; %bb.0:
	s_load_b32 s22, s[0:1], 0x18
	v_and_b32_e32 v1, 0x3ff, v0
	v_bfe_u32 v0, v0, 10, 10
	s_lshl_b32 s2, s15, 2
	s_delay_alu instid0(VALU_DEP_2) | instskip(NEXT) | instid1(VALU_DEP_1)
	v_lshrrev_b32_e32 v2, 5, v1
	v_add3_u32 v32, s2, v0, v2
	s_mov_b32 s2, exec_lo
	s_waitcnt lgkmcnt(0)
	s_delay_alu instid0(VALU_DEP_1)
	v_cmpx_gt_i32_e64 s22, v32
	s_cbranch_execz .LBB248_41
; %bb.1:
	s_clause 0x1
	s_load_b128 s[4:7], s[0:1], 0x0
	s_load_b64 s[20:21], s[0:1], 0x10
	s_mov_b32 s17, -1
	s_mov_b32 s23, -1
	s_waitcnt lgkmcnt(0)
	s_cmp_eq_u64 s[6:7], 0
	s_cbranch_scc1 .LBB248_3
; %bb.2:
	v_ashrrev_i32_e32 v0, 31, v32
	v_add_co_u32 v2, vcc_lo, s6, v32
	s_delay_alu instid0(VALU_DEP_2) | instskip(SKIP_3) | instid1(VALU_DEP_1)
	v_add_co_ci_u32_e32 v3, vcc_lo, s7, v0, vcc_lo
	global_load_u8 v0, v[2:3], off
	s_waitcnt vmcnt(0)
	v_and_b32_e32 v0, 1, v0
	v_cmp_eq_u32_e32 vcc_lo, 1, v0
	s_xor_b32 s2, vcc_lo, -1
	s_delay_alu instid0(SALU_CYCLE_1)
	s_or_not1_b32 s23, s2, exec_lo
.LBB248_3:
	v_lshlrev_b32_e32 v2, 9, v32
	v_and_b32_e32 v33, 31, v1
	s_load_b64 s[18:19], s[0:1], 0x40
	s_delay_alu instid0(VALU_DEP_2) | instskip(NEXT) | instid1(VALU_DEP_1)
	v_ashrrev_i32_e32 v3, 31, v2
	v_lshlrev_b64 v[0:1], 2, v[2:3]
	s_delay_alu instid0(VALU_DEP_3) | instskip(NEXT) | instid1(VALU_DEP_2)
	v_lshlrev_b32_e32 v2, 4, v33
	v_add_co_u32 v0, vcc_lo, s4, v0
	s_delay_alu instid0(VALU_DEP_3) | instskip(NEXT) | instid1(VALU_DEP_2)
	v_add_co_ci_u32_e32 v1, vcc_lo, s5, v1, vcc_lo
	v_add_co_u32 v12, vcc_lo, v0, v2
	s_delay_alu instid0(VALU_DEP_2)
	v_add_co_ci_u32_e32 v13, vcc_lo, 0, v1, vcc_lo
	s_waitcnt lgkmcnt(0)
	s_cmp_eq_u64 s[18:19], 0
	s_clause 0x3
	global_load_b128 v[0:3], v[12:13], off
	global_load_b128 v[4:7], v[12:13], off offset:512
	global_load_b128 v[8:11], v[12:13], off offset:1024
	;; [unrolled: 1-line block ×3, first 2 shown]
	s_waitcnt vmcnt(3)
	v_dual_mul_f32 v3, 0xbfb8aa3b, v3 :: v_dual_mul_f32 v0, 0xbfb8aa3b, v0
	v_dual_mul_f32 v1, 0xbfb8aa3b, v1 :: v_dual_mul_f32 v2, 0xbfb8aa3b, v2
	s_waitcnt vmcnt(1)
	v_dual_mul_f32 v5, 0xbfb8aa3b, v5 :: v_dual_mul_f32 v8, 0xbfb8aa3b, v8
	s_waitcnt vmcnt(0)
	v_mul_f32_e32 v13, 0xbfb8aa3b, v13
	v_exp_f32_e32 v0, v0
	v_dual_mul_f32 v4, 0xbfb8aa3b, v4 :: v_dual_mul_f32 v9, 0xbfb8aa3b, v9
	v_exp_f32_e32 v1, v1
	v_dual_mul_f32 v7, 0xbfb8aa3b, v7 :: v_dual_lshlrev_b32 v34, 2, v33
	v_dual_mul_f32 v10, 0xbfb8aa3b, v10 :: v_dual_mul_f32 v15, 0xbfb8aa3b, v15
	v_exp_f32_e32 v2, v2
	v_exp_f32_e32 v5, v5
	;; [unrolled: 1-line block ×4, first 2 shown]
	v_dual_mul_f32 v6, 0xbfb8aa3b, v6 :: v_dual_mul_f32 v11, 0xbfb8aa3b, v11
	v_exp_f32_e32 v3, v3
	v_exp_f32_e32 v4, v4
	;; [unrolled: 1-line block ×5, first 2 shown]
	v_dual_add_f32 v0, 1.0, v0 :: v_dual_add_f32 v5, 1.0, v5
	v_exp_f32_e32 v6, v6
	v_dual_mul_f32 v12, 0xbfb8aa3b, v12 :: v_dual_add_f32 v1, 1.0, v1
	v_exp_f32_e32 v9, v9
	v_dual_add_f32 v2, 1.0, v2 :: v_dual_add_f32 v7, 1.0, v7
	v_dual_add_f32 v8, 1.0, v8 :: v_dual_add_f32 v13, 1.0, v13
	v_div_scale_f32 v16, null, v0, v0, 1.0
	v_dual_mul_f32 v14, 0xbfb8aa3b, v14 :: v_dual_add_f32 v3, 1.0, v3
	v_exp_f32_e32 v11, v11
	s_waitcnt_depctr 0xfff
	v_dual_add_f32 v4, 1.0, v4 :: v_dual_add_f32 v9, 1.0, v9
	v_div_scale_f32 v18, null, v1, v1, 1.0
	v_dual_add_f32 v10, 1.0, v10 :: v_dual_add_f32 v15, 1.0, v15
	v_div_scale_f32 v20, null, v2, v2, 1.0
	v_div_scale_f32 v45, null, v13, v13, 1.0
	v_rcp_f32_e32 v51, v16
	v_dual_add_f32 v6, 1.0, v6 :: v_dual_add_f32 v11, 1.0, v11
	v_div_scale_f32 v22, null, v3, v3, 1.0
	v_div_scale_f32 v24, null, v4, v4, 1.0
	v_rcp_f32_e32 v52, v18
	v_div_scale_f32 v49, null, v15, v15, 1.0
	v_rcp_f32_e32 v53, v20
	v_exp_f32_e32 v12, v12
	v_div_scale_f32 v26, null, v5, v5, 1.0
	v_rcp_f32_e32 v64, v45
	v_div_scale_f32 v28, null, v6, v6, 1.0
	v_rcp_f32_e32 v54, v22
	v_rcp_f32_e32 v55, v24
	v_exp_f32_e32 v14, v14
	v_rcp_f32_e32 v66, v49
	v_div_scale_f32 v35, null, v8, v8, 1.0
	v_rcp_f32_e32 v56, v26
	v_fma_f32 v67, -v16, v51, 1.0
	v_rcp_f32_e32 v57, v28
	v_fma_f32 v68, -v18, v52, 1.0
	v_fma_f32 v69, -v20, v53, 1.0
	s_delay_alu instid0(VALU_DEP_3)
	v_dual_add_f32 v12, 1.0, v12 :: v_dual_fmac_f32 v51, v67, v51
	v_div_scale_f32 v17, vcc_lo, 1.0, v0, 1.0
	v_rcp_f32_e32 v59, v35
	v_fma_f32 v80, -v45, v64, 1.0
	v_fma_f32 v70, -v22, v54, 1.0
	v_div_scale_f32 v19, s2, 1.0, v1, 1.0
	v_fma_f32 v71, -v24, v55, 1.0
	v_fmac_f32_e32 v52, v68, v52
	v_dual_add_f32 v14, 1.0, v14 :: v_dual_fmac_f32 v53, v69, v53
	v_div_scale_f32 v21, s3, 1.0, v2, 1.0
	v_div_scale_f32 v30, null, v7, v7, 1.0
	v_fma_f32 v82, -v49, v66, 1.0
	v_fma_f32 v72, -v26, v56, 1.0
	v_dual_fmac_f32 v64, v80, v64 :: v_dual_mul_f32 v67, v17, v51
	v_div_scale_f32 v23, s4, 1.0, v3, 1.0
	v_fma_f32 v73, -v28, v57, 1.0
	v_fmac_f32_e32 v54, v70, v54
	v_div_scale_f32 v25, s5, 1.0, v4, 1.0
	v_fmac_f32_e32 v55, v71, v55
	s_delay_alu instid0(VALU_DEP_4) | instskip(SKIP_1) | instid1(VALU_DEP_3)
	v_dual_fmac_f32 v57, v73, v57 :: v_dual_mul_f32 v68, v19, v52
	v_div_scale_f32 v39, null, v10, v10, 1.0
	v_mul_f32_e32 v71, v25, v55
	v_rcp_f32_e32 v58, v30
	v_dual_fmac_f32 v66, v82, v66 :: v_dual_mul_f32 v69, v21, v53
	v_div_scale_f32 v27, s6, 1.0, v5, 1.0
	v_div_scale_f32 v46, s14, 1.0, v13, 1.0
	v_fma_f32 v75, -v35, v59, 1.0
	v_fmac_f32_e32 v56, v72, v56
	v_fma_f32 v83, -v16, v67, v17
	v_div_scale_f32 v29, s7, 1.0, v6, 1.0
	s_delay_alu instid0(VALU_DEP_4) | instskip(SKIP_2) | instid1(VALU_DEP_4)
	v_fmac_f32_e32 v59, v75, v59
	v_mul_f32_e32 v70, v23, v54
	v_fma_f32 v84, -v18, v68, v19
	v_mul_f32_e32 v73, v29, v57
	v_div_scale_f32 v50, s16, 1.0, v15, 1.0
	v_rcp_f32_e32 v61, v39
	v_fma_f32 v85, -v20, v69, v21
	v_div_scale_f32 v36, s9, 1.0, v8, 1.0
	v_mul_f32_e32 v72, v27, v56
	v_dual_mul_f32 v80, v46, v64 :: v_dual_fmac_f32 v67, v83, v51
	v_fma_f32 v86, -v22, v70, v23
	v_fma_f32 v87, -v24, v71, v25
	v_fmac_f32_e32 v68, v84, v52
	v_div_scale_f32 v37, null, v9, v9, 1.0
	v_fma_f32 v74, -v30, v58, 1.0
	s_delay_alu instid0(VALU_DEP_4)
	v_dual_fmac_f32 v71, v87, v55 :: v_dual_mul_f32 v82, v50, v66
	v_fmac_f32_e32 v69, v85, v53
	v_mul_f32_e32 v75, v36, v59
	v_fma_f32 v88, -v26, v72, v27
	v_fma_f32 v16, -v16, v67, v17
	;; [unrolled: 1-line block ×3, first 2 shown]
	v_fmac_f32_e32 v70, v86, v54
	v_fma_f32 v17, -v18, v68, v19
	v_div_scale_f32 v43, null, v12, v12, 1.0
	s_delay_alu instid0(VALU_DEP_4)
	v_fmac_f32_e32 v73, v89, v57
	v_rcp_f32_e32 v60, v37
	v_div_scale_f32 v31, s8, 1.0, v7, 1.0
	v_fma_f32 v77, -v39, v61, 1.0
	v_fmac_f32_e32 v58, v74, v58
	v_fma_f32 v18, -v20, v69, v21
	v_fma_f32 v91, -v35, v75, v36
	v_fmac_f32_e32 v72, v88, v56
	v_div_fmas_f32 v16, v16, v51, v67
	s_mov_b32 vcc_lo, s2
	v_fma_f32 v19, -v22, v70, v23
	v_fmac_f32_e32 v75, v91, v59
	v_div_fmas_f32 v17, v17, v52, v68
	s_mov_b32 vcc_lo, s3
	v_rcp_f32_e32 v63, v43
	v_fma_f32 v20, -v24, v71, v25
	v_div_scale_f32 v40, s11, 1.0, v10, 1.0
	v_dual_fmac_f32 v61, v77, v61 :: v_dual_mul_f32 v74, v31, v58
	v_div_fmas_f32 v18, v18, v53, v69
	s_mov_b32 vcc_lo, s4
	v_fma_f32 v21, -v26, v72, v27
	s_delay_alu instid0(VALU_DEP_3)
	v_mul_f32_e32 v77, v40, v61
	v_div_fixup_f32 v0, v16, v0, 1.0
	v_div_fmas_f32 v16, v19, v54, v70
	s_mov_b32 vcc_lo, s5
	v_div_scale_f32 v41, null, v11, v11, 1.0
	v_fma_f32 v76, -v37, v60, 1.0
	v_div_fixup_f32 v1, v17, v1, 1.0
	v_div_fmas_f32 v17, v20, v55, v71
	s_mov_b32 vcc_lo, s6
	v_fma_f32 v90, -v30, v74, v31
	v_div_fixup_f32 v2, v18, v2, 1.0
	v_div_fmas_f32 v18, v21, v56, v72
	v_cmp_class_f32_e64 vcc_lo, v0, 0x1f8
	v_div_scale_f32 v47, null, v14, v14, 1.0
	v_rcp_f32_e32 v62, v41
	v_fma_f32 v22, -v28, v73, v29
	v_div_scale_f32 v38, s10, 1.0, v9, 1.0
	v_fma_f32 v79, -v43, v63, 1.0
	v_fmac_f32_e32 v60, v76, v60
	v_fma_f32 v84, -v39, v77, v40
	v_fmac_f32_e32 v74, v90, v58
	v_div_fixup_f32 v5, v18, v5, 1.0
	v_cndmask_b32_e32 v0, 0, v0, vcc_lo
	s_mov_b32 vcc_lo, s7
	v_rcp_f32_e32 v65, v47
	v_fma_f32 v87, -v45, v80, v46
	v_div_fixup_f32 v3, v16, v3, 1.0
	v_div_fmas_f32 v16, v22, v57, v73
	v_cmp_class_f32_e64 vcc_lo, v1, 0x1f8
	v_div_scale_f32 v44, s13, 1.0, v12, 1.0
	v_dual_fmac_f32 v63, v79, v63 :: v_dual_mul_f32 v76, v38, v60
	v_fmac_f32_e32 v77, v84, v61
	v_fma_f32 v23, -v30, v74, v31
	v_fma_f32 v78, -v41, v62, 1.0
	s_delay_alu instid0(VALU_DEP_4)
	v_dual_mul_f32 v79, v44, v63 :: v_dual_fmac_f32 v80, v87, v64
	v_cndmask_b32_e32 v1, 0, v1, vcc_lo
	s_mov_b32 vcc_lo, s8
	v_fma_f32 v83, -v37, v76, v38
	v_div_fixup_f32 v4, v17, v4, 1.0
	v_div_fmas_f32 v17, v23, v58, v74
	v_cmp_class_f32_e64 vcc_lo, v2, 0x1f8
	v_fma_f32 v24, -v35, v75, v36
	v_div_scale_f32 v42, s12, 1.0, v11, 1.0
	v_fma_f32 v81, -v47, v65, 1.0
	v_fmac_f32_e32 v62, v78, v62
	v_fma_f32 v86, -v43, v79, v44
	v_fmac_f32_e32 v76, v83, v60
	v_div_fixup_f32 v7, v17, v7, 1.0
	v_cndmask_b32_e32 v2, 0, v2, vcc_lo
	s_mov_b32 vcc_lo, s9
	v_fma_f32 v89, -v49, v82, v50
	v_div_fmas_f32 v18, v24, v59, v75
	v_cmp_class_f32_e64 vcc_lo, v3, 0x1f8
	v_div_scale_f32 v48, s15, 1.0, v14, 1.0
	v_dual_fmac_f32 v65, v81, v65 :: v_dual_mul_f32 v78, v42, v62
	v_fmac_f32_e32 v79, v86, v63
	v_fma_f32 v25, -v37, v76, v38
	v_dual_fmac_f32 v82, v89, v66 :: v_dual_cndmask_b32 v3, 0, v3
	s_mov_b32 vcc_lo, s10
	v_mul_f32_e32 v81, v48, v65
	v_fma_f32 v85, -v41, v78, v42
	v_div_fixup_f32 v6, v16, v6, 1.0
	v_div_fmas_f32 v16, v25, v60, v76
	v_cmp_class_f32_e64 vcc_lo, v4, 0x1f8
	v_fma_f32 v26, -v39, v77, v40
	v_fma_f32 v88, -v47, v81, v48
	v_fmac_f32_e32 v78, v85, v62
	v_div_fixup_f32 v9, v16, v9, 1.0
	v_cndmask_b32_e32 v4, 0, v4, vcc_lo
	s_mov_b32 vcc_lo, s11
	v_fmac_f32_e32 v81, v88, v65
	v_div_fmas_f32 v17, v26, v61, v77
	v_cmp_class_f32_e64 vcc_lo, v5, 0x1f8
	v_fma_f32 v27, -v41, v78, v42
	v_div_fixup_f32 v8, v18, v8, 1.0
	v_fma_f32 v28, -v43, v79, v44
	v_fma_f32 v29, -v45, v80, v46
	v_cndmask_b32_e32 v5, 0, v5, vcc_lo
	s_mov_b32 vcc_lo, s12
	v_div_fixup_f32 v10, v17, v10, 1.0
	v_div_fmas_f32 v18, v27, v62, v78
	v_cmp_class_f32_e64 vcc_lo, v6, 0x1f8
	v_fma_f32 v30, -v47, v81, v48
	v_fma_f32 v31, -v49, v82, v50
	s_delay_alu instid0(VALU_DEP_4) | instskip(SKIP_4) | instid1(VALU_DEP_2)
	v_div_fixup_f32 v11, v18, v11, 1.0
	v_cndmask_b32_e32 v6, 0, v6, vcc_lo
	s_mov_b32 vcc_lo, s13
	v_div_fmas_f32 v16, v28, v63, v79
	v_cmp_class_f32_e64 vcc_lo, v7, 0x1f8
	v_div_fixup_f32 v12, v16, v12, 1.0
	v_cndmask_b32_e32 v7, 0, v7, vcc_lo
	s_mov_b32 vcc_lo, s14
	v_div_fmas_f32 v17, v29, v64, v80
	v_cmp_class_f32_e64 vcc_lo, v8, 0x1f8
	s_delay_alu instid0(VALU_DEP_2) | instskip(SKIP_4) | instid1(VALU_DEP_2)
	v_div_fixup_f32 v13, v17, v13, 1.0
	v_cndmask_b32_e32 v8, 0, v8, vcc_lo
	s_mov_b32 vcc_lo, s15
	v_div_fmas_f32 v18, v30, v65, v81
	v_cmp_class_f32_e64 vcc_lo, v9, 0x1f8
	v_div_fixup_f32 v14, v18, v14, 1.0
	v_cndmask_b32_e32 v9, 0, v9, vcc_lo
	s_mov_b32 vcc_lo, s16
	v_div_fmas_f32 v16, v31, v66, v82
	v_cmp_class_f32_e64 vcc_lo, v10, 0x1f8
	s_delay_alu instid0(VALU_DEP_2)
	v_div_fixup_f32 v15, v16, v15, 1.0
	v_cndmask_b32_e32 v10, 0, v10, vcc_lo
	v_cmp_class_f32_e64 vcc_lo, v11, 0x1f8
	v_cndmask_b32_e32 v11, 0, v11, vcc_lo
	v_cmp_class_f32_e64 vcc_lo, v12, 0x1f8
	;; [unrolled: 2-line block ×5, first 2 shown]
	v_cndmask_b32_e32 v15, 0, v15, vcc_lo
	s_cbranch_scc1 .LBB248_35
; %bb.4:
	v_lshlrev_b32_e32 v28, 2, v34
	s_clause 0x3
	global_load_b128 v[16:19], v28, s[18:19]
	global_load_b128 v[20:23], v28, s[18:19] offset:512
	global_load_b128 v[24:27], v28, s[18:19] offset:1024
	;; [unrolled: 1-line block ×3, first 2 shown]
	s_waitcnt vmcnt(3)
	v_dual_add_f32 v17, v17, v1 :: v_dual_add_f32 v16, v16, v0
	v_dual_add_f32 v19, v19, v3 :: v_dual_add_f32 v18, v18, v2
	s_waitcnt vmcnt(2)
	v_dual_add_f32 v21, v21, v5 :: v_dual_add_f32 v20, v20, v4
	v_dual_add_f32 v23, v23, v7 :: v_dual_add_f32 v22, v22, v6
	;; [unrolled: 3-line block ×4, first 2 shown]
	s_cbranch_execnz .LBB248_6
.LBB248_5:
	v_dual_mov_b32 v31, v15 :: v_dual_mov_b32 v30, v14
	v_dual_mov_b32 v29, v13 :: v_dual_mov_b32 v28, v12
	;; [unrolled: 1-line block ×8, first 2 shown]
.LBB248_6:
	s_load_b128 s[12:15], s[0:1], 0x30
	v_cmp_eq_u32_e64 s2, 0, v33
	s_mov_b32 s10, 0
	s_waitcnt lgkmcnt(0)
	s_bitcmp1_b32 s15, 0
	s_cselect_b32 vcc_lo, -1, 0
	s_cmp_gt_i32 s12, 0
	s_cselect_b32 s9, -1, 0
	s_cmp_lt_i32 s12, 1
	s_cbranch_scc1 .LBB248_36
; %bb.7:
	v_mbcnt_lo_u32_b32 v36, -1, 0
	s_load_b128 s[16:19], s[0:1], 0x20
	v_mul_lo_u32 v35, v32, s12
	v_mov_b32_e32 v42, v32
	s_delay_alu instid0(VALU_DEP_3)
	v_xor_b32_e32 v37, 16, v36
	v_xor_b32_e32 v38, 8, v36
	;; [unrolled: 1-line block ×5, first 2 shown]
	v_cmp_gt_i32_e64 s0, 32, v37
	s_delay_alu instid0(VALU_DEP_1) | instskip(SKIP_1) | instid1(VALU_DEP_2)
	v_cndmask_b32_e64 v37, v36, v37, s0
	v_cmp_gt_i32_e64 s0, 32, v38
	v_lshlrev_b32_e32 v37, 2, v37
	s_delay_alu instid0(VALU_DEP_2) | instskip(SKIP_1) | instid1(VALU_DEP_2)
	v_cndmask_b32_e64 v38, v36, v38, s0
	v_cmp_gt_i32_e64 s0, 32, v39
	v_lshlrev_b32_e32 v38, 2, v38
	s_delay_alu instid0(VALU_DEP_2) | instskip(SKIP_1) | instid1(VALU_DEP_2)
	;; [unrolled: 4-line block ×3, first 2 shown]
	v_cndmask_b32_e64 v40, v36, v40, s0
	v_cmp_gt_i32_e64 s0, 32, v41
	v_lshlrev_b32_e32 v40, 2, v40
	s_delay_alu instid0(VALU_DEP_2) | instskip(NEXT) | instid1(VALU_DEP_1)
	v_cndmask_b32_e64 v36, v36, v41, s0
	v_dual_mov_b32 v36, 0 :: v_dual_lshlrev_b32 v41, 2, v36
	s_branch .LBB248_10
.LBB248_8:                              ;   in Loop: Header=BB248_10 Depth=1
	s_or_b32 exec_lo, exec_lo, s1
.LBB248_9:                              ;   in Loop: Header=BB248_10 Depth=1
	v_add_nc_u32_e32 v42, s22, v42
	s_cmp_eq_u32 s12, s10
	s_cbranch_scc1 .LBB248_37
.LBB248_10:                             ; =>This Inner Loop Header: Depth=1
	v_cmp_gt_f32_e64 s0, v17, v16
	s_delay_alu instid0(VALU_DEP_1) | instskip(SKIP_2) | instid1(VALU_DEP_3)
	v_cndmask_b32_e64 v44, v16, v17, s0
	v_cndmask_b32_e64 v43, 0, 1, s0
	;; [unrolled: 1-line block ×3, first 2 shown]
	v_cmp_gt_f32_e64 s1, v18, v44
	s_delay_alu instid0(VALU_DEP_1) | instskip(NEXT) | instid1(VALU_DEP_4)
	v_cndmask_b32_e64 v44, v44, v18, s1
	v_cndmask_b32_e64 v43, v43, 2, s1
	s_delay_alu instid0(VALU_DEP_4) | instskip(NEXT) | instid1(VALU_DEP_3)
	v_cndmask_b32_e64 v45, v45, v2, s1
	v_cmp_gt_f32_e64 s3, v19, v44
	s_delay_alu instid0(VALU_DEP_1) | instskip(NEXT) | instid1(VALU_DEP_4)
	v_cndmask_b32_e64 v44, v44, v19, s3
	v_cndmask_b32_e64 v43, v43, 3, s3
	s_delay_alu instid0(VALU_DEP_4) | instskip(NEXT) | instid1(VALU_DEP_3)
	v_cndmask_b32_e64 v45, v45, v3, s3
	;; [unrolled: 6-line block ×10, first 2 shown]
	v_cmp_gt_f32_e64 s4, v28, v44
	s_delay_alu instid0(VALU_DEP_1) | instskip(NEXT) | instid1(VALU_DEP_4)
	v_cndmask_b32_e64 v44, v44, v28, s4
	v_cndmask_b32_e64 v43, v43, 0x180, s4
	s_delay_alu instid0(VALU_DEP_4) | instskip(SKIP_1) | instid1(VALU_DEP_3)
	v_cndmask_b32_e64 v45, v45, v12, s4
	s_mov_b32 s4, exec_lo
	v_cmp_gt_f32_e64 s0, v29, v44
	s_delay_alu instid0(VALU_DEP_1) | instskip(SKIP_2) | instid1(VALU_DEP_3)
	v_cndmask_b32_e64 v44, v44, v29, s0
	v_cndmask_b32_e64 v43, v43, 0x181, s0
	;; [unrolled: 1-line block ×3, first 2 shown]
	v_cmp_gt_f32_e64 s1, v30, v44
	s_delay_alu instid0(VALU_DEP_1) | instskip(NEXT) | instid1(VALU_DEP_4)
	v_cndmask_b32_e64 v44, v44, v30, s1
	v_cndmask_b32_e64 v43, v43, 0x182, s1
	s_waitcnt lgkmcnt(0)
	v_cndmask_b32_e64 v46, v45, v14, s1
	s_delay_alu instid0(VALU_DEP_3) | instskip(NEXT) | instid1(VALU_DEP_1)
	v_cmp_gt_f32_e64 s0, v31, v44
	v_cndmask_b32_e64 v43, v43, 0x183, s0
	v_cndmask_b32_e64 v45, v44, v31, s0
	s_delay_alu instid0(VALU_DEP_4) | instskip(NEXT) | instid1(VALU_DEP_3)
	v_cndmask_b32_e64 v44, v46, v15, s0
	v_or_b32_e32 v43, v34, v43
	ds_bpermute_b32 v46, v37, v45
	ds_bpermute_b32 v48, v37, v44
	;; [unrolled: 1-line block ×3, first 2 shown]
	s_waitcnt lgkmcnt(0)
	v_cmp_lt_f32_e64 s3, v45, v46
	v_cmpx_nlt_f32_e32 v45, v46
; %bb.11:                               ;   in Loop: Header=BB248_10 Depth=1
	v_cmp_eq_f32_e64 s0, v45, v46
	v_cmp_lt_i32_e64 s1, v47, v43
	s_delay_alu instid0(VALU_DEP_1) | instskip(SKIP_2) | instid1(SALU_CYCLE_1)
	s_and_b32 s0, s0, s1
	s_and_not1_b32 s1, s3, exec_lo
	s_and_b32 s0, s0, exec_lo
	s_or_b32 s3, s1, s0
; %bb.12:                               ;   in Loop: Header=BB248_10 Depth=1
	s_or_b32 exec_lo, exec_lo, s4
	s_and_saveexec_b32 s0, s3
; %bb.13:                               ;   in Loop: Header=BB248_10 Depth=1
	v_dual_mov_b32 v44, v48 :: v_dual_mov_b32 v45, v46
	v_mov_b32_e32 v43, v47
; %bb.14:                               ;   in Loop: Header=BB248_10 Depth=1
	s_or_b32 exec_lo, exec_lo, s0
	ds_bpermute_b32 v46, v38, v45
	ds_bpermute_b32 v48, v38, v44
	;; [unrolled: 1-line block ×3, first 2 shown]
	s_mov_b32 s4, exec_lo
	s_waitcnt lgkmcnt(2)
	v_cmp_lt_f32_e64 s3, v45, v46
	v_cmpx_nlt_f32_e32 v45, v46
	s_cbranch_execz .LBB248_16
; %bb.15:                               ;   in Loop: Header=BB248_10 Depth=1
	v_cmp_eq_f32_e64 s0, v45, v46
	s_waitcnt lgkmcnt(0)
	v_cmp_lt_i32_e64 s1, v47, v43
	s_delay_alu instid0(VALU_DEP_1) | instskip(SKIP_2) | instid1(SALU_CYCLE_1)
	s_and_b32 s0, s0, s1
	s_and_not1_b32 s1, s3, exec_lo
	s_and_b32 s0, s0, exec_lo
	s_or_b32 s3, s1, s0
.LBB248_16:                             ;   in Loop: Header=BB248_10 Depth=1
	s_or_b32 exec_lo, exec_lo, s4
	s_delay_alu instid0(VALU_DEP_2)
	s_and_saveexec_b32 s0, s3
	s_cbranch_execz .LBB248_18
; %bb.17:                               ;   in Loop: Header=BB248_10 Depth=1
	s_waitcnt lgkmcnt(1)
	v_dual_mov_b32 v44, v48 :: v_dual_mov_b32 v45, v46
	s_waitcnt lgkmcnt(0)
	v_mov_b32_e32 v43, v47
.LBB248_18:                             ;   in Loop: Header=BB248_10 Depth=1
	s_or_b32 exec_lo, exec_lo, s0
	ds_bpermute_b32 v46, v39, v45
	s_waitcnt lgkmcnt(2)
	ds_bpermute_b32 v48, v39, v44
	s_waitcnt lgkmcnt(2)
	ds_bpermute_b32 v47, v39, v43
	s_mov_b32 s4, exec_lo
	s_waitcnt lgkmcnt(2)
	v_cmp_lt_f32_e64 s3, v45, v46
	v_cmpx_nlt_f32_e32 v45, v46
	s_cbranch_execz .LBB248_20
; %bb.19:                               ;   in Loop: Header=BB248_10 Depth=1
	v_cmp_eq_f32_e64 s0, v45, v46
	s_waitcnt lgkmcnt(0)
	v_cmp_lt_i32_e64 s1, v47, v43
	s_delay_alu instid0(VALU_DEP_1) | instskip(SKIP_2) | instid1(SALU_CYCLE_1)
	s_and_b32 s0, s0, s1
	s_and_not1_b32 s1, s3, exec_lo
	s_and_b32 s0, s0, exec_lo
	s_or_b32 s3, s1, s0
.LBB248_20:                             ;   in Loop: Header=BB248_10 Depth=1
	s_or_b32 exec_lo, exec_lo, s4
	s_delay_alu instid0(VALU_DEP_2)
	s_and_saveexec_b32 s0, s3
	s_cbranch_execz .LBB248_22
; %bb.21:                               ;   in Loop: Header=BB248_10 Depth=1
	s_waitcnt lgkmcnt(1)
	v_dual_mov_b32 v44, v48 :: v_dual_mov_b32 v45, v46
	s_waitcnt lgkmcnt(0)
	v_mov_b32_e32 v43, v47
.LBB248_22:                             ;   in Loop: Header=BB248_10 Depth=1
	s_or_b32 exec_lo, exec_lo, s0
	ds_bpermute_b32 v46, v40, v45
	s_waitcnt lgkmcnt(2)
	ds_bpermute_b32 v48, v40, v44
	s_waitcnt lgkmcnt(2)
	ds_bpermute_b32 v47, v40, v43
	s_mov_b32 s4, exec_lo
	s_waitcnt lgkmcnt(2)
	v_cmp_lt_f32_e64 s3, v45, v46
	v_cmpx_nlt_f32_e32 v45, v46
	s_cbranch_execz .LBB248_24
; %bb.23:                               ;   in Loop: Header=BB248_10 Depth=1
	v_cmp_eq_f32_e64 s0, v45, v46
	s_waitcnt lgkmcnt(0)
	v_cmp_lt_i32_e64 s1, v47, v43
	s_delay_alu instid0(VALU_DEP_1) | instskip(SKIP_2) | instid1(SALU_CYCLE_1)
	s_and_b32 s0, s0, s1
	s_and_not1_b32 s1, s3, exec_lo
	s_and_b32 s0, s0, exec_lo
	s_or_b32 s3, s1, s0
.LBB248_24:                             ;   in Loop: Header=BB248_10 Depth=1
	s_or_b32 exec_lo, exec_lo, s4
	s_delay_alu instid0(VALU_DEP_2)
	s_and_saveexec_b32 s0, s3
	s_cbranch_execz .LBB248_26
; %bb.25:                               ;   in Loop: Header=BB248_10 Depth=1
	s_waitcnt lgkmcnt(1)
	v_dual_mov_b32 v44, v48 :: v_dual_mov_b32 v45, v46
	s_waitcnt lgkmcnt(0)
	v_mov_b32_e32 v43, v47
.LBB248_26:                             ;   in Loop: Header=BB248_10 Depth=1
	s_or_b32 exec_lo, exec_lo, s0
	s_waitcnt lgkmcnt(1)
	ds_bpermute_b32 v48, v41, v45
	ds_bpermute_b32 v46, v41, v44
	s_waitcnt lgkmcnt(2)
	ds_bpermute_b32 v47, v41, v43
	s_mov_b32 s4, exec_lo
	s_waitcnt lgkmcnt(2)
	v_cmp_lt_f32_e64 s3, v45, v48
	v_cmpx_nlt_f32_e32 v45, v48
	s_cbranch_execnz .LBB248_30
; %bb.27:                               ;   in Loop: Header=BB248_10 Depth=1
	s_or_b32 exec_lo, exec_lo, s4
	s_delay_alu instid0(VALU_DEP_2)
	s_and_saveexec_b32 s0, s3
	s_cbranch_execnz .LBB248_31
.LBB248_28:                             ;   in Loop: Header=BB248_10 Depth=1
	s_or_b32 exec_lo, exec_lo, s0
	s_and_saveexec_b32 s3, s2
	s_cbranch_execnz .LBB248_32
.LBB248_29:                             ;   in Loop: Header=BB248_10 Depth=1
	s_or_b32 exec_lo, exec_lo, s3
	s_add_i32 s10, s10, 1
	s_delay_alu instid0(SALU_CYCLE_1)
	s_cmp_ge_i32 s10, s12
	s_cbranch_scc1 .LBB248_9
	s_branch .LBB248_33
.LBB248_30:                             ;   in Loop: Header=BB248_10 Depth=1
	v_cmp_eq_f32_e64 s0, v45, v48
	s_waitcnt lgkmcnt(0)
	v_cmp_lt_i32_e64 s1, v47, v43
	s_delay_alu instid0(VALU_DEP_1) | instskip(SKIP_2) | instid1(SALU_CYCLE_1)
	s_and_b32 s0, s0, s1
	s_and_not1_b32 s1, s3, exec_lo
	s_and_b32 s0, s0, exec_lo
	s_or_b32 s3, s1, s0
	s_or_b32 exec_lo, exec_lo, s4
	s_and_saveexec_b32 s0, s3
	s_cbranch_execz .LBB248_28
.LBB248_31:                             ;   in Loop: Header=BB248_10 Depth=1
	s_waitcnt lgkmcnt(0)
	v_dual_mov_b32 v43, v47 :: v_dual_mov_b32 v44, v46
	s_or_b32 exec_lo, exec_lo, s0
	s_and_saveexec_b32 s3, s2
	s_cbranch_execz .LBB248_29
.LBB248_32:                             ;   in Loop: Header=BB248_10 Depth=1
	s_delay_alu instid0(VALU_DEP_1)
	v_add_f32_e32 v53, v36, v44
	v_add_nc_u32_e32 v45, s10, v35
	v_subrev_nc_u32_e32 v49, s13, v43
	v_cmp_le_i32_e64 s0, s13, v43
	v_cmp_gt_i32_e64 s1, s14, v43
	v_cndmask_b32_e32 v36, v36, v53, vcc_lo
	s_waitcnt lgkmcnt(1)
	v_ashrrev_i32_e32 v46, 31, v45
	v_ashrrev_i32_e32 v50, 31, v49
	s_and_b32 s0, s0, s1
	s_waitcnt lgkmcnt(0)
	s_delay_alu instid0(VALU_DEP_2) | instskip(SKIP_2) | instid1(SALU_CYCLE_1)
	v_lshlrev_b64 v[47:48], 2, v[45:46]
	v_lshlrev_b64 v[45:46], 3, v[45:46]
	s_and_b32 s0, s23, s0
	v_cndmask_b32_e64 v50, 0, v50, s0
	v_cndmask_b32_e64 v49, 0x200, v49, s0
	s_delay_alu instid0(VALU_DEP_4) | instskip(NEXT) | instid1(VALU_DEP_1)
	v_add_co_u32 v51, s0, s20, v47
	v_add_co_ci_u32_e64 v52, s0, s21, v48, s0
	v_add_co_u32 v45, s0, s16, v45
	s_delay_alu instid0(VALU_DEP_1) | instskip(SKIP_1) | instid1(VALU_DEP_1)
	v_add_co_ci_u32_e64 v46, s0, s17, v46, s0
	v_add_co_u32 v47, s0, s18, v47
	v_add_co_ci_u32_e64 v48, s0, s19, v48, s0
	global_store_b32 v[51:52], v44, off
	global_store_b64 v[45:46], v[49:50], off
	global_store_b32 v[47:48], v42, off
	s_or_b32 exec_lo, exec_lo, s3
	s_add_i32 s10, s10, 1
	s_delay_alu instid0(SALU_CYCLE_1)
	s_cmp_ge_i32 s10, s12
	s_cbranch_scc1 .LBB248_9
.LBB248_33:                             ;   in Loop: Header=BB248_10 Depth=1
	v_ashrrev_i32_e32 v44, 31, v43
	s_mov_b32 s1, exec_lo
	s_delay_alu instid0(VALU_DEP_1) | instskip(NEXT) | instid1(VALU_DEP_1)
	v_lshrrev_b32_e32 v45, 30, v44
	v_add_nc_u32_e32 v45, v43, v45
	s_waitcnt lgkmcnt(1)
	s_delay_alu instid0(VALU_DEP_1) | instskip(SKIP_1) | instid1(VALU_DEP_2)
	v_ashrrev_i32_e32 v46, 31, v45
	v_ashrrev_i32_e32 v45, 2, v45
	v_lshrrev_b32_e32 v46, 27, v46
	s_delay_alu instid0(VALU_DEP_1) | instskip(NEXT) | instid1(VALU_DEP_1)
	v_add_nc_u32_e32 v46, v45, v46
	v_and_b32_e32 v46, 0xffffffe0, v46
	s_delay_alu instid0(VALU_DEP_1) | instskip(NEXT) | instid1(VALU_DEP_1)
	v_sub_nc_u32_e32 v46, v45, v46
	v_cmpx_eq_u32_e64 v33, v46
	s_cbranch_execz .LBB248_8
; %bb.34:                               ;   in Loop: Header=BB248_10 Depth=1
	v_lshrrev_b32_e32 v44, 25, v44
	v_lshlrev_b32_e32 v45, 2, v45
	s_delay_alu instid0(VALU_DEP_2) | instskip(NEXT) | instid1(VALU_DEP_2)
	v_add_nc_u32_e32 v44, v43, v44
	v_sub_nc_u32_e32 v43, v43, v45
	s_delay_alu instid0(VALU_DEP_2) | instskip(NEXT) | instid1(VALU_DEP_1)
	v_ashrrev_i32_e32 v44, 7, v44
	v_lshl_add_u32 v43, v44, 2, v43
	s_delay_alu instid0(VALU_DEP_1) | instskip(NEXT) | instid1(VALU_DEP_1)
	v_cmp_ne_u32_e64 s0, 15, v43
	v_cndmask_b32_e64 v31, 0xc61c4000, v31, s0
	v_cmp_ne_u32_e64 s0, 14, v43
	s_delay_alu instid0(VALU_DEP_1) | instskip(SKIP_1) | instid1(VALU_DEP_1)
	v_cndmask_b32_e64 v30, 0xc61c4000, v30, s0
	v_cmp_ne_u32_e64 s0, 13, v43
	v_cndmask_b32_e64 v29, 0xc61c4000, v29, s0
	v_cmp_ne_u32_e64 s0, 12, v43
	s_delay_alu instid0(VALU_DEP_1) | instskip(SKIP_1) | instid1(VALU_DEP_1)
	v_cndmask_b32_e64 v28, 0xc61c4000, v28, s0
	;; [unrolled: 5-line block ×7, first 2 shown]
	v_cmp_ne_u32_e64 s0, 1, v43
	v_cndmask_b32_e64 v17, 0xc61c4000, v17, s0
	v_cmp_ne_u32_e64 s0, 0, v43
	s_delay_alu instid0(VALU_DEP_1)
	v_cndmask_b32_e64 v16, 0xc61c4000, v16, s0
	s_branch .LBB248_8
.LBB248_35:
                                        ; implicit-def: $vgpr16_vgpr17_vgpr18_vgpr19_vgpr20_vgpr21_vgpr22_vgpr23_vgpr24_vgpr25_vgpr26_vgpr27_vgpr28_vgpr29_vgpr30_vgpr31
	s_and_not1_b32 vcc_lo, exec_lo, s17
	s_cbranch_vccz .LBB248_5
	s_branch .LBB248_6
.LBB248_36:
	v_mov_b32_e32 v36, 0
.LBB248_37:
	v_cmp_eq_u32_e64 s0, 0, v33
	s_delay_alu instid0(VALU_DEP_1) | instskip(NEXT) | instid1(SALU_CYCLE_1)
	s_and_b32 s0, s0, vcc_lo
	s_and_b32 exec_lo, exec_lo, s0
	s_cbranch_execz .LBB248_41
; %bb.38:
	s_and_not1_b32 vcc_lo, exec_lo, s9
	s_cbranch_vccnz .LBB248_41
; %bb.39:
	v_mul_lo_u32 v0, v32, s12
	v_cmp_lt_f32_e32 vcc_lo, 0, v36
	v_cndmask_b32_e32 v2, 1.0, v36, vcc_lo
	s_delay_alu instid0(VALU_DEP_3) | instskip(NEXT) | instid1(VALU_DEP_1)
	v_ashrrev_i32_e32 v1, 31, v0
	v_lshlrev_b64 v[0:1], 2, v[0:1]
	s_delay_alu instid0(VALU_DEP_1) | instskip(NEXT) | instid1(VALU_DEP_2)
	v_add_co_u32 v0, vcc_lo, s20, v0
	v_add_co_ci_u32_e32 v1, vcc_lo, s21, v1, vcc_lo
	.p2align	6
.LBB248_40:                             ; =>This Inner Loop Header: Depth=1
	global_load_b32 v3, v[0:1], off
	s_add_i32 s12, s12, -1
	s_delay_alu instid0(SALU_CYCLE_1) | instskip(SKIP_3) | instid1(VALU_DEP_2)
	s_cmp_lg_u32 s12, 0
	s_waitcnt vmcnt(0)
	v_div_scale_f32 v4, null, v2, v2, v3
	v_div_scale_f32 v7, vcc_lo, v3, v2, v3
	v_rcp_f32_e32 v5, v4
	s_waitcnt_depctr 0xfff
	v_fma_f32 v6, -v4, v5, 1.0
	s_delay_alu instid0(VALU_DEP_1) | instskip(NEXT) | instid1(VALU_DEP_1)
	v_fmac_f32_e32 v5, v6, v5
	v_mul_f32_e32 v6, v7, v5
	s_delay_alu instid0(VALU_DEP_1) | instskip(NEXT) | instid1(VALU_DEP_1)
	v_fma_f32 v8, -v4, v6, v7
	v_fmac_f32_e32 v6, v8, v5
	s_delay_alu instid0(VALU_DEP_1) | instskip(NEXT) | instid1(VALU_DEP_1)
	v_fma_f32 v4, -v4, v6, v7
	v_div_fmas_f32 v4, v4, v5, v6
	s_delay_alu instid0(VALU_DEP_1)
	v_div_fixup_f32 v3, v4, v2, v3
	global_store_b32 v[0:1], v3, off
	v_add_co_u32 v0, vcc_lo, v0, 4
	v_add_co_ci_u32_e32 v1, vcc_lo, 0, v1, vcc_lo
	s_cbranch_scc1 .LBB248_40
.LBB248_41:
	s_nop 0
	s_sendmsg sendmsg(MSG_DEALLOC_VGPRS)
	s_endpgm
	.section	.rodata,"a",@progbits
	.p2align	6, 0x0
	.amdhsa_kernel _ZN4vllm3moe10topkGatingILi16ELi512ELi4ELi16ELi32ElfLNS0_11ScoringFuncE1EEEvPKT5_PKbPfiPT4_PiiiibPKf
		.amdhsa_group_segment_fixed_size 0
		.amdhsa_private_segment_fixed_size 0
		.amdhsa_kernarg_size 72
		.amdhsa_user_sgpr_count 15
		.amdhsa_user_sgpr_dispatch_ptr 0
		.amdhsa_user_sgpr_queue_ptr 0
		.amdhsa_user_sgpr_kernarg_segment_ptr 1
		.amdhsa_user_sgpr_dispatch_id 0
		.amdhsa_user_sgpr_private_segment_size 0
		.amdhsa_wavefront_size32 1
		.amdhsa_uses_dynamic_stack 0
		.amdhsa_enable_private_segment 0
		.amdhsa_system_sgpr_workgroup_id_x 1
		.amdhsa_system_sgpr_workgroup_id_y 0
		.amdhsa_system_sgpr_workgroup_id_z 0
		.amdhsa_system_sgpr_workgroup_info 0
		.amdhsa_system_vgpr_workitem_id 1
		.amdhsa_next_free_vgpr 92
		.amdhsa_next_free_sgpr 24
		.amdhsa_reserve_vcc 1
		.amdhsa_float_round_mode_32 0
		.amdhsa_float_round_mode_16_64 0
		.amdhsa_float_denorm_mode_32 3
		.amdhsa_float_denorm_mode_16_64 3
		.amdhsa_dx10_clamp 1
		.amdhsa_ieee_mode 1
		.amdhsa_fp16_overflow 0
		.amdhsa_workgroup_processor_mode 1
		.amdhsa_memory_ordered 1
		.amdhsa_forward_progress 0
		.amdhsa_shared_vgpr_count 0
		.amdhsa_exception_fp_ieee_invalid_op 0
		.amdhsa_exception_fp_denorm_src 0
		.amdhsa_exception_fp_ieee_div_zero 0
		.amdhsa_exception_fp_ieee_overflow 0
		.amdhsa_exception_fp_ieee_underflow 0
		.amdhsa_exception_fp_ieee_inexact 0
		.amdhsa_exception_int_div_zero 0
	.end_amdhsa_kernel
	.section	.text._ZN4vllm3moe10topkGatingILi16ELi512ELi4ELi16ELi32ElfLNS0_11ScoringFuncE1EEEvPKT5_PKbPfiPT4_PiiiibPKf,"axG",@progbits,_ZN4vllm3moe10topkGatingILi16ELi512ELi4ELi16ELi32ElfLNS0_11ScoringFuncE1EEEvPKT5_PKbPfiPT4_PiiiibPKf,comdat
.Lfunc_end248:
	.size	_ZN4vllm3moe10topkGatingILi16ELi512ELi4ELi16ELi32ElfLNS0_11ScoringFuncE1EEEvPKT5_PKbPfiPT4_PiiiibPKf, .Lfunc_end248-_ZN4vllm3moe10topkGatingILi16ELi512ELi4ELi16ELi32ElfLNS0_11ScoringFuncE1EEEvPKT5_PKbPfiPT4_PiiiibPKf
                                        ; -- End function
	.section	.AMDGPU.csdata,"",@progbits
; Kernel info:
; codeLenInByte = 4724
; NumSgprs: 26
; NumVgprs: 92
; ScratchSize: 0
; MemoryBound: 0
; FloatMode: 240
; IeeeMode: 1
; LDSByteSize: 0 bytes/workgroup (compile time only)
; SGPRBlocks: 3
; VGPRBlocks: 11
; NumSGPRsForWavesPerEU: 26
; NumVGPRsForWavesPerEU: 92
; Occupancy: 16
; WaveLimiterHint : 1
; COMPUTE_PGM_RSRC2:SCRATCH_EN: 0
; COMPUTE_PGM_RSRC2:USER_SGPR: 15
; COMPUTE_PGM_RSRC2:TRAP_HANDLER: 0
; COMPUTE_PGM_RSRC2:TGID_X_EN: 1
; COMPUTE_PGM_RSRC2:TGID_Y_EN: 0
; COMPUTE_PGM_RSRC2:TGID_Z_EN: 0
; COMPUTE_PGM_RSRC2:TIDIG_COMP_CNT: 1
	.section	.text._ZN4vllm3moe10topkGatingILi1ELi1ELi4ELi2ELi64Ei6__halfLNS0_11ScoringFuncE1EEEvPKT5_PKbPfiPT4_PiiiibPKf,"axG",@progbits,_ZN4vllm3moe10topkGatingILi1ELi1ELi4ELi2ELi64Ei6__halfLNS0_11ScoringFuncE1EEEvPKT5_PKbPfiPT4_PiiiibPKf,comdat
	.protected	_ZN4vllm3moe10topkGatingILi1ELi1ELi4ELi2ELi64Ei6__halfLNS0_11ScoringFuncE1EEEvPKT5_PKbPfiPT4_PiiiibPKf ; -- Begin function _ZN4vllm3moe10topkGatingILi1ELi1ELi4ELi2ELi64Ei6__halfLNS0_11ScoringFuncE1EEEvPKT5_PKbPfiPT4_PiiiibPKf
	.globl	_ZN4vllm3moe10topkGatingILi1ELi1ELi4ELi2ELi64Ei6__halfLNS0_11ScoringFuncE1EEEvPKT5_PKbPfiPT4_PiiiibPKf
	.p2align	8
	.type	_ZN4vllm3moe10topkGatingILi1ELi1ELi4ELi2ELi64Ei6__halfLNS0_11ScoringFuncE1EEEvPKT5_PKbPfiPT4_PiiiibPKf,@function
_ZN4vllm3moe10topkGatingILi1ELi1ELi4ELi2ELi64Ei6__halfLNS0_11ScoringFuncE1EEEvPKT5_PKbPfiPT4_PiiiibPKf: ; @_ZN4vllm3moe10topkGatingILi1ELi1ELi4ELi2ELi64Ei6__halfLNS0_11ScoringFuncE1EEEvPKT5_PKbPfiPT4_PiiiibPKf
; %bb.0:
	s_load_b32 s3, s[0:1], 0x18
	v_bfe_u32 v1, v0, 10, 10
	v_and_b32_e32 v0, 0x3ff, v0
	s_lshl_b32 s2, s15, 8
	s_delay_alu instid0(VALU_DEP_2) | instskip(NEXT) | instid1(VALU_DEP_1)
	v_lshlrev_b32_e32 v1, 6, v1
	v_add3_u32 v0, v1, v0, s2
	s_mov_b32 s2, exec_lo
	s_waitcnt lgkmcnt(0)
	s_delay_alu instid0(VALU_DEP_1)
	v_cmpx_gt_i32_e64 s3, v0
	s_cbranch_execz .LBB249_12
; %bb.1:
	s_clause 0x1
	s_load_b128 s[8:11], s[0:1], 0x0
	s_load_b64 s[12:13], s[0:1], 0x10
	v_ashrrev_i32_e32 v1, 31, v0
	s_waitcnt lgkmcnt(0)
	s_cmp_eq_u64 s[10:11], 0
	s_cbranch_scc1 .LBB249_3
; %bb.2:
	v_add_co_u32 v2, vcc_lo, s10, v0
	v_add_co_ci_u32_e32 v3, vcc_lo, s11, v1, vcc_lo
	global_load_u8 v2, v[2:3], off
	s_waitcnt vmcnt(0)
	v_and_b32_e32 v2, 1, v2
	s_delay_alu instid0(VALU_DEP_1) | instskip(SKIP_1) | instid1(SALU_CYCLE_1)
	v_cmp_eq_u32_e32 vcc_lo, 1, v2
	s_xor_b32 s2, vcc_lo, -1
	s_or_not1_b32 s10, s2, exec_lo
	s_branch .LBB249_4
.LBB249_3:
	s_mov_b32 s10, -1
.LBB249_4:
	s_load_b128 s[4:7], s[0:1], 0x30
	s_waitcnt lgkmcnt(0)
	s_bitcmp1_b32 s7, 0
	s_cselect_b32 s2, -1, 0
	s_cmp_gt_i32 s4, 0
	s_cselect_b32 s7, -1, 0
	s_cmp_lt_i32 s4, 1
	s_cbranch_scc1 .LBB249_8
; %bb.5:
	v_lshlrev_b64 v[1:2], 1, v[0:1]
	s_load_b128 s[16:19], s[0:1], 0x20
	s_cmp_lt_i32 s5, 1
	v_mov_b32_e32 v7, 0
	s_cselect_b32 s0, -1, 0
	s_cmp_gt_i32 s6, 0
	v_add_co_u32 v1, vcc_lo, s8, v1
	v_add_co_ci_u32_e32 v2, vcc_lo, s9, v2, vcc_lo
	s_cselect_b32 s1, -1, 0
	s_delay_alu instid0(SALU_CYCLE_1) | instskip(SKIP_3) | instid1(SALU_CYCLE_1)
	s_and_b32 s0, s0, s1
	global_load_u16 v1, v[1:2], off
	s_sub_i32 s1, 0, s5
	s_and_b32 s0, s10, s0
	v_cndmask_b32_e64 v8, 1, s1, s0
	s_waitcnt vmcnt(0)
	v_cvt_f32_f16_e32 v1, v1
	s_delay_alu instid0(VALU_DEP_1) | instskip(NEXT) | instid1(VALU_DEP_1)
	v_mul_f32_e32 v1, 0xbfb8aa3b, v1
	v_exp_f32_e32 v1, v1
	s_waitcnt_depctr 0xfff
	v_add_f32_e32 v9, 1.0, v1
	s_delay_alu instid0(VALU_DEP_1) | instskip(NEXT) | instid1(VALU_DEP_1)
	v_div_scale_f32 v3, null, v9, v9, 1.0
	v_rcp_f32_e32 v4, v3
	s_waitcnt_depctr 0xfff
	v_fma_f32 v1, -v3, v4, 1.0
	s_delay_alu instid0(VALU_DEP_1) | instskip(SKIP_2) | instid1(VALU_DEP_2)
	v_fmac_f32_e32 v4, v1, v4
	v_div_scale_f32 v10, vcc_lo, 1.0, v9, 1.0
	v_mul_lo_u32 v1, v0, s4
	v_mul_f32_e32 v11, v10, v4
	s_delay_alu instid0(VALU_DEP_2) | instskip(NEXT) | instid1(VALU_DEP_2)
	v_ashrrev_i32_e32 v2, 31, v1
	v_fma_f32 v5, -v3, v11, v10
	s_delay_alu instid0(VALU_DEP_1) | instskip(NEXT) | instid1(VALU_DEP_3)
	v_fmac_f32_e32 v11, v5, v4
	v_lshlrev_b64 v[5:6], 2, v[1:2]
	s_delay_alu instid0(VALU_DEP_2) | instskip(NEXT) | instid1(VALU_DEP_2)
	v_fma_f32 v3, -v3, v11, v10
	v_add_co_u32 v1, s0, s12, v5
	s_delay_alu instid0(VALU_DEP_1) | instskip(NEXT) | instid1(VALU_DEP_3)
	v_add_co_ci_u32_e64 v2, s0, s13, v6, s0
	v_div_fmas_f32 v10, v3, v4, v11
	s_waitcnt lgkmcnt(0)
	v_add_co_u32 v3, vcc_lo, s16, v5
	v_add_co_ci_u32_e32 v4, vcc_lo, s17, v6, vcc_lo
	s_delay_alu instid0(VALU_DEP_3) | instskip(SKIP_2) | instid1(VALU_DEP_3)
	v_div_fixup_f32 v9, v10, v9, 1.0
	v_add_co_u32 v5, vcc_lo, s18, v5
	v_add_co_ci_u32_e32 v6, vcc_lo, s19, v6, vcc_lo
	v_cmp_class_f32_e64 vcc_lo, v9, 0x1f8
	v_mov_b32_e32 v10, v0
	s_mov_b32 s0, s4
	v_cndmask_b32_e32 v9, 0, v9, vcc_lo
	.p2align	6
.LBB249_6:                              ; =>This Inner Loop Header: Depth=1
	global_store_b32 v[1:2], v9, off
	global_store_b32 v[3:4], v8, off
	;; [unrolled: 1-line block ×3, first 2 shown]
	v_add_co_u32 v1, vcc_lo, v1, 4
	v_add_co_ci_u32_e32 v2, vcc_lo, 0, v2, vcc_lo
	v_dual_add_f32 v11, v7, v9 :: v_dual_add_nc_u32 v10, s3, v10
	v_add_co_u32 v3, vcc_lo, v3, 4
	v_add_co_ci_u32_e32 v4, vcc_lo, 0, v4, vcc_lo
	v_add_co_u32 v5, vcc_lo, v5, 4
	s_delay_alu instid0(VALU_DEP_4) | instskip(SKIP_2) | instid1(SALU_CYCLE_1)
	v_cndmask_b32_e64 v7, v7, v11, s2
	v_add_co_ci_u32_e32 v6, vcc_lo, 0, v6, vcc_lo
	s_add_i32 s0, s0, -1
	s_cmp_lg_u32 s0, 0
	s_cbranch_scc1 .LBB249_6
; %bb.7:
	s_and_not1_b32 vcc_lo, exec_lo, s2
	s_cbranch_vccz .LBB249_9
	s_branch .LBB249_12
.LBB249_8:
	v_mov_b32_e32 v7, 0
	s_and_not1_b32 vcc_lo, exec_lo, s2
	s_cbranch_vccnz .LBB249_12
.LBB249_9:
	s_and_not1_b32 vcc_lo, exec_lo, s7
	s_cbranch_vccnz .LBB249_12
; %bb.10:
	v_mul_lo_u32 v0, v0, s4
	v_cmp_lt_f32_e32 vcc_lo, 0, v7
	v_cndmask_b32_e32 v2, 1.0, v7, vcc_lo
	s_delay_alu instid0(VALU_DEP_3) | instskip(NEXT) | instid1(VALU_DEP_1)
	v_ashrrev_i32_e32 v1, 31, v0
	v_lshlrev_b64 v[0:1], 2, v[0:1]
	s_delay_alu instid0(VALU_DEP_1) | instskip(NEXT) | instid1(VALU_DEP_2)
	v_add_co_u32 v0, vcc_lo, s12, v0
	v_add_co_ci_u32_e32 v1, vcc_lo, s13, v1, vcc_lo
	.p2align	6
.LBB249_11:                             ; =>This Inner Loop Header: Depth=1
	global_load_b32 v3, v[0:1], off
	s_add_i32 s4, s4, -1
	s_delay_alu instid0(SALU_CYCLE_1) | instskip(SKIP_3) | instid1(VALU_DEP_2)
	s_cmp_lg_u32 s4, 0
	s_waitcnt vmcnt(0)
	v_div_scale_f32 v4, null, v2, v2, v3
	v_div_scale_f32 v7, vcc_lo, v3, v2, v3
	v_rcp_f32_e32 v5, v4
	s_waitcnt_depctr 0xfff
	v_fma_f32 v6, -v4, v5, 1.0
	s_delay_alu instid0(VALU_DEP_1) | instskip(NEXT) | instid1(VALU_DEP_1)
	v_fmac_f32_e32 v5, v6, v5
	v_mul_f32_e32 v6, v7, v5
	s_delay_alu instid0(VALU_DEP_1) | instskip(NEXT) | instid1(VALU_DEP_1)
	v_fma_f32 v8, -v4, v6, v7
	v_fmac_f32_e32 v6, v8, v5
	s_delay_alu instid0(VALU_DEP_1) | instskip(NEXT) | instid1(VALU_DEP_1)
	v_fma_f32 v4, -v4, v6, v7
	v_div_fmas_f32 v4, v4, v5, v6
	s_delay_alu instid0(VALU_DEP_1)
	v_div_fixup_f32 v3, v4, v2, v3
	global_store_b32 v[0:1], v3, off
	v_add_co_u32 v0, vcc_lo, v0, 4
	v_add_co_ci_u32_e32 v1, vcc_lo, 0, v1, vcc_lo
	s_cbranch_scc1 .LBB249_11
.LBB249_12:
	s_nop 0
	s_sendmsg sendmsg(MSG_DEALLOC_VGPRS)
	s_endpgm
	.section	.rodata,"a",@progbits
	.p2align	6, 0x0
	.amdhsa_kernel _ZN4vllm3moe10topkGatingILi1ELi1ELi4ELi2ELi64Ei6__halfLNS0_11ScoringFuncE1EEEvPKT5_PKbPfiPT4_PiiiibPKf
		.amdhsa_group_segment_fixed_size 0
		.amdhsa_private_segment_fixed_size 0
		.amdhsa_kernarg_size 72
		.amdhsa_user_sgpr_count 15
		.amdhsa_user_sgpr_dispatch_ptr 0
		.amdhsa_user_sgpr_queue_ptr 0
		.amdhsa_user_sgpr_kernarg_segment_ptr 1
		.amdhsa_user_sgpr_dispatch_id 0
		.amdhsa_user_sgpr_private_segment_size 0
		.amdhsa_wavefront_size32 1
		.amdhsa_uses_dynamic_stack 0
		.amdhsa_enable_private_segment 0
		.amdhsa_system_sgpr_workgroup_id_x 1
		.amdhsa_system_sgpr_workgroup_id_y 0
		.amdhsa_system_sgpr_workgroup_id_z 0
		.amdhsa_system_sgpr_workgroup_info 0
		.amdhsa_system_vgpr_workitem_id 1
		.amdhsa_next_free_vgpr 12
		.amdhsa_next_free_sgpr 20
		.amdhsa_reserve_vcc 1
		.amdhsa_float_round_mode_32 0
		.amdhsa_float_round_mode_16_64 0
		.amdhsa_float_denorm_mode_32 3
		.amdhsa_float_denorm_mode_16_64 3
		.amdhsa_dx10_clamp 1
		.amdhsa_ieee_mode 1
		.amdhsa_fp16_overflow 0
		.amdhsa_workgroup_processor_mode 1
		.amdhsa_memory_ordered 1
		.amdhsa_forward_progress 0
		.amdhsa_shared_vgpr_count 0
		.amdhsa_exception_fp_ieee_invalid_op 0
		.amdhsa_exception_fp_denorm_src 0
		.amdhsa_exception_fp_ieee_div_zero 0
		.amdhsa_exception_fp_ieee_overflow 0
		.amdhsa_exception_fp_ieee_underflow 0
		.amdhsa_exception_fp_ieee_inexact 0
		.amdhsa_exception_int_div_zero 0
	.end_amdhsa_kernel
	.section	.text._ZN4vllm3moe10topkGatingILi1ELi1ELi4ELi2ELi64Ei6__halfLNS0_11ScoringFuncE1EEEvPKT5_PKbPfiPT4_PiiiibPKf,"axG",@progbits,_ZN4vllm3moe10topkGatingILi1ELi1ELi4ELi2ELi64Ei6__halfLNS0_11ScoringFuncE1EEEvPKT5_PKbPfiPT4_PiiiibPKf,comdat
.Lfunc_end249:
	.size	_ZN4vllm3moe10topkGatingILi1ELi1ELi4ELi2ELi64Ei6__halfLNS0_11ScoringFuncE1EEEvPKT5_PKbPfiPT4_PiiiibPKf, .Lfunc_end249-_ZN4vllm3moe10topkGatingILi1ELi1ELi4ELi2ELi64Ei6__halfLNS0_11ScoringFuncE1EEEvPKT5_PKbPfiPT4_PiiiibPKf
                                        ; -- End function
	.section	.AMDGPU.csdata,"",@progbits
; Kernel info:
; codeLenInByte = 820
; NumSgprs: 22
; NumVgprs: 12
; ScratchSize: 0
; MemoryBound: 0
; FloatMode: 240
; IeeeMode: 1
; LDSByteSize: 0 bytes/workgroup (compile time only)
; SGPRBlocks: 2
; VGPRBlocks: 1
; NumSGPRsForWavesPerEU: 22
; NumVGPRsForWavesPerEU: 12
; Occupancy: 16
; WaveLimiterHint : 0
; COMPUTE_PGM_RSRC2:SCRATCH_EN: 0
; COMPUTE_PGM_RSRC2:USER_SGPR: 15
; COMPUTE_PGM_RSRC2:TRAP_HANDLER: 0
; COMPUTE_PGM_RSRC2:TGID_X_EN: 1
; COMPUTE_PGM_RSRC2:TGID_Y_EN: 0
; COMPUTE_PGM_RSRC2:TGID_Z_EN: 0
; COMPUTE_PGM_RSRC2:TIDIG_COMP_CNT: 1
	.section	.text._ZN4vllm3moe10topkGatingILi1ELi1ELi4ELi2ELi32Ei6__halfLNS0_11ScoringFuncE1EEEvPKT5_PKbPfiPT4_PiiiibPKf,"axG",@progbits,_ZN4vllm3moe10topkGatingILi1ELi1ELi4ELi2ELi32Ei6__halfLNS0_11ScoringFuncE1EEEvPKT5_PKbPfiPT4_PiiiibPKf,comdat
	.protected	_ZN4vllm3moe10topkGatingILi1ELi1ELi4ELi2ELi32Ei6__halfLNS0_11ScoringFuncE1EEEvPKT5_PKbPfiPT4_PiiiibPKf ; -- Begin function _ZN4vllm3moe10topkGatingILi1ELi1ELi4ELi2ELi32Ei6__halfLNS0_11ScoringFuncE1EEEvPKT5_PKbPfiPT4_PiiiibPKf
	.globl	_ZN4vllm3moe10topkGatingILi1ELi1ELi4ELi2ELi32Ei6__halfLNS0_11ScoringFuncE1EEEvPKT5_PKbPfiPT4_PiiiibPKf
	.p2align	8
	.type	_ZN4vllm3moe10topkGatingILi1ELi1ELi4ELi2ELi32Ei6__halfLNS0_11ScoringFuncE1EEEvPKT5_PKbPfiPT4_PiiiibPKf,@function
_ZN4vllm3moe10topkGatingILi1ELi1ELi4ELi2ELi32Ei6__halfLNS0_11ScoringFuncE1EEEvPKT5_PKbPfiPT4_PiiiibPKf: ; @_ZN4vllm3moe10topkGatingILi1ELi1ELi4ELi2ELi32Ei6__halfLNS0_11ScoringFuncE1EEEvPKT5_PKbPfiPT4_PiiiibPKf
; %bb.0:
	s_load_b32 s3, s[0:1], 0x18
	v_bfe_u32 v1, v0, 10, 10
	v_and_b32_e32 v0, 0x3ff, v0
	s_lshl_b32 s2, s15, 7
	s_delay_alu instid0(VALU_DEP_2) | instskip(NEXT) | instid1(VALU_DEP_1)
	v_lshlrev_b32_e32 v1, 5, v1
	v_add3_u32 v0, v1, v0, s2
	s_mov_b32 s2, exec_lo
	s_waitcnt lgkmcnt(0)
	s_delay_alu instid0(VALU_DEP_1)
	v_cmpx_gt_i32_e64 s3, v0
	s_cbranch_execz .LBB250_12
; %bb.1:
	s_clause 0x1
	s_load_b128 s[8:11], s[0:1], 0x0
	s_load_b64 s[12:13], s[0:1], 0x10
	v_ashrrev_i32_e32 v1, 31, v0
	s_waitcnt lgkmcnt(0)
	s_cmp_eq_u64 s[10:11], 0
	s_cbranch_scc1 .LBB250_3
; %bb.2:
	v_add_co_u32 v2, vcc_lo, s10, v0
	v_add_co_ci_u32_e32 v3, vcc_lo, s11, v1, vcc_lo
	global_load_u8 v2, v[2:3], off
	s_waitcnt vmcnt(0)
	v_and_b32_e32 v2, 1, v2
	s_delay_alu instid0(VALU_DEP_1) | instskip(SKIP_1) | instid1(SALU_CYCLE_1)
	v_cmp_eq_u32_e32 vcc_lo, 1, v2
	s_xor_b32 s2, vcc_lo, -1
	s_or_not1_b32 s10, s2, exec_lo
	s_branch .LBB250_4
.LBB250_3:
	s_mov_b32 s10, -1
.LBB250_4:
	s_load_b128 s[4:7], s[0:1], 0x30
	s_waitcnt lgkmcnt(0)
	s_bitcmp1_b32 s7, 0
	s_cselect_b32 s2, -1, 0
	s_cmp_gt_i32 s4, 0
	s_cselect_b32 s7, -1, 0
	s_cmp_lt_i32 s4, 1
	s_cbranch_scc1 .LBB250_8
; %bb.5:
	v_lshlrev_b64 v[1:2], 1, v[0:1]
	s_load_b128 s[16:19], s[0:1], 0x20
	s_cmp_lt_i32 s5, 1
	v_mov_b32_e32 v7, 0
	s_cselect_b32 s0, -1, 0
	s_cmp_gt_i32 s6, 0
	v_add_co_u32 v1, vcc_lo, s8, v1
	v_add_co_ci_u32_e32 v2, vcc_lo, s9, v2, vcc_lo
	s_cselect_b32 s1, -1, 0
	s_delay_alu instid0(SALU_CYCLE_1) | instskip(SKIP_3) | instid1(SALU_CYCLE_1)
	s_and_b32 s0, s0, s1
	global_load_u16 v1, v[1:2], off
	s_sub_i32 s1, 0, s5
	s_and_b32 s0, s10, s0
	v_cndmask_b32_e64 v8, 1, s1, s0
	s_waitcnt vmcnt(0)
	v_cvt_f32_f16_e32 v1, v1
	s_delay_alu instid0(VALU_DEP_1) | instskip(NEXT) | instid1(VALU_DEP_1)
	v_mul_f32_e32 v1, 0xbfb8aa3b, v1
	v_exp_f32_e32 v1, v1
	s_waitcnt_depctr 0xfff
	v_add_f32_e32 v9, 1.0, v1
	s_delay_alu instid0(VALU_DEP_1) | instskip(NEXT) | instid1(VALU_DEP_1)
	v_div_scale_f32 v3, null, v9, v9, 1.0
	v_rcp_f32_e32 v4, v3
	s_waitcnt_depctr 0xfff
	v_fma_f32 v1, -v3, v4, 1.0
	s_delay_alu instid0(VALU_DEP_1) | instskip(SKIP_2) | instid1(VALU_DEP_2)
	v_fmac_f32_e32 v4, v1, v4
	v_div_scale_f32 v10, vcc_lo, 1.0, v9, 1.0
	v_mul_lo_u32 v1, v0, s4
	v_mul_f32_e32 v11, v10, v4
	s_delay_alu instid0(VALU_DEP_2) | instskip(NEXT) | instid1(VALU_DEP_2)
	v_ashrrev_i32_e32 v2, 31, v1
	v_fma_f32 v5, -v3, v11, v10
	s_delay_alu instid0(VALU_DEP_1) | instskip(NEXT) | instid1(VALU_DEP_3)
	v_fmac_f32_e32 v11, v5, v4
	v_lshlrev_b64 v[5:6], 2, v[1:2]
	s_delay_alu instid0(VALU_DEP_2) | instskip(NEXT) | instid1(VALU_DEP_2)
	v_fma_f32 v3, -v3, v11, v10
	v_add_co_u32 v1, s0, s12, v5
	s_delay_alu instid0(VALU_DEP_1) | instskip(NEXT) | instid1(VALU_DEP_3)
	v_add_co_ci_u32_e64 v2, s0, s13, v6, s0
	v_div_fmas_f32 v10, v3, v4, v11
	s_waitcnt lgkmcnt(0)
	v_add_co_u32 v3, vcc_lo, s16, v5
	v_add_co_ci_u32_e32 v4, vcc_lo, s17, v6, vcc_lo
	s_delay_alu instid0(VALU_DEP_3) | instskip(SKIP_2) | instid1(VALU_DEP_3)
	v_div_fixup_f32 v9, v10, v9, 1.0
	v_add_co_u32 v5, vcc_lo, s18, v5
	v_add_co_ci_u32_e32 v6, vcc_lo, s19, v6, vcc_lo
	v_cmp_class_f32_e64 vcc_lo, v9, 0x1f8
	v_mov_b32_e32 v10, v0
	s_mov_b32 s0, s4
	v_cndmask_b32_e32 v9, 0, v9, vcc_lo
	.p2align	6
.LBB250_6:                              ; =>This Inner Loop Header: Depth=1
	global_store_b32 v[1:2], v9, off
	global_store_b32 v[3:4], v8, off
	;; [unrolled: 1-line block ×3, first 2 shown]
	v_add_co_u32 v1, vcc_lo, v1, 4
	v_add_co_ci_u32_e32 v2, vcc_lo, 0, v2, vcc_lo
	v_dual_add_f32 v11, v7, v9 :: v_dual_add_nc_u32 v10, s3, v10
	v_add_co_u32 v3, vcc_lo, v3, 4
	v_add_co_ci_u32_e32 v4, vcc_lo, 0, v4, vcc_lo
	v_add_co_u32 v5, vcc_lo, v5, 4
	s_delay_alu instid0(VALU_DEP_4) | instskip(SKIP_2) | instid1(SALU_CYCLE_1)
	v_cndmask_b32_e64 v7, v7, v11, s2
	v_add_co_ci_u32_e32 v6, vcc_lo, 0, v6, vcc_lo
	s_add_i32 s0, s0, -1
	s_cmp_lg_u32 s0, 0
	s_cbranch_scc1 .LBB250_6
; %bb.7:
	s_and_not1_b32 vcc_lo, exec_lo, s2
	s_cbranch_vccz .LBB250_9
	s_branch .LBB250_12
.LBB250_8:
	v_mov_b32_e32 v7, 0
	s_and_not1_b32 vcc_lo, exec_lo, s2
	s_cbranch_vccnz .LBB250_12
.LBB250_9:
	s_and_not1_b32 vcc_lo, exec_lo, s7
	s_cbranch_vccnz .LBB250_12
; %bb.10:
	v_mul_lo_u32 v0, v0, s4
	v_cmp_lt_f32_e32 vcc_lo, 0, v7
	v_cndmask_b32_e32 v2, 1.0, v7, vcc_lo
	s_delay_alu instid0(VALU_DEP_3) | instskip(NEXT) | instid1(VALU_DEP_1)
	v_ashrrev_i32_e32 v1, 31, v0
	v_lshlrev_b64 v[0:1], 2, v[0:1]
	s_delay_alu instid0(VALU_DEP_1) | instskip(NEXT) | instid1(VALU_DEP_2)
	v_add_co_u32 v0, vcc_lo, s12, v0
	v_add_co_ci_u32_e32 v1, vcc_lo, s13, v1, vcc_lo
	.p2align	6
.LBB250_11:                             ; =>This Inner Loop Header: Depth=1
	global_load_b32 v3, v[0:1], off
	s_add_i32 s4, s4, -1
	s_delay_alu instid0(SALU_CYCLE_1) | instskip(SKIP_3) | instid1(VALU_DEP_2)
	s_cmp_lg_u32 s4, 0
	s_waitcnt vmcnt(0)
	v_div_scale_f32 v4, null, v2, v2, v3
	v_div_scale_f32 v7, vcc_lo, v3, v2, v3
	v_rcp_f32_e32 v5, v4
	s_waitcnt_depctr 0xfff
	v_fma_f32 v6, -v4, v5, 1.0
	s_delay_alu instid0(VALU_DEP_1) | instskip(NEXT) | instid1(VALU_DEP_1)
	v_fmac_f32_e32 v5, v6, v5
	v_mul_f32_e32 v6, v7, v5
	s_delay_alu instid0(VALU_DEP_1) | instskip(NEXT) | instid1(VALU_DEP_1)
	v_fma_f32 v8, -v4, v6, v7
	v_fmac_f32_e32 v6, v8, v5
	s_delay_alu instid0(VALU_DEP_1) | instskip(NEXT) | instid1(VALU_DEP_1)
	v_fma_f32 v4, -v4, v6, v7
	v_div_fmas_f32 v4, v4, v5, v6
	s_delay_alu instid0(VALU_DEP_1)
	v_div_fixup_f32 v3, v4, v2, v3
	global_store_b32 v[0:1], v3, off
	v_add_co_u32 v0, vcc_lo, v0, 4
	v_add_co_ci_u32_e32 v1, vcc_lo, 0, v1, vcc_lo
	s_cbranch_scc1 .LBB250_11
.LBB250_12:
	s_nop 0
	s_sendmsg sendmsg(MSG_DEALLOC_VGPRS)
	s_endpgm
	.section	.rodata,"a",@progbits
	.p2align	6, 0x0
	.amdhsa_kernel _ZN4vllm3moe10topkGatingILi1ELi1ELi4ELi2ELi32Ei6__halfLNS0_11ScoringFuncE1EEEvPKT5_PKbPfiPT4_PiiiibPKf
		.amdhsa_group_segment_fixed_size 0
		.amdhsa_private_segment_fixed_size 0
		.amdhsa_kernarg_size 72
		.amdhsa_user_sgpr_count 15
		.amdhsa_user_sgpr_dispatch_ptr 0
		.amdhsa_user_sgpr_queue_ptr 0
		.amdhsa_user_sgpr_kernarg_segment_ptr 1
		.amdhsa_user_sgpr_dispatch_id 0
		.amdhsa_user_sgpr_private_segment_size 0
		.amdhsa_wavefront_size32 1
		.amdhsa_uses_dynamic_stack 0
		.amdhsa_enable_private_segment 0
		.amdhsa_system_sgpr_workgroup_id_x 1
		.amdhsa_system_sgpr_workgroup_id_y 0
		.amdhsa_system_sgpr_workgroup_id_z 0
		.amdhsa_system_sgpr_workgroup_info 0
		.amdhsa_system_vgpr_workitem_id 1
		.amdhsa_next_free_vgpr 12
		.amdhsa_next_free_sgpr 20
		.amdhsa_reserve_vcc 1
		.amdhsa_float_round_mode_32 0
		.amdhsa_float_round_mode_16_64 0
		.amdhsa_float_denorm_mode_32 3
		.amdhsa_float_denorm_mode_16_64 3
		.amdhsa_dx10_clamp 1
		.amdhsa_ieee_mode 1
		.amdhsa_fp16_overflow 0
		.amdhsa_workgroup_processor_mode 1
		.amdhsa_memory_ordered 1
		.amdhsa_forward_progress 0
		.amdhsa_shared_vgpr_count 0
		.amdhsa_exception_fp_ieee_invalid_op 0
		.amdhsa_exception_fp_denorm_src 0
		.amdhsa_exception_fp_ieee_div_zero 0
		.amdhsa_exception_fp_ieee_overflow 0
		.amdhsa_exception_fp_ieee_underflow 0
		.amdhsa_exception_fp_ieee_inexact 0
		.amdhsa_exception_int_div_zero 0
	.end_amdhsa_kernel
	.section	.text._ZN4vllm3moe10topkGatingILi1ELi1ELi4ELi2ELi32Ei6__halfLNS0_11ScoringFuncE1EEEvPKT5_PKbPfiPT4_PiiiibPKf,"axG",@progbits,_ZN4vllm3moe10topkGatingILi1ELi1ELi4ELi2ELi32Ei6__halfLNS0_11ScoringFuncE1EEEvPKT5_PKbPfiPT4_PiiiibPKf,comdat
.Lfunc_end250:
	.size	_ZN4vllm3moe10topkGatingILi1ELi1ELi4ELi2ELi32Ei6__halfLNS0_11ScoringFuncE1EEEvPKT5_PKbPfiPT4_PiiiibPKf, .Lfunc_end250-_ZN4vllm3moe10topkGatingILi1ELi1ELi4ELi2ELi32Ei6__halfLNS0_11ScoringFuncE1EEEvPKT5_PKbPfiPT4_PiiiibPKf
                                        ; -- End function
	.section	.AMDGPU.csdata,"",@progbits
; Kernel info:
; codeLenInByte = 820
; NumSgprs: 22
; NumVgprs: 12
; ScratchSize: 0
; MemoryBound: 0
; FloatMode: 240
; IeeeMode: 1
; LDSByteSize: 0 bytes/workgroup (compile time only)
; SGPRBlocks: 2
; VGPRBlocks: 1
; NumSGPRsForWavesPerEU: 22
; NumVGPRsForWavesPerEU: 12
; Occupancy: 16
; WaveLimiterHint : 0
; COMPUTE_PGM_RSRC2:SCRATCH_EN: 0
; COMPUTE_PGM_RSRC2:USER_SGPR: 15
; COMPUTE_PGM_RSRC2:TRAP_HANDLER: 0
; COMPUTE_PGM_RSRC2:TGID_X_EN: 1
; COMPUTE_PGM_RSRC2:TGID_Y_EN: 0
; COMPUTE_PGM_RSRC2:TGID_Z_EN: 0
; COMPUTE_PGM_RSRC2:TIDIG_COMP_CNT: 1
	.section	.text._ZN4vllm3moe10topkGatingILi2ELi2ELi4ELi4ELi64Ei6__halfLNS0_11ScoringFuncE1EEEvPKT5_PKbPfiPT4_PiiiibPKf,"axG",@progbits,_ZN4vllm3moe10topkGatingILi2ELi2ELi4ELi4ELi64Ei6__halfLNS0_11ScoringFuncE1EEEvPKT5_PKbPfiPT4_PiiiibPKf,comdat
	.protected	_ZN4vllm3moe10topkGatingILi2ELi2ELi4ELi4ELi64Ei6__halfLNS0_11ScoringFuncE1EEEvPKT5_PKbPfiPT4_PiiiibPKf ; -- Begin function _ZN4vllm3moe10topkGatingILi2ELi2ELi4ELi4ELi64Ei6__halfLNS0_11ScoringFuncE1EEEvPKT5_PKbPfiPT4_PiiiibPKf
	.globl	_ZN4vllm3moe10topkGatingILi2ELi2ELi4ELi4ELi64Ei6__halfLNS0_11ScoringFuncE1EEEvPKT5_PKbPfiPT4_PiiiibPKf
	.p2align	8
	.type	_ZN4vllm3moe10topkGatingILi2ELi2ELi4ELi4ELi64Ei6__halfLNS0_11ScoringFuncE1EEEvPKT5_PKbPfiPT4_PiiiibPKf,@function
_ZN4vllm3moe10topkGatingILi2ELi2ELi4ELi4ELi64Ei6__halfLNS0_11ScoringFuncE1EEEvPKT5_PKbPfiPT4_PiiiibPKf: ; @_ZN4vllm3moe10topkGatingILi2ELi2ELi4ELi4ELi64Ei6__halfLNS0_11ScoringFuncE1EEEvPKT5_PKbPfiPT4_PiiiibPKf
; %bb.0:
	s_load_b32 s3, s[0:1], 0x18
	v_bfe_u32 v1, v0, 10, 10
	v_and_b32_e32 v0, 0x3ff, v0
	s_lshl_b32 s2, s15, 8
	s_delay_alu instid0(VALU_DEP_2) | instskip(NEXT) | instid1(VALU_DEP_1)
	v_lshlrev_b32_e32 v1, 6, v1
	v_add3_u32 v10, v1, v0, s2
	s_mov_b32 s2, exec_lo
	s_waitcnt lgkmcnt(0)
	s_delay_alu instid0(VALU_DEP_1)
	v_cmpx_gt_i32_e64 s3, v10
	s_cbranch_execz .LBB251_14
; %bb.1:
	s_clause 0x1
	s_load_b128 s[4:7], s[0:1], 0x0
	s_load_b64 s[8:9], s[0:1], 0x10
	s_waitcnt lgkmcnt(0)
	s_cmp_eq_u64 s[6:7], 0
	s_cbranch_scc1 .LBB251_3
; %bb.2:
	v_ashrrev_i32_e32 v1, 31, v10
	v_add_co_u32 v0, vcc_lo, s6, v10
	s_delay_alu instid0(VALU_DEP_2) | instskip(SKIP_3) | instid1(VALU_DEP_1)
	v_add_co_ci_u32_e32 v1, vcc_lo, s7, v1, vcc_lo
	global_load_u8 v0, v[0:1], off
	s_waitcnt vmcnt(0)
	v_and_b32_e32 v0, 1, v0
	v_cmp_eq_u32_e32 vcc_lo, 1, v0
	s_xor_b32 s2, vcc_lo, -1
	s_delay_alu instid0(SALU_CYCLE_1)
	s_or_not1_b32 s10, s2, exec_lo
	s_branch .LBB251_4
.LBB251_3:
	s_mov_b32 s10, -1
.LBB251_4:
	v_lshlrev_b32_e32 v0, 1, v10
	s_delay_alu instid0(VALU_DEP_1) | instskip(NEXT) | instid1(VALU_DEP_1)
	v_ashrrev_i32_e32 v1, 31, v0
	v_lshlrev_b64 v[0:1], 1, v[0:1]
	s_delay_alu instid0(VALU_DEP_1) | instskip(NEXT) | instid1(VALU_DEP_2)
	v_add_co_u32 v0, vcc_lo, s4, v0
	v_add_co_ci_u32_e32 v1, vcc_lo, s5, v1, vcc_lo
	s_load_b64 s[4:5], s[0:1], 0x40
	global_load_b32 v0, v[0:1], off
	s_waitcnt lgkmcnt(0)
	s_cmp_eq_u64 s[4:5], 0
	s_waitcnt vmcnt(0)
	v_lshrrev_b32_e32 v1, 16, v0
	v_cvt_f32_f16_e32 v0, v0
	s_delay_alu instid0(VALU_DEP_2) | instskip(NEXT) | instid1(VALU_DEP_1)
	v_cvt_f32_f16_e32 v1, v1
	v_mul_f32_e32 v1, 0xbfb8aa3b, v1
	s_delay_alu instid0(VALU_DEP_1) | instskip(SKIP_2) | instid1(VALU_DEP_1)
	v_exp_f32_e32 v1, v1
	s_waitcnt_depctr 0xfff
	v_dual_mul_f32 v0, 0xbfb8aa3b, v0 :: v_dual_add_f32 v1, 1.0, v1
	v_exp_f32_e32 v0, v0
	s_delay_alu instid0(VALU_DEP_1) | instskip(NEXT) | instid1(VALU_DEP_1)
	v_div_scale_f32 v3, null, v1, v1, 1.0
	v_rcp_f32_e32 v5, v3
	s_waitcnt_depctr 0xfff
	v_fma_f32 v7, -v3, v5, 1.0
	s_delay_alu instid0(VALU_DEP_1) | instskip(NEXT) | instid1(VALU_DEP_1)
	v_dual_add_f32 v0, 1.0, v0 :: v_dual_fmac_f32 v5, v7, v5
	v_div_scale_f32 v2, null, v0, v0, 1.0
	v_div_scale_f32 v8, vcc_lo, 1.0, v0, 1.0
	s_delay_alu instid0(VALU_DEP_2) | instskip(SKIP_2) | instid1(VALU_DEP_1)
	v_rcp_f32_e32 v4, v2
	s_waitcnt_depctr 0xfff
	v_fma_f32 v6, -v2, v4, 1.0
	v_fmac_f32_e32 v4, v6, v4
	v_div_scale_f32 v6, s2, 1.0, v1, 1.0
	s_delay_alu instid0(VALU_DEP_1) | instskip(NEXT) | instid1(VALU_DEP_1)
	v_mul_f32_e32 v9, v6, v5
	v_fma_f32 v12, -v3, v9, v6
	s_delay_alu instid0(VALU_DEP_1) | instskip(SKIP_1) | instid1(VALU_DEP_2)
	v_fmac_f32_e32 v9, v12, v5
	v_mul_f32_e32 v7, v8, v4
	v_fma_f32 v3, -v3, v9, v6
	s_delay_alu instid0(VALU_DEP_2) | instskip(NEXT) | instid1(VALU_DEP_1)
	v_fma_f32 v11, -v2, v7, v8
	v_fmac_f32_e32 v7, v11, v4
	s_delay_alu instid0(VALU_DEP_1) | instskip(NEXT) | instid1(VALU_DEP_1)
	v_fma_f32 v2, -v2, v7, v8
	v_div_fmas_f32 v2, v2, v4, v7
	s_mov_b32 vcc_lo, s2
	v_div_fmas_f32 v3, v3, v5, v9
	s_delay_alu instid0(VALU_DEP_2) | instskip(NEXT) | instid1(VALU_DEP_2)
	v_div_fixup_f32 v0, v2, v0, 1.0
	v_div_fixup_f32 v1, v3, v1, 1.0
	s_delay_alu instid0(VALU_DEP_2) | instskip(SKIP_1) | instid1(VALU_DEP_3)
	v_cmp_class_f32_e64 vcc_lo, v0, 0x1f8
	v_cndmask_b32_e32 v0, 0, v0, vcc_lo
	v_cmp_class_f32_e64 vcc_lo, v1, 0x1f8
	v_cndmask_b32_e32 v1, 0, v1, vcc_lo
	s_delay_alu instid0(VALU_DEP_1)
	v_dual_mov_b32 v3, v1 :: v_dual_mov_b32 v2, v0
	s_cbranch_scc1 .LBB251_6
; %bb.5:
	s_load_b64 s[4:5], s[4:5], 0x0
	s_waitcnt lgkmcnt(0)
	v_dual_add_f32 v2, s4, v0 :: v_dual_add_f32 v3, s5, v1
.LBB251_6:
	s_load_b128 s[4:7], s[0:1], 0x30
	s_waitcnt lgkmcnt(0)
	s_bitcmp1_b32 s7, 0
	s_cselect_b32 vcc_lo, -1, 0
	s_cmp_gt_i32 s4, 0
	s_cselect_b32 s7, -1, 0
	s_cmp_lt_i32 s4, 1
	s_cbranch_scc1 .LBB251_10
; %bb.7:
	v_mul_lo_u32 v4, v10, s4
	s_load_b128 s[12:15], s[0:1], 0x20
	v_dual_mov_b32 v11, 0 :: v_dual_mov_b32 v12, v10
	s_mov_b32 s11, 0
	s_delay_alu instid0(VALU_DEP_2) | instskip(NEXT) | instid1(VALU_DEP_1)
	v_ashrrev_i32_e32 v5, 31, v4
	v_lshlrev_b64 v[8:9], 2, v[4:5]
	s_delay_alu instid0(VALU_DEP_1) | instskip(NEXT) | instid1(VALU_DEP_1)
	v_add_co_u32 v4, s0, s8, v8
	v_add_co_ci_u32_e64 v5, s0, s9, v9, s0
	s_waitcnt lgkmcnt(0)
	v_add_co_u32 v6, s0, s12, v8
	s_delay_alu instid0(VALU_DEP_1) | instskip(SKIP_1) | instid1(VALU_DEP_1)
	v_add_co_ci_u32_e64 v7, s0, s13, v9, s0
	v_add_co_u32 v8, s0, s14, v8
	v_add_co_ci_u32_e64 v9, s0, s15, v9, s0
.LBB251_8:                              ; =>This Inner Loop Header: Depth=1
	v_cmp_gt_f32_e64 s0, v3, v2
	s_add_i32 s11, s11, 1
	s_delay_alu instid0(VALU_DEP_1) | instskip(SKIP_3) | instid1(VALU_DEP_4)
	v_cndmask_b32_e64 v13, 0, 1, s0
	v_cndmask_b32_e64 v14, v0, v1, s0
	;; [unrolled: 1-line block ×4, first 2 shown]
	v_cmp_le_i32_e64 s1, s5, v13
	v_cmp_gt_i32_e64 s2, s6, v13
	v_subrev_nc_u32_e32 v13, s5, v13
	global_store_b32 v[4:5], v14, off
	v_add_f32_e32 v16, v11, v14
	s_and_b32 s1, s1, s2
	s_delay_alu instid0(SALU_CYCLE_1)
	s_and_b32 s1, s10, s1
	s_cmp_lt_i32 s11, s4
	v_cndmask_b32_e64 v13, 2, v13, s1
	s_cselect_b32 s0, -1, 0
	v_cndmask_b32_e32 v11, v11, v16, vcc_lo
	v_cndmask_b32_e64 v3, v3, v17, s0
	v_cndmask_b32_e64 v2, v2, v15, s0
	v_add_co_u32 v4, s0, v4, 4
	s_delay_alu instid0(VALU_DEP_1) | instskip(SKIP_3) | instid1(VALU_DEP_1)
	v_add_co_ci_u32_e64 v5, s0, 0, v5, s0
	global_store_b32 v[6:7], v13, off
	global_store_b32 v[8:9], v12, off
	v_add_co_u32 v6, s0, v6, 4
	v_add_co_ci_u32_e64 v7, s0, 0, v7, s0
	v_add_co_u32 v8, s0, v8, 4
	v_add_nc_u32_e32 v12, s3, v12
	v_add_co_ci_u32_e64 v9, s0, 0, v9, s0
	s_cmp_eq_u32 s4, s11
	s_cbranch_scc0 .LBB251_8
; %bb.9:
	s_and_b32 vcc_lo, exec_lo, vcc_lo
	s_cbranch_vccnz .LBB251_11
	s_branch .LBB251_14
.LBB251_10:
	v_mov_b32_e32 v11, 0
	s_and_b32 vcc_lo, exec_lo, vcc_lo
	s_cbranch_vccz .LBB251_14
.LBB251_11:
	s_and_not1_b32 vcc_lo, exec_lo, s7
	s_cbranch_vccnz .LBB251_14
; %bb.12:
	v_mul_lo_u32 v0, v10, s4
	v_cmp_lt_f32_e32 vcc_lo, 0, v11
	v_cndmask_b32_e32 v2, 1.0, v11, vcc_lo
	s_delay_alu instid0(VALU_DEP_3) | instskip(NEXT) | instid1(VALU_DEP_1)
	v_ashrrev_i32_e32 v1, 31, v0
	v_lshlrev_b64 v[0:1], 2, v[0:1]
	s_delay_alu instid0(VALU_DEP_1) | instskip(NEXT) | instid1(VALU_DEP_2)
	v_add_co_u32 v0, vcc_lo, s8, v0
	v_add_co_ci_u32_e32 v1, vcc_lo, s9, v1, vcc_lo
	.p2align	6
.LBB251_13:                             ; =>This Inner Loop Header: Depth=1
	global_load_b32 v3, v[0:1], off
	s_add_i32 s4, s4, -1
	s_delay_alu instid0(SALU_CYCLE_1) | instskip(SKIP_3) | instid1(VALU_DEP_2)
	s_cmp_lg_u32 s4, 0
	s_waitcnt vmcnt(0)
	v_div_scale_f32 v4, null, v2, v2, v3
	v_div_scale_f32 v7, vcc_lo, v3, v2, v3
	v_rcp_f32_e32 v5, v4
	s_waitcnt_depctr 0xfff
	v_fma_f32 v6, -v4, v5, 1.0
	s_delay_alu instid0(VALU_DEP_1) | instskip(NEXT) | instid1(VALU_DEP_1)
	v_fmac_f32_e32 v5, v6, v5
	v_mul_f32_e32 v6, v7, v5
	s_delay_alu instid0(VALU_DEP_1) | instskip(NEXT) | instid1(VALU_DEP_1)
	v_fma_f32 v8, -v4, v6, v7
	v_fmac_f32_e32 v6, v8, v5
	s_delay_alu instid0(VALU_DEP_1) | instskip(NEXT) | instid1(VALU_DEP_1)
	v_fma_f32 v4, -v4, v6, v7
	v_div_fmas_f32 v4, v4, v5, v6
	s_delay_alu instid0(VALU_DEP_1)
	v_div_fixup_f32 v3, v4, v2, v3
	global_store_b32 v[0:1], v3, off
	v_add_co_u32 v0, vcc_lo, v0, 4
	v_add_co_ci_u32_e32 v1, vcc_lo, 0, v1, vcc_lo
	s_cbranch_scc1 .LBB251_13
.LBB251_14:
	s_nop 0
	s_sendmsg sendmsg(MSG_DEALLOC_VGPRS)
	s_endpgm
	.section	.rodata,"a",@progbits
	.p2align	6, 0x0
	.amdhsa_kernel _ZN4vllm3moe10topkGatingILi2ELi2ELi4ELi4ELi64Ei6__halfLNS0_11ScoringFuncE1EEEvPKT5_PKbPfiPT4_PiiiibPKf
		.amdhsa_group_segment_fixed_size 0
		.amdhsa_private_segment_fixed_size 0
		.amdhsa_kernarg_size 72
		.amdhsa_user_sgpr_count 15
		.amdhsa_user_sgpr_dispatch_ptr 0
		.amdhsa_user_sgpr_queue_ptr 0
		.amdhsa_user_sgpr_kernarg_segment_ptr 1
		.amdhsa_user_sgpr_dispatch_id 0
		.amdhsa_user_sgpr_private_segment_size 0
		.amdhsa_wavefront_size32 1
		.amdhsa_uses_dynamic_stack 0
		.amdhsa_enable_private_segment 0
		.amdhsa_system_sgpr_workgroup_id_x 1
		.amdhsa_system_sgpr_workgroup_id_y 0
		.amdhsa_system_sgpr_workgroup_id_z 0
		.amdhsa_system_sgpr_workgroup_info 0
		.amdhsa_system_vgpr_workitem_id 1
		.amdhsa_next_free_vgpr 18
		.amdhsa_next_free_sgpr 16
		.amdhsa_reserve_vcc 1
		.amdhsa_float_round_mode_32 0
		.amdhsa_float_round_mode_16_64 0
		.amdhsa_float_denorm_mode_32 3
		.amdhsa_float_denorm_mode_16_64 3
		.amdhsa_dx10_clamp 1
		.amdhsa_ieee_mode 1
		.amdhsa_fp16_overflow 0
		.amdhsa_workgroup_processor_mode 1
		.amdhsa_memory_ordered 1
		.amdhsa_forward_progress 0
		.amdhsa_shared_vgpr_count 0
		.amdhsa_exception_fp_ieee_invalid_op 0
		.amdhsa_exception_fp_denorm_src 0
		.amdhsa_exception_fp_ieee_div_zero 0
		.amdhsa_exception_fp_ieee_overflow 0
		.amdhsa_exception_fp_ieee_underflow 0
		.amdhsa_exception_fp_ieee_inexact 0
		.amdhsa_exception_int_div_zero 0
	.end_amdhsa_kernel
	.section	.text._ZN4vllm3moe10topkGatingILi2ELi2ELi4ELi4ELi64Ei6__halfLNS0_11ScoringFuncE1EEEvPKT5_PKbPfiPT4_PiiiibPKf,"axG",@progbits,_ZN4vllm3moe10topkGatingILi2ELi2ELi4ELi4ELi64Ei6__halfLNS0_11ScoringFuncE1EEEvPKT5_PKbPfiPT4_PiiiibPKf,comdat
.Lfunc_end251:
	.size	_ZN4vllm3moe10topkGatingILi2ELi2ELi4ELi4ELi64Ei6__halfLNS0_11ScoringFuncE1EEEvPKT5_PKbPfiPT4_PiiiibPKf, .Lfunc_end251-_ZN4vllm3moe10topkGatingILi2ELi2ELi4ELi4ELi64Ei6__halfLNS0_11ScoringFuncE1EEEvPKT5_PKbPfiPT4_PiiiibPKf
                                        ; -- End function
	.section	.AMDGPU.csdata,"",@progbits
; Kernel info:
; codeLenInByte = 1128
; NumSgprs: 18
; NumVgprs: 18
; ScratchSize: 0
; MemoryBound: 0
; FloatMode: 240
; IeeeMode: 1
; LDSByteSize: 0 bytes/workgroup (compile time only)
; SGPRBlocks: 2
; VGPRBlocks: 2
; NumSGPRsForWavesPerEU: 18
; NumVGPRsForWavesPerEU: 18
; Occupancy: 16
; WaveLimiterHint : 0
; COMPUTE_PGM_RSRC2:SCRATCH_EN: 0
; COMPUTE_PGM_RSRC2:USER_SGPR: 15
; COMPUTE_PGM_RSRC2:TRAP_HANDLER: 0
; COMPUTE_PGM_RSRC2:TGID_X_EN: 1
; COMPUTE_PGM_RSRC2:TGID_Y_EN: 0
; COMPUTE_PGM_RSRC2:TGID_Z_EN: 0
; COMPUTE_PGM_RSRC2:TIDIG_COMP_CNT: 1
	.section	.text._ZN4vllm3moe10topkGatingILi2ELi2ELi4ELi4ELi32Ei6__halfLNS0_11ScoringFuncE1EEEvPKT5_PKbPfiPT4_PiiiibPKf,"axG",@progbits,_ZN4vllm3moe10topkGatingILi2ELi2ELi4ELi4ELi32Ei6__halfLNS0_11ScoringFuncE1EEEvPKT5_PKbPfiPT4_PiiiibPKf,comdat
	.protected	_ZN4vllm3moe10topkGatingILi2ELi2ELi4ELi4ELi32Ei6__halfLNS0_11ScoringFuncE1EEEvPKT5_PKbPfiPT4_PiiiibPKf ; -- Begin function _ZN4vllm3moe10topkGatingILi2ELi2ELi4ELi4ELi32Ei6__halfLNS0_11ScoringFuncE1EEEvPKT5_PKbPfiPT4_PiiiibPKf
	.globl	_ZN4vllm3moe10topkGatingILi2ELi2ELi4ELi4ELi32Ei6__halfLNS0_11ScoringFuncE1EEEvPKT5_PKbPfiPT4_PiiiibPKf
	.p2align	8
	.type	_ZN4vllm3moe10topkGatingILi2ELi2ELi4ELi4ELi32Ei6__halfLNS0_11ScoringFuncE1EEEvPKT5_PKbPfiPT4_PiiiibPKf,@function
_ZN4vllm3moe10topkGatingILi2ELi2ELi4ELi4ELi32Ei6__halfLNS0_11ScoringFuncE1EEEvPKT5_PKbPfiPT4_PiiiibPKf: ; @_ZN4vllm3moe10topkGatingILi2ELi2ELi4ELi4ELi32Ei6__halfLNS0_11ScoringFuncE1EEEvPKT5_PKbPfiPT4_PiiiibPKf
; %bb.0:
	s_load_b32 s3, s[0:1], 0x18
	v_bfe_u32 v1, v0, 10, 10
	v_and_b32_e32 v0, 0x3ff, v0
	s_lshl_b32 s2, s15, 7
	s_delay_alu instid0(VALU_DEP_2) | instskip(NEXT) | instid1(VALU_DEP_1)
	v_lshlrev_b32_e32 v1, 5, v1
	v_add3_u32 v10, v1, v0, s2
	s_mov_b32 s2, exec_lo
	s_waitcnt lgkmcnt(0)
	s_delay_alu instid0(VALU_DEP_1)
	v_cmpx_gt_i32_e64 s3, v10
	s_cbranch_execz .LBB252_14
; %bb.1:
	s_clause 0x1
	s_load_b128 s[4:7], s[0:1], 0x0
	s_load_b64 s[8:9], s[0:1], 0x10
	s_waitcnt lgkmcnt(0)
	s_cmp_eq_u64 s[6:7], 0
	s_cbranch_scc1 .LBB252_3
; %bb.2:
	v_ashrrev_i32_e32 v1, 31, v10
	v_add_co_u32 v0, vcc_lo, s6, v10
	s_delay_alu instid0(VALU_DEP_2) | instskip(SKIP_3) | instid1(VALU_DEP_1)
	v_add_co_ci_u32_e32 v1, vcc_lo, s7, v1, vcc_lo
	global_load_u8 v0, v[0:1], off
	s_waitcnt vmcnt(0)
	v_and_b32_e32 v0, 1, v0
	v_cmp_eq_u32_e32 vcc_lo, 1, v0
	s_xor_b32 s2, vcc_lo, -1
	s_delay_alu instid0(SALU_CYCLE_1)
	s_or_not1_b32 s10, s2, exec_lo
	s_branch .LBB252_4
.LBB252_3:
	s_mov_b32 s10, -1
.LBB252_4:
	v_lshlrev_b32_e32 v0, 1, v10
	s_delay_alu instid0(VALU_DEP_1) | instskip(NEXT) | instid1(VALU_DEP_1)
	v_ashrrev_i32_e32 v1, 31, v0
	v_lshlrev_b64 v[0:1], 1, v[0:1]
	s_delay_alu instid0(VALU_DEP_1) | instskip(NEXT) | instid1(VALU_DEP_2)
	v_add_co_u32 v0, vcc_lo, s4, v0
	v_add_co_ci_u32_e32 v1, vcc_lo, s5, v1, vcc_lo
	s_load_b64 s[4:5], s[0:1], 0x40
	global_load_b32 v0, v[0:1], off
	s_waitcnt lgkmcnt(0)
	s_cmp_eq_u64 s[4:5], 0
	s_waitcnt vmcnt(0)
	v_lshrrev_b32_e32 v1, 16, v0
	v_cvt_f32_f16_e32 v0, v0
	s_delay_alu instid0(VALU_DEP_2) | instskip(NEXT) | instid1(VALU_DEP_1)
	v_cvt_f32_f16_e32 v1, v1
	v_mul_f32_e32 v1, 0xbfb8aa3b, v1
	s_delay_alu instid0(VALU_DEP_1) | instskip(SKIP_2) | instid1(VALU_DEP_1)
	v_exp_f32_e32 v1, v1
	s_waitcnt_depctr 0xfff
	v_dual_mul_f32 v0, 0xbfb8aa3b, v0 :: v_dual_add_f32 v1, 1.0, v1
	v_exp_f32_e32 v0, v0
	s_delay_alu instid0(VALU_DEP_1) | instskip(NEXT) | instid1(VALU_DEP_1)
	v_div_scale_f32 v3, null, v1, v1, 1.0
	v_rcp_f32_e32 v5, v3
	s_waitcnt_depctr 0xfff
	v_fma_f32 v7, -v3, v5, 1.0
	s_delay_alu instid0(VALU_DEP_1) | instskip(NEXT) | instid1(VALU_DEP_1)
	v_dual_add_f32 v0, 1.0, v0 :: v_dual_fmac_f32 v5, v7, v5
	v_div_scale_f32 v2, null, v0, v0, 1.0
	v_div_scale_f32 v8, vcc_lo, 1.0, v0, 1.0
	s_delay_alu instid0(VALU_DEP_2) | instskip(SKIP_2) | instid1(VALU_DEP_1)
	v_rcp_f32_e32 v4, v2
	s_waitcnt_depctr 0xfff
	v_fma_f32 v6, -v2, v4, 1.0
	v_fmac_f32_e32 v4, v6, v4
	v_div_scale_f32 v6, s2, 1.0, v1, 1.0
	s_delay_alu instid0(VALU_DEP_1) | instskip(NEXT) | instid1(VALU_DEP_1)
	v_mul_f32_e32 v9, v6, v5
	v_fma_f32 v12, -v3, v9, v6
	s_delay_alu instid0(VALU_DEP_1) | instskip(SKIP_1) | instid1(VALU_DEP_2)
	v_fmac_f32_e32 v9, v12, v5
	v_mul_f32_e32 v7, v8, v4
	v_fma_f32 v3, -v3, v9, v6
	s_delay_alu instid0(VALU_DEP_2) | instskip(NEXT) | instid1(VALU_DEP_1)
	v_fma_f32 v11, -v2, v7, v8
	v_fmac_f32_e32 v7, v11, v4
	s_delay_alu instid0(VALU_DEP_1) | instskip(NEXT) | instid1(VALU_DEP_1)
	v_fma_f32 v2, -v2, v7, v8
	v_div_fmas_f32 v2, v2, v4, v7
	s_mov_b32 vcc_lo, s2
	v_div_fmas_f32 v3, v3, v5, v9
	s_delay_alu instid0(VALU_DEP_2) | instskip(NEXT) | instid1(VALU_DEP_2)
	v_div_fixup_f32 v0, v2, v0, 1.0
	v_div_fixup_f32 v1, v3, v1, 1.0
	s_delay_alu instid0(VALU_DEP_2) | instskip(SKIP_1) | instid1(VALU_DEP_3)
	v_cmp_class_f32_e64 vcc_lo, v0, 0x1f8
	v_cndmask_b32_e32 v0, 0, v0, vcc_lo
	v_cmp_class_f32_e64 vcc_lo, v1, 0x1f8
	v_cndmask_b32_e32 v1, 0, v1, vcc_lo
	s_delay_alu instid0(VALU_DEP_1)
	v_dual_mov_b32 v3, v1 :: v_dual_mov_b32 v2, v0
	s_cbranch_scc1 .LBB252_6
; %bb.5:
	s_load_b64 s[4:5], s[4:5], 0x0
	s_waitcnt lgkmcnt(0)
	v_dual_add_f32 v2, s4, v0 :: v_dual_add_f32 v3, s5, v1
.LBB252_6:
	s_load_b128 s[4:7], s[0:1], 0x30
	s_waitcnt lgkmcnt(0)
	s_bitcmp1_b32 s7, 0
	s_cselect_b32 vcc_lo, -1, 0
	s_cmp_gt_i32 s4, 0
	s_cselect_b32 s7, -1, 0
	s_cmp_lt_i32 s4, 1
	s_cbranch_scc1 .LBB252_10
; %bb.7:
	v_mul_lo_u32 v4, v10, s4
	s_load_b128 s[12:15], s[0:1], 0x20
	v_dual_mov_b32 v11, 0 :: v_dual_mov_b32 v12, v10
	s_mov_b32 s11, 0
	s_delay_alu instid0(VALU_DEP_2) | instskip(NEXT) | instid1(VALU_DEP_1)
	v_ashrrev_i32_e32 v5, 31, v4
	v_lshlrev_b64 v[8:9], 2, v[4:5]
	s_delay_alu instid0(VALU_DEP_1) | instskip(NEXT) | instid1(VALU_DEP_1)
	v_add_co_u32 v4, s0, s8, v8
	v_add_co_ci_u32_e64 v5, s0, s9, v9, s0
	s_waitcnt lgkmcnt(0)
	v_add_co_u32 v6, s0, s12, v8
	s_delay_alu instid0(VALU_DEP_1) | instskip(SKIP_1) | instid1(VALU_DEP_1)
	v_add_co_ci_u32_e64 v7, s0, s13, v9, s0
	v_add_co_u32 v8, s0, s14, v8
	v_add_co_ci_u32_e64 v9, s0, s15, v9, s0
.LBB252_8:                              ; =>This Inner Loop Header: Depth=1
	v_cmp_gt_f32_e64 s0, v3, v2
	s_add_i32 s11, s11, 1
	s_delay_alu instid0(VALU_DEP_1) | instskip(SKIP_3) | instid1(VALU_DEP_4)
	v_cndmask_b32_e64 v13, 0, 1, s0
	v_cndmask_b32_e64 v14, v0, v1, s0
	;; [unrolled: 1-line block ×4, first 2 shown]
	v_cmp_le_i32_e64 s1, s5, v13
	v_cmp_gt_i32_e64 s2, s6, v13
	v_subrev_nc_u32_e32 v13, s5, v13
	global_store_b32 v[4:5], v14, off
	v_add_f32_e32 v16, v11, v14
	s_and_b32 s1, s1, s2
	s_delay_alu instid0(SALU_CYCLE_1)
	s_and_b32 s1, s10, s1
	s_cmp_lt_i32 s11, s4
	v_cndmask_b32_e64 v13, 2, v13, s1
	s_cselect_b32 s0, -1, 0
	v_cndmask_b32_e32 v11, v11, v16, vcc_lo
	v_cndmask_b32_e64 v3, v3, v17, s0
	v_cndmask_b32_e64 v2, v2, v15, s0
	v_add_co_u32 v4, s0, v4, 4
	s_delay_alu instid0(VALU_DEP_1) | instskip(SKIP_3) | instid1(VALU_DEP_1)
	v_add_co_ci_u32_e64 v5, s0, 0, v5, s0
	global_store_b32 v[6:7], v13, off
	global_store_b32 v[8:9], v12, off
	v_add_co_u32 v6, s0, v6, 4
	v_add_co_ci_u32_e64 v7, s0, 0, v7, s0
	v_add_co_u32 v8, s0, v8, 4
	v_add_nc_u32_e32 v12, s3, v12
	v_add_co_ci_u32_e64 v9, s0, 0, v9, s0
	s_cmp_eq_u32 s4, s11
	s_cbranch_scc0 .LBB252_8
; %bb.9:
	s_and_b32 vcc_lo, exec_lo, vcc_lo
	s_cbranch_vccnz .LBB252_11
	s_branch .LBB252_14
.LBB252_10:
	v_mov_b32_e32 v11, 0
	s_and_b32 vcc_lo, exec_lo, vcc_lo
	s_cbranch_vccz .LBB252_14
.LBB252_11:
	s_and_not1_b32 vcc_lo, exec_lo, s7
	s_cbranch_vccnz .LBB252_14
; %bb.12:
	v_mul_lo_u32 v0, v10, s4
	v_cmp_lt_f32_e32 vcc_lo, 0, v11
	v_cndmask_b32_e32 v2, 1.0, v11, vcc_lo
	s_delay_alu instid0(VALU_DEP_3) | instskip(NEXT) | instid1(VALU_DEP_1)
	v_ashrrev_i32_e32 v1, 31, v0
	v_lshlrev_b64 v[0:1], 2, v[0:1]
	s_delay_alu instid0(VALU_DEP_1) | instskip(NEXT) | instid1(VALU_DEP_2)
	v_add_co_u32 v0, vcc_lo, s8, v0
	v_add_co_ci_u32_e32 v1, vcc_lo, s9, v1, vcc_lo
	.p2align	6
.LBB252_13:                             ; =>This Inner Loop Header: Depth=1
	global_load_b32 v3, v[0:1], off
	s_add_i32 s4, s4, -1
	s_delay_alu instid0(SALU_CYCLE_1) | instskip(SKIP_3) | instid1(VALU_DEP_2)
	s_cmp_lg_u32 s4, 0
	s_waitcnt vmcnt(0)
	v_div_scale_f32 v4, null, v2, v2, v3
	v_div_scale_f32 v7, vcc_lo, v3, v2, v3
	v_rcp_f32_e32 v5, v4
	s_waitcnt_depctr 0xfff
	v_fma_f32 v6, -v4, v5, 1.0
	s_delay_alu instid0(VALU_DEP_1) | instskip(NEXT) | instid1(VALU_DEP_1)
	v_fmac_f32_e32 v5, v6, v5
	v_mul_f32_e32 v6, v7, v5
	s_delay_alu instid0(VALU_DEP_1) | instskip(NEXT) | instid1(VALU_DEP_1)
	v_fma_f32 v8, -v4, v6, v7
	v_fmac_f32_e32 v6, v8, v5
	s_delay_alu instid0(VALU_DEP_1) | instskip(NEXT) | instid1(VALU_DEP_1)
	v_fma_f32 v4, -v4, v6, v7
	v_div_fmas_f32 v4, v4, v5, v6
	s_delay_alu instid0(VALU_DEP_1)
	v_div_fixup_f32 v3, v4, v2, v3
	global_store_b32 v[0:1], v3, off
	v_add_co_u32 v0, vcc_lo, v0, 4
	v_add_co_ci_u32_e32 v1, vcc_lo, 0, v1, vcc_lo
	s_cbranch_scc1 .LBB252_13
.LBB252_14:
	s_nop 0
	s_sendmsg sendmsg(MSG_DEALLOC_VGPRS)
	s_endpgm
	.section	.rodata,"a",@progbits
	.p2align	6, 0x0
	.amdhsa_kernel _ZN4vllm3moe10topkGatingILi2ELi2ELi4ELi4ELi32Ei6__halfLNS0_11ScoringFuncE1EEEvPKT5_PKbPfiPT4_PiiiibPKf
		.amdhsa_group_segment_fixed_size 0
		.amdhsa_private_segment_fixed_size 0
		.amdhsa_kernarg_size 72
		.amdhsa_user_sgpr_count 15
		.amdhsa_user_sgpr_dispatch_ptr 0
		.amdhsa_user_sgpr_queue_ptr 0
		.amdhsa_user_sgpr_kernarg_segment_ptr 1
		.amdhsa_user_sgpr_dispatch_id 0
		.amdhsa_user_sgpr_private_segment_size 0
		.amdhsa_wavefront_size32 1
		.amdhsa_uses_dynamic_stack 0
		.amdhsa_enable_private_segment 0
		.amdhsa_system_sgpr_workgroup_id_x 1
		.amdhsa_system_sgpr_workgroup_id_y 0
		.amdhsa_system_sgpr_workgroup_id_z 0
		.amdhsa_system_sgpr_workgroup_info 0
		.amdhsa_system_vgpr_workitem_id 1
		.amdhsa_next_free_vgpr 18
		.amdhsa_next_free_sgpr 16
		.amdhsa_reserve_vcc 1
		.amdhsa_float_round_mode_32 0
		.amdhsa_float_round_mode_16_64 0
		.amdhsa_float_denorm_mode_32 3
		.amdhsa_float_denorm_mode_16_64 3
		.amdhsa_dx10_clamp 1
		.amdhsa_ieee_mode 1
		.amdhsa_fp16_overflow 0
		.amdhsa_workgroup_processor_mode 1
		.amdhsa_memory_ordered 1
		.amdhsa_forward_progress 0
		.amdhsa_shared_vgpr_count 0
		.amdhsa_exception_fp_ieee_invalid_op 0
		.amdhsa_exception_fp_denorm_src 0
		.amdhsa_exception_fp_ieee_div_zero 0
		.amdhsa_exception_fp_ieee_overflow 0
		.amdhsa_exception_fp_ieee_underflow 0
		.amdhsa_exception_fp_ieee_inexact 0
		.amdhsa_exception_int_div_zero 0
	.end_amdhsa_kernel
	.section	.text._ZN4vllm3moe10topkGatingILi2ELi2ELi4ELi4ELi32Ei6__halfLNS0_11ScoringFuncE1EEEvPKT5_PKbPfiPT4_PiiiibPKf,"axG",@progbits,_ZN4vllm3moe10topkGatingILi2ELi2ELi4ELi4ELi32Ei6__halfLNS0_11ScoringFuncE1EEEvPKT5_PKbPfiPT4_PiiiibPKf,comdat
.Lfunc_end252:
	.size	_ZN4vllm3moe10topkGatingILi2ELi2ELi4ELi4ELi32Ei6__halfLNS0_11ScoringFuncE1EEEvPKT5_PKbPfiPT4_PiiiibPKf, .Lfunc_end252-_ZN4vllm3moe10topkGatingILi2ELi2ELi4ELi4ELi32Ei6__halfLNS0_11ScoringFuncE1EEEvPKT5_PKbPfiPT4_PiiiibPKf
                                        ; -- End function
	.section	.AMDGPU.csdata,"",@progbits
; Kernel info:
; codeLenInByte = 1128
; NumSgprs: 18
; NumVgprs: 18
; ScratchSize: 0
; MemoryBound: 0
; FloatMode: 240
; IeeeMode: 1
; LDSByteSize: 0 bytes/workgroup (compile time only)
; SGPRBlocks: 2
; VGPRBlocks: 2
; NumSGPRsForWavesPerEU: 18
; NumVGPRsForWavesPerEU: 18
; Occupancy: 16
; WaveLimiterHint : 0
; COMPUTE_PGM_RSRC2:SCRATCH_EN: 0
; COMPUTE_PGM_RSRC2:USER_SGPR: 15
; COMPUTE_PGM_RSRC2:TRAP_HANDLER: 0
; COMPUTE_PGM_RSRC2:TGID_X_EN: 1
; COMPUTE_PGM_RSRC2:TGID_Y_EN: 0
; COMPUTE_PGM_RSRC2:TGID_Z_EN: 0
; COMPUTE_PGM_RSRC2:TIDIG_COMP_CNT: 1
	.section	.text._ZN4vllm3moe10topkGatingILi4ELi4ELi4ELi8ELi64Ei6__halfLNS0_11ScoringFuncE1EEEvPKT5_PKbPfiPT4_PiiiibPKf,"axG",@progbits,_ZN4vllm3moe10topkGatingILi4ELi4ELi4ELi8ELi64Ei6__halfLNS0_11ScoringFuncE1EEEvPKT5_PKbPfiPT4_PiiiibPKf,comdat
	.protected	_ZN4vllm3moe10topkGatingILi4ELi4ELi4ELi8ELi64Ei6__halfLNS0_11ScoringFuncE1EEEvPKT5_PKbPfiPT4_PiiiibPKf ; -- Begin function _ZN4vllm3moe10topkGatingILi4ELi4ELi4ELi8ELi64Ei6__halfLNS0_11ScoringFuncE1EEEvPKT5_PKbPfiPT4_PiiiibPKf
	.globl	_ZN4vllm3moe10topkGatingILi4ELi4ELi4ELi8ELi64Ei6__halfLNS0_11ScoringFuncE1EEEvPKT5_PKbPfiPT4_PiiiibPKf
	.p2align	8
	.type	_ZN4vllm3moe10topkGatingILi4ELi4ELi4ELi8ELi64Ei6__halfLNS0_11ScoringFuncE1EEEvPKT5_PKbPfiPT4_PiiiibPKf,@function
_ZN4vllm3moe10topkGatingILi4ELi4ELi4ELi8ELi64Ei6__halfLNS0_11ScoringFuncE1EEEvPKT5_PKbPfiPT4_PiiiibPKf: ; @_ZN4vllm3moe10topkGatingILi4ELi4ELi4ELi8ELi64Ei6__halfLNS0_11ScoringFuncE1EEEvPKT5_PKbPfiPT4_PiiiibPKf
; %bb.0:
	s_load_b32 s10, s[0:1], 0x18
	v_bfe_u32 v1, v0, 10, 10
	v_and_b32_e32 v0, 0x3ff, v0
	s_lshl_b32 s2, s15, 8
	s_delay_alu instid0(VALU_DEP_2) | instskip(NEXT) | instid1(VALU_DEP_1)
	v_lshlrev_b32_e32 v1, 6, v1
	v_add3_u32 v14, v1, v0, s2
	s_mov_b32 s2, exec_lo
	s_waitcnt lgkmcnt(0)
	s_delay_alu instid0(VALU_DEP_1)
	v_cmpx_gt_i32_e64 s10, v14
	s_cbranch_execz .LBB253_15
; %bb.1:
	s_clause 0x1
	s_load_b128 s[4:7], s[0:1], 0x0
	s_load_b64 s[8:9], s[0:1], 0x10
	s_mov_b32 s12, -1
	s_mov_b32 s11, -1
	s_waitcnt lgkmcnt(0)
	s_cmp_eq_u64 s[6:7], 0
	s_cbranch_scc1 .LBB253_3
; %bb.2:
	v_ashrrev_i32_e32 v1, 31, v14
	v_add_co_u32 v0, vcc_lo, s6, v14
	s_delay_alu instid0(VALU_DEP_2) | instskip(SKIP_3) | instid1(VALU_DEP_1)
	v_add_co_ci_u32_e32 v1, vcc_lo, s7, v1, vcc_lo
	global_load_u8 v0, v[0:1], off
	s_waitcnt vmcnt(0)
	v_and_b32_e32 v0, 1, v0
	v_cmp_eq_u32_e32 vcc_lo, 1, v0
	s_xor_b32 s2, vcc_lo, -1
	s_delay_alu instid0(SALU_CYCLE_1)
	s_or_not1_b32 s11, s2, exec_lo
.LBB253_3:
	v_lshlrev_b32_e32 v0, 2, v14
	s_load_b64 s[6:7], s[0:1], 0x40
	s_delay_alu instid0(VALU_DEP_1) | instskip(NEXT) | instid1(VALU_DEP_1)
	v_ashrrev_i32_e32 v1, 31, v0
	v_lshlrev_b64 v[0:1], 1, v[0:1]
	s_delay_alu instid0(VALU_DEP_1) | instskip(NEXT) | instid1(VALU_DEP_2)
	v_add_co_u32 v0, vcc_lo, s4, v0
	v_add_co_ci_u32_e32 v1, vcc_lo, s5, v1, vcc_lo
	s_waitcnt lgkmcnt(0)
	s_cmp_eq_u64 s[6:7], 0
	global_load_b64 v[0:1], v[0:1], off
	s_waitcnt vmcnt(0)
	v_cvt_f32_f16_e32 v3, v1
	v_cvt_f32_f16_e32 v2, v0
	v_lshrrev_b32_e32 v1, 16, v1
	v_lshrrev_b32_e32 v0, 16, v0
	s_delay_alu instid0(VALU_DEP_4) | instskip(NEXT) | instid1(VALU_DEP_3)
	v_mul_f32_e32 v3, 0xbfb8aa3b, v3
	v_cvt_f32_f16_e32 v1, v1
	v_mul_f32_e32 v2, 0xbfb8aa3b, v2
	s_delay_alu instid0(VALU_DEP_4) | instskip(NEXT) | instid1(VALU_DEP_4)
	v_cvt_f32_f16_e32 v0, v0
	v_exp_f32_e32 v3, v3
	s_delay_alu instid0(VALU_DEP_3) | instskip(NEXT) | instid1(VALU_DEP_3)
	v_mul_f32_e32 v1, 0xbfb8aa3b, v1
	v_exp_f32_e32 v2, v2
	s_delay_alu instid0(VALU_DEP_2) | instskip(NEXT) | instid1(VALU_DEP_2)
	v_mul_f32_e32 v0, 0xbfb8aa3b, v0
	v_exp_f32_e32 v1, v1
	s_delay_alu instid0(TRANS32_DEP_3) | instskip(NEXT) | instid1(VALU_DEP_2)
	v_add_f32_e32 v3, 1.0, v3
	v_exp_f32_e32 v0, v0
	s_delay_alu instid0(TRANS32_DEP_3) | instskip(NEXT) | instid1(VALU_DEP_2)
	v_add_f32_e32 v2, 1.0, v2
	v_div_scale_f32 v5, null, v3, v3, 1.0
	s_waitcnt_depctr 0xfff
	v_add_f32_e32 v1, 1.0, v1
	v_div_scale_f32 v4, null, v2, v2, 1.0
	v_rcp_f32_e32 v9, v5
	v_div_scale_f32 v12, vcc_lo, 1.0, v2, 1.0
	s_delay_alu instid0(VALU_DEP_2)
	v_rcp_f32_e32 v6, v4
	v_div_scale_f32 v8, null, v1, v1, 1.0
	v_div_scale_f32 v15, s2, 1.0, v3, 1.0
	v_div_scale_f32 v19, s4, 1.0, v1, 1.0
	s_waitcnt_depctr 0xfff
	v_fma_f32 v17, -v5, v9, 1.0
	v_add_f32_e32 v0, 1.0, v0
	v_rcp_f32_e32 v11, v8
	v_fma_f32 v13, -v4, v6, 1.0
	s_delay_alu instid0(VALU_DEP_3) | instskip(NEXT) | instid1(VALU_DEP_3)
	v_fmac_f32_e32 v9, v17, v9
	v_div_scale_f32 v7, null, v0, v0, 1.0
	v_div_scale_f32 v16, s3, 1.0, v0, 1.0
	s_delay_alu instid0(VALU_DEP_2) | instskip(SKIP_2) | instid1(VALU_DEP_1)
	v_rcp_f32_e32 v10, v7
	s_waitcnt_depctr 0xfff
	v_fma_f32 v18, -v8, v11, 1.0
	v_dual_fmac_f32 v6, v13, v6 :: v_dual_fmac_f32 v11, v18, v11
	s_delay_alu instid0(VALU_DEP_1) | instskip(SKIP_1) | instid1(VALU_DEP_3)
	v_mul_f32_e32 v17, v12, v6
	v_fma_f32 v13, -v7, v10, 1.0
	v_mul_f32_e32 v21, v19, v11
	s_delay_alu instid0(VALU_DEP_3) | instskip(NEXT) | instid1(VALU_DEP_3)
	v_fma_f32 v18, -v4, v17, v12
	v_dual_fmac_f32 v10, v13, v10 :: v_dual_mul_f32 v13, v15, v9
	s_delay_alu instid0(VALU_DEP_2) | instskip(NEXT) | instid1(VALU_DEP_4)
	v_fmac_f32_e32 v17, v18, v6
	v_fma_f32 v23, -v8, v21, v19
	s_delay_alu instid0(VALU_DEP_3) | instskip(NEXT) | instid1(VALU_DEP_4)
	v_mul_f32_e32 v20, v16, v10
	v_fma_f32 v22, -v5, v13, v15
	s_delay_alu instid0(VALU_DEP_4) | instskip(NEXT) | instid1(VALU_DEP_4)
	v_fma_f32 v4, -v4, v17, v12
	v_fmac_f32_e32 v21, v23, v11
	s_delay_alu instid0(VALU_DEP_4) | instskip(NEXT) | instid1(VALU_DEP_3)
	v_fma_f32 v18, -v7, v20, v16
	v_div_fmas_f32 v4, v4, v6, v17
	s_mov_b32 vcc_lo, s3
	s_delay_alu instid0(VALU_DEP_2) | instskip(NEXT) | instid1(VALU_DEP_2)
	v_fmac_f32_e32 v20, v18, v10
	v_div_fixup_f32 v2, v4, v2, 1.0
	v_fmac_f32_e32 v13, v22, v9
	s_delay_alu instid0(VALU_DEP_3) | instskip(SKIP_1) | instid1(VALU_DEP_3)
	v_fma_f32 v6, -v7, v20, v16
	v_fma_f32 v7, -v8, v21, v19
	;; [unrolled: 1-line block ×3, first 2 shown]
	s_delay_alu instid0(VALU_DEP_3) | instskip(SKIP_1) | instid1(VALU_DEP_2)
	v_div_fmas_f32 v4, v6, v10, v20
	s_mov_b32 vcc_lo, s2
	v_div_fmas_f32 v5, v5, v9, v13
	s_mov_b32 vcc_lo, s4
	s_delay_alu instid0(VALU_DEP_2) | instskip(SKIP_3) | instid1(VALU_DEP_3)
	v_div_fixup_f32 v4, v4, v0, 1.0
	v_div_fmas_f32 v6, v7, v11, v21
	v_cmp_class_f32_e64 vcc_lo, v2, 0x1f8
	v_div_fixup_f32 v3, v5, v3, 1.0
	v_div_fixup_f32 v5, v6, v1, 1.0
	v_cndmask_b32_e32 v0, 0, v2, vcc_lo
	v_cmp_class_f32_e64 vcc_lo, v4, 0x1f8
	v_cndmask_b32_e32 v1, 0, v4, vcc_lo
	v_cmp_class_f32_e64 vcc_lo, v3, 0x1f8
	;; [unrolled: 2-line block ×3, first 2 shown]
	v_cndmask_b32_e32 v3, 0, v5, vcc_lo
	s_cbranch_scc1 .LBB253_10
; %bb.4:
	s_load_b128 s[4:7], s[6:7], 0x0
	s_waitcnt lgkmcnt(0)
	v_dual_add_f32 v4, s4, v0 :: v_dual_add_f32 v5, s5, v1
	v_dual_add_f32 v6, s6, v2 :: v_dual_add_f32 v7, s7, v3
	s_cbranch_execnz .LBB253_6
.LBB253_5:
	v_dual_mov_b32 v7, v3 :: v_dual_mov_b32 v6, v2
	v_dual_mov_b32 v5, v1 :: v_dual_mov_b32 v4, v0
.LBB253_6:
	s_load_b128 s[4:7], s[0:1], 0x30
	s_waitcnt lgkmcnt(0)
	s_bitcmp1_b32 s7, 0
	s_mov_b32 s7, 0
	s_cselect_b32 vcc_lo, -1, 0
	s_cmp_gt_i32 s4, 0
	s_cselect_b32 s3, -1, 0
	s_cmp_lt_i32 s4, 1
	s_cbranch_scc1 .LBB253_11
; %bb.7:
	v_mul_lo_u32 v8, v14, s4
	s_load_b128 s[12:15], s[0:1], 0x20
	v_dual_mov_b32 v15, 0 :: v_dual_mov_b32 v16, v14
	s_delay_alu instid0(VALU_DEP_2) | instskip(NEXT) | instid1(VALU_DEP_1)
	v_ashrrev_i32_e32 v9, 31, v8
	v_lshlrev_b64 v[12:13], 2, v[8:9]
	s_delay_alu instid0(VALU_DEP_1) | instskip(NEXT) | instid1(VALU_DEP_1)
	v_add_co_u32 v8, s0, s8, v12
	v_add_co_ci_u32_e64 v9, s0, s9, v13, s0
	s_waitcnt lgkmcnt(0)
	v_add_co_u32 v10, s0, s12, v12
	s_delay_alu instid0(VALU_DEP_1) | instskip(SKIP_1) | instid1(VALU_DEP_1)
	v_add_co_ci_u32_e64 v11, s0, s13, v13, s0
	v_add_co_u32 v12, s0, s14, v12
	v_add_co_ci_u32_e64 v13, s0, s15, v13, s0
.LBB253_8:                              ; =>This Inner Loop Header: Depth=1
	v_cmp_gt_f32_e64 s0, v5, v4
	s_add_i32 s7, s7, 1
	s_delay_alu instid0(VALU_DEP_1) | instskip(SKIP_2) | instid1(VALU_DEP_3)
	v_cndmask_b32_e64 v18, v4, v5, s0
	v_cndmask_b32_e64 v17, 0, 1, s0
	;; [unrolled: 1-line block ×3, first 2 shown]
	v_cmp_gt_f32_e64 s1, v6, v18
	s_delay_alu instid0(VALU_DEP_1) | instskip(NEXT) | instid1(VALU_DEP_4)
	v_cndmask_b32_e64 v18, v18, v6, s1
	v_cndmask_b32_e64 v17, v17, 2, s1
	s_delay_alu instid0(VALU_DEP_4) | instskip(NEXT) | instid1(VALU_DEP_3)
	v_cndmask_b32_e64 v19, v19, v2, s1
	v_cmp_gt_f32_e64 s0, v7, v18
	s_delay_alu instid0(VALU_DEP_1) | instskip(NEXT) | instid1(VALU_DEP_3)
	v_cndmask_b32_e64 v17, v17, 3, s0
	v_cndmask_b32_e64 v18, v19, v3, s0
	s_delay_alu instid0(VALU_DEP_2)
	v_cmp_ne_u32_e64 s2, 0, v17
	v_cmp_le_i32_e64 s0, s5, v17
	v_cmp_gt_i32_e64 s1, s6, v17
	v_subrev_nc_u32_e32 v19, s5, v17
	v_add_f32_e32 v23, v15, v18
	v_cndmask_b32_e64 v20, 0xc61c4000, v4, s2
	v_cmp_ne_u32_e64 s2, 1, v17
	s_and_b32 s0, s0, s1
	global_store_b32 v[8:9], v18, off
	s_and_b32 s0, s11, s0
	s_cmp_lt_i32 s7, s4
	v_cndmask_b32_e64 v21, 0xc61c4000, v5, s2
	v_cmp_ne_u32_e64 s2, 2, v17
	v_cndmask_b32_e64 v18, 4, v19, s0
	s_cselect_b32 s0, -1, 0
	global_store_b32 v[10:11], v18, off
	global_store_b32 v[12:13], v16, off
	v_add_nc_u32_e32 v16, s10, v16
	v_cndmask_b32_e64 v22, 0xc61c4000, v6, s2
	v_cmp_ne_u32_e64 s2, 3, v17
	v_cndmask_b32_e64 v5, v5, v21, s0
	v_cndmask_b32_e64 v4, v4, v20, s0
	v_cndmask_b32_e32 v15, v15, v23, vcc_lo
	v_cndmask_b32_e64 v6, v6, v22, s0
	v_cndmask_b32_e64 v17, 0xc61c4000, v7, s2
	s_cmp_eq_u32 s4, s7
	s_delay_alu instid0(VALU_DEP_1) | instskip(SKIP_1) | instid1(VALU_DEP_1)
	v_cndmask_b32_e64 v7, v7, v17, s0
	v_add_co_u32 v8, s0, v8, 4
	v_add_co_ci_u32_e64 v9, s0, 0, v9, s0
	v_add_co_u32 v10, s0, v10, 4
	s_delay_alu instid0(VALU_DEP_1) | instskip(SKIP_1) | instid1(VALU_DEP_1)
	v_add_co_ci_u32_e64 v11, s0, 0, v11, s0
	v_add_co_u32 v12, s0, v12, 4
	v_add_co_ci_u32_e64 v13, s0, 0, v13, s0
	s_cbranch_scc0 .LBB253_8
; %bb.9:
	s_and_b32 vcc_lo, exec_lo, vcc_lo
	s_cbranch_vccnz .LBB253_12
	s_branch .LBB253_15
.LBB253_10:
                                        ; implicit-def: $vgpr4_vgpr5_vgpr6_vgpr7
	s_and_not1_b32 vcc_lo, exec_lo, s12
	s_cbranch_vccz .LBB253_5
	s_branch .LBB253_6
.LBB253_11:
	v_mov_b32_e32 v15, 0
	s_and_b32 vcc_lo, exec_lo, vcc_lo
	s_cbranch_vccz .LBB253_15
.LBB253_12:
	s_and_not1_b32 vcc_lo, exec_lo, s3
	s_cbranch_vccnz .LBB253_15
; %bb.13:
	v_mul_lo_u32 v0, v14, s4
	v_cmp_lt_f32_e32 vcc_lo, 0, v15
	v_cndmask_b32_e32 v2, 1.0, v15, vcc_lo
	s_delay_alu instid0(VALU_DEP_3) | instskip(NEXT) | instid1(VALU_DEP_1)
	v_ashrrev_i32_e32 v1, 31, v0
	v_lshlrev_b64 v[0:1], 2, v[0:1]
	s_delay_alu instid0(VALU_DEP_1) | instskip(NEXT) | instid1(VALU_DEP_2)
	v_add_co_u32 v0, vcc_lo, s8, v0
	v_add_co_ci_u32_e32 v1, vcc_lo, s9, v1, vcc_lo
	.p2align	6
.LBB253_14:                             ; =>This Inner Loop Header: Depth=1
	global_load_b32 v3, v[0:1], off
	s_add_i32 s4, s4, -1
	s_delay_alu instid0(SALU_CYCLE_1) | instskip(SKIP_3) | instid1(VALU_DEP_2)
	s_cmp_lg_u32 s4, 0
	s_waitcnt vmcnt(0)
	v_div_scale_f32 v4, null, v2, v2, v3
	v_div_scale_f32 v7, vcc_lo, v3, v2, v3
	v_rcp_f32_e32 v5, v4
	s_waitcnt_depctr 0xfff
	v_fma_f32 v6, -v4, v5, 1.0
	s_delay_alu instid0(VALU_DEP_1) | instskip(NEXT) | instid1(VALU_DEP_1)
	v_fmac_f32_e32 v5, v6, v5
	v_mul_f32_e32 v6, v7, v5
	s_delay_alu instid0(VALU_DEP_1) | instskip(NEXT) | instid1(VALU_DEP_1)
	v_fma_f32 v8, -v4, v6, v7
	v_fmac_f32_e32 v6, v8, v5
	s_delay_alu instid0(VALU_DEP_1) | instskip(NEXT) | instid1(VALU_DEP_1)
	v_fma_f32 v4, -v4, v6, v7
	v_div_fmas_f32 v4, v4, v5, v6
	s_delay_alu instid0(VALU_DEP_1)
	v_div_fixup_f32 v3, v4, v2, v3
	global_store_b32 v[0:1], v3, off
	v_add_co_u32 v0, vcc_lo, v0, 4
	v_add_co_ci_u32_e32 v1, vcc_lo, 0, v1, vcc_lo
	s_cbranch_scc1 .LBB253_14
.LBB253_15:
	s_nop 0
	s_sendmsg sendmsg(MSG_DEALLOC_VGPRS)
	s_endpgm
	.section	.rodata,"a",@progbits
	.p2align	6, 0x0
	.amdhsa_kernel _ZN4vllm3moe10topkGatingILi4ELi4ELi4ELi8ELi64Ei6__halfLNS0_11ScoringFuncE1EEEvPKT5_PKbPfiPT4_PiiiibPKf
		.amdhsa_group_segment_fixed_size 0
		.amdhsa_private_segment_fixed_size 0
		.amdhsa_kernarg_size 72
		.amdhsa_user_sgpr_count 15
		.amdhsa_user_sgpr_dispatch_ptr 0
		.amdhsa_user_sgpr_queue_ptr 0
		.amdhsa_user_sgpr_kernarg_segment_ptr 1
		.amdhsa_user_sgpr_dispatch_id 0
		.amdhsa_user_sgpr_private_segment_size 0
		.amdhsa_wavefront_size32 1
		.amdhsa_uses_dynamic_stack 0
		.amdhsa_enable_private_segment 0
		.amdhsa_system_sgpr_workgroup_id_x 1
		.amdhsa_system_sgpr_workgroup_id_y 0
		.amdhsa_system_sgpr_workgroup_id_z 0
		.amdhsa_system_sgpr_workgroup_info 0
		.amdhsa_system_vgpr_workitem_id 1
		.amdhsa_next_free_vgpr 24
		.amdhsa_next_free_sgpr 16
		.amdhsa_reserve_vcc 1
		.amdhsa_float_round_mode_32 0
		.amdhsa_float_round_mode_16_64 0
		.amdhsa_float_denorm_mode_32 3
		.amdhsa_float_denorm_mode_16_64 3
		.amdhsa_dx10_clamp 1
		.amdhsa_ieee_mode 1
		.amdhsa_fp16_overflow 0
		.amdhsa_workgroup_processor_mode 1
		.amdhsa_memory_ordered 1
		.amdhsa_forward_progress 0
		.amdhsa_shared_vgpr_count 0
		.amdhsa_exception_fp_ieee_invalid_op 0
		.amdhsa_exception_fp_denorm_src 0
		.amdhsa_exception_fp_ieee_div_zero 0
		.amdhsa_exception_fp_ieee_overflow 0
		.amdhsa_exception_fp_ieee_underflow 0
		.amdhsa_exception_fp_ieee_inexact 0
		.amdhsa_exception_int_div_zero 0
	.end_amdhsa_kernel
	.section	.text._ZN4vllm3moe10topkGatingILi4ELi4ELi4ELi8ELi64Ei6__halfLNS0_11ScoringFuncE1EEEvPKT5_PKbPfiPT4_PiiiibPKf,"axG",@progbits,_ZN4vllm3moe10topkGatingILi4ELi4ELi4ELi8ELi64Ei6__halfLNS0_11ScoringFuncE1EEEvPKT5_PKbPfiPT4_PiiiibPKf,comdat
.Lfunc_end253:
	.size	_ZN4vllm3moe10topkGatingILi4ELi4ELi4ELi8ELi64Ei6__halfLNS0_11ScoringFuncE1EEEvPKT5_PKbPfiPT4_PiiiibPKf, .Lfunc_end253-_ZN4vllm3moe10topkGatingILi4ELi4ELi4ELi8ELi64Ei6__halfLNS0_11ScoringFuncE1EEEvPKT5_PKbPfiPT4_PiiiibPKf
                                        ; -- End function
	.section	.AMDGPU.csdata,"",@progbits
; Kernel info:
; codeLenInByte = 1568
; NumSgprs: 18
; NumVgprs: 24
; ScratchSize: 0
; MemoryBound: 0
; FloatMode: 240
; IeeeMode: 1
; LDSByteSize: 0 bytes/workgroup (compile time only)
; SGPRBlocks: 2
; VGPRBlocks: 2
; NumSGPRsForWavesPerEU: 18
; NumVGPRsForWavesPerEU: 24
; Occupancy: 16
; WaveLimiterHint : 0
; COMPUTE_PGM_RSRC2:SCRATCH_EN: 0
; COMPUTE_PGM_RSRC2:USER_SGPR: 15
; COMPUTE_PGM_RSRC2:TRAP_HANDLER: 0
; COMPUTE_PGM_RSRC2:TGID_X_EN: 1
; COMPUTE_PGM_RSRC2:TGID_Y_EN: 0
; COMPUTE_PGM_RSRC2:TGID_Z_EN: 0
; COMPUTE_PGM_RSRC2:TIDIG_COMP_CNT: 1
	.section	.text._ZN4vllm3moe10topkGatingILi4ELi4ELi4ELi8ELi32Ei6__halfLNS0_11ScoringFuncE1EEEvPKT5_PKbPfiPT4_PiiiibPKf,"axG",@progbits,_ZN4vllm3moe10topkGatingILi4ELi4ELi4ELi8ELi32Ei6__halfLNS0_11ScoringFuncE1EEEvPKT5_PKbPfiPT4_PiiiibPKf,comdat
	.protected	_ZN4vllm3moe10topkGatingILi4ELi4ELi4ELi8ELi32Ei6__halfLNS0_11ScoringFuncE1EEEvPKT5_PKbPfiPT4_PiiiibPKf ; -- Begin function _ZN4vllm3moe10topkGatingILi4ELi4ELi4ELi8ELi32Ei6__halfLNS0_11ScoringFuncE1EEEvPKT5_PKbPfiPT4_PiiiibPKf
	.globl	_ZN4vllm3moe10topkGatingILi4ELi4ELi4ELi8ELi32Ei6__halfLNS0_11ScoringFuncE1EEEvPKT5_PKbPfiPT4_PiiiibPKf
	.p2align	8
	.type	_ZN4vllm3moe10topkGatingILi4ELi4ELi4ELi8ELi32Ei6__halfLNS0_11ScoringFuncE1EEEvPKT5_PKbPfiPT4_PiiiibPKf,@function
_ZN4vllm3moe10topkGatingILi4ELi4ELi4ELi8ELi32Ei6__halfLNS0_11ScoringFuncE1EEEvPKT5_PKbPfiPT4_PiiiibPKf: ; @_ZN4vllm3moe10topkGatingILi4ELi4ELi4ELi8ELi32Ei6__halfLNS0_11ScoringFuncE1EEEvPKT5_PKbPfiPT4_PiiiibPKf
; %bb.0:
	s_load_b32 s10, s[0:1], 0x18
	v_bfe_u32 v1, v0, 10, 10
	v_and_b32_e32 v0, 0x3ff, v0
	s_lshl_b32 s2, s15, 7
	s_delay_alu instid0(VALU_DEP_2) | instskip(NEXT) | instid1(VALU_DEP_1)
	v_lshlrev_b32_e32 v1, 5, v1
	v_add3_u32 v14, v1, v0, s2
	s_mov_b32 s2, exec_lo
	s_waitcnt lgkmcnt(0)
	s_delay_alu instid0(VALU_DEP_1)
	v_cmpx_gt_i32_e64 s10, v14
	s_cbranch_execz .LBB254_15
; %bb.1:
	s_clause 0x1
	s_load_b128 s[4:7], s[0:1], 0x0
	s_load_b64 s[8:9], s[0:1], 0x10
	s_mov_b32 s12, -1
	s_mov_b32 s11, -1
	s_waitcnt lgkmcnt(0)
	s_cmp_eq_u64 s[6:7], 0
	s_cbranch_scc1 .LBB254_3
; %bb.2:
	v_ashrrev_i32_e32 v1, 31, v14
	v_add_co_u32 v0, vcc_lo, s6, v14
	s_delay_alu instid0(VALU_DEP_2) | instskip(SKIP_3) | instid1(VALU_DEP_1)
	v_add_co_ci_u32_e32 v1, vcc_lo, s7, v1, vcc_lo
	global_load_u8 v0, v[0:1], off
	s_waitcnt vmcnt(0)
	v_and_b32_e32 v0, 1, v0
	v_cmp_eq_u32_e32 vcc_lo, 1, v0
	s_xor_b32 s2, vcc_lo, -1
	s_delay_alu instid0(SALU_CYCLE_1)
	s_or_not1_b32 s11, s2, exec_lo
.LBB254_3:
	v_lshlrev_b32_e32 v0, 2, v14
	s_load_b64 s[6:7], s[0:1], 0x40
	s_delay_alu instid0(VALU_DEP_1) | instskip(NEXT) | instid1(VALU_DEP_1)
	v_ashrrev_i32_e32 v1, 31, v0
	v_lshlrev_b64 v[0:1], 1, v[0:1]
	s_delay_alu instid0(VALU_DEP_1) | instskip(NEXT) | instid1(VALU_DEP_2)
	v_add_co_u32 v0, vcc_lo, s4, v0
	v_add_co_ci_u32_e32 v1, vcc_lo, s5, v1, vcc_lo
	s_waitcnt lgkmcnt(0)
	s_cmp_eq_u64 s[6:7], 0
	global_load_b64 v[0:1], v[0:1], off
	s_waitcnt vmcnt(0)
	v_cvt_f32_f16_e32 v3, v1
	v_cvt_f32_f16_e32 v2, v0
	v_lshrrev_b32_e32 v1, 16, v1
	v_lshrrev_b32_e32 v0, 16, v0
	s_delay_alu instid0(VALU_DEP_4) | instskip(NEXT) | instid1(VALU_DEP_3)
	v_mul_f32_e32 v3, 0xbfb8aa3b, v3
	v_cvt_f32_f16_e32 v1, v1
	v_mul_f32_e32 v2, 0xbfb8aa3b, v2
	s_delay_alu instid0(VALU_DEP_4) | instskip(NEXT) | instid1(VALU_DEP_4)
	v_cvt_f32_f16_e32 v0, v0
	v_exp_f32_e32 v3, v3
	s_delay_alu instid0(VALU_DEP_3) | instskip(NEXT) | instid1(VALU_DEP_3)
	v_mul_f32_e32 v1, 0xbfb8aa3b, v1
	v_exp_f32_e32 v2, v2
	s_delay_alu instid0(VALU_DEP_2) | instskip(NEXT) | instid1(VALU_DEP_2)
	v_mul_f32_e32 v0, 0xbfb8aa3b, v0
	v_exp_f32_e32 v1, v1
	s_delay_alu instid0(TRANS32_DEP_3) | instskip(NEXT) | instid1(VALU_DEP_2)
	v_add_f32_e32 v3, 1.0, v3
	v_exp_f32_e32 v0, v0
	s_delay_alu instid0(TRANS32_DEP_3) | instskip(NEXT) | instid1(VALU_DEP_2)
	v_add_f32_e32 v2, 1.0, v2
	v_div_scale_f32 v5, null, v3, v3, 1.0
	s_waitcnt_depctr 0xfff
	v_add_f32_e32 v1, 1.0, v1
	v_div_scale_f32 v4, null, v2, v2, 1.0
	v_rcp_f32_e32 v9, v5
	v_div_scale_f32 v12, vcc_lo, 1.0, v2, 1.0
	s_delay_alu instid0(VALU_DEP_2)
	v_rcp_f32_e32 v6, v4
	v_div_scale_f32 v8, null, v1, v1, 1.0
	v_div_scale_f32 v15, s2, 1.0, v3, 1.0
	v_div_scale_f32 v19, s4, 1.0, v1, 1.0
	s_waitcnt_depctr 0xfff
	v_fma_f32 v17, -v5, v9, 1.0
	v_add_f32_e32 v0, 1.0, v0
	v_rcp_f32_e32 v11, v8
	v_fma_f32 v13, -v4, v6, 1.0
	s_delay_alu instid0(VALU_DEP_3) | instskip(NEXT) | instid1(VALU_DEP_3)
	v_fmac_f32_e32 v9, v17, v9
	v_div_scale_f32 v7, null, v0, v0, 1.0
	v_div_scale_f32 v16, s3, 1.0, v0, 1.0
	s_delay_alu instid0(VALU_DEP_2) | instskip(SKIP_2) | instid1(VALU_DEP_1)
	v_rcp_f32_e32 v10, v7
	s_waitcnt_depctr 0xfff
	v_fma_f32 v18, -v8, v11, 1.0
	v_dual_fmac_f32 v6, v13, v6 :: v_dual_fmac_f32 v11, v18, v11
	s_delay_alu instid0(VALU_DEP_1) | instskip(SKIP_1) | instid1(VALU_DEP_3)
	v_mul_f32_e32 v17, v12, v6
	v_fma_f32 v13, -v7, v10, 1.0
	v_mul_f32_e32 v21, v19, v11
	s_delay_alu instid0(VALU_DEP_3) | instskip(NEXT) | instid1(VALU_DEP_3)
	v_fma_f32 v18, -v4, v17, v12
	v_dual_fmac_f32 v10, v13, v10 :: v_dual_mul_f32 v13, v15, v9
	s_delay_alu instid0(VALU_DEP_2) | instskip(NEXT) | instid1(VALU_DEP_4)
	v_fmac_f32_e32 v17, v18, v6
	v_fma_f32 v23, -v8, v21, v19
	s_delay_alu instid0(VALU_DEP_3) | instskip(NEXT) | instid1(VALU_DEP_4)
	v_mul_f32_e32 v20, v16, v10
	v_fma_f32 v22, -v5, v13, v15
	s_delay_alu instid0(VALU_DEP_4) | instskip(NEXT) | instid1(VALU_DEP_4)
	v_fma_f32 v4, -v4, v17, v12
	v_fmac_f32_e32 v21, v23, v11
	s_delay_alu instid0(VALU_DEP_4) | instskip(NEXT) | instid1(VALU_DEP_3)
	v_fma_f32 v18, -v7, v20, v16
	v_div_fmas_f32 v4, v4, v6, v17
	s_mov_b32 vcc_lo, s3
	s_delay_alu instid0(VALU_DEP_2) | instskip(NEXT) | instid1(VALU_DEP_2)
	v_fmac_f32_e32 v20, v18, v10
	v_div_fixup_f32 v2, v4, v2, 1.0
	v_fmac_f32_e32 v13, v22, v9
	s_delay_alu instid0(VALU_DEP_3) | instskip(SKIP_1) | instid1(VALU_DEP_3)
	v_fma_f32 v6, -v7, v20, v16
	v_fma_f32 v7, -v8, v21, v19
	;; [unrolled: 1-line block ×3, first 2 shown]
	s_delay_alu instid0(VALU_DEP_3) | instskip(SKIP_1) | instid1(VALU_DEP_2)
	v_div_fmas_f32 v4, v6, v10, v20
	s_mov_b32 vcc_lo, s2
	v_div_fmas_f32 v5, v5, v9, v13
	s_mov_b32 vcc_lo, s4
	s_delay_alu instid0(VALU_DEP_2) | instskip(SKIP_3) | instid1(VALU_DEP_3)
	v_div_fixup_f32 v4, v4, v0, 1.0
	v_div_fmas_f32 v6, v7, v11, v21
	v_cmp_class_f32_e64 vcc_lo, v2, 0x1f8
	v_div_fixup_f32 v3, v5, v3, 1.0
	v_div_fixup_f32 v5, v6, v1, 1.0
	v_cndmask_b32_e32 v0, 0, v2, vcc_lo
	v_cmp_class_f32_e64 vcc_lo, v4, 0x1f8
	v_cndmask_b32_e32 v1, 0, v4, vcc_lo
	v_cmp_class_f32_e64 vcc_lo, v3, 0x1f8
	;; [unrolled: 2-line block ×3, first 2 shown]
	v_cndmask_b32_e32 v3, 0, v5, vcc_lo
	s_cbranch_scc1 .LBB254_10
; %bb.4:
	s_load_b128 s[4:7], s[6:7], 0x0
	s_waitcnt lgkmcnt(0)
	v_dual_add_f32 v4, s4, v0 :: v_dual_add_f32 v5, s5, v1
	v_dual_add_f32 v6, s6, v2 :: v_dual_add_f32 v7, s7, v3
	s_cbranch_execnz .LBB254_6
.LBB254_5:
	v_dual_mov_b32 v7, v3 :: v_dual_mov_b32 v6, v2
	v_dual_mov_b32 v5, v1 :: v_dual_mov_b32 v4, v0
.LBB254_6:
	s_load_b128 s[4:7], s[0:1], 0x30
	s_waitcnt lgkmcnt(0)
	s_bitcmp1_b32 s7, 0
	s_mov_b32 s7, 0
	s_cselect_b32 vcc_lo, -1, 0
	s_cmp_gt_i32 s4, 0
	s_cselect_b32 s3, -1, 0
	s_cmp_lt_i32 s4, 1
	s_cbranch_scc1 .LBB254_11
; %bb.7:
	v_mul_lo_u32 v8, v14, s4
	s_load_b128 s[12:15], s[0:1], 0x20
	v_dual_mov_b32 v15, 0 :: v_dual_mov_b32 v16, v14
	s_delay_alu instid0(VALU_DEP_2) | instskip(NEXT) | instid1(VALU_DEP_1)
	v_ashrrev_i32_e32 v9, 31, v8
	v_lshlrev_b64 v[12:13], 2, v[8:9]
	s_delay_alu instid0(VALU_DEP_1) | instskip(NEXT) | instid1(VALU_DEP_1)
	v_add_co_u32 v8, s0, s8, v12
	v_add_co_ci_u32_e64 v9, s0, s9, v13, s0
	s_waitcnt lgkmcnt(0)
	v_add_co_u32 v10, s0, s12, v12
	s_delay_alu instid0(VALU_DEP_1) | instskip(SKIP_1) | instid1(VALU_DEP_1)
	v_add_co_ci_u32_e64 v11, s0, s13, v13, s0
	v_add_co_u32 v12, s0, s14, v12
	v_add_co_ci_u32_e64 v13, s0, s15, v13, s0
.LBB254_8:                              ; =>This Inner Loop Header: Depth=1
	v_cmp_gt_f32_e64 s0, v5, v4
	s_add_i32 s7, s7, 1
	s_delay_alu instid0(VALU_DEP_1) | instskip(SKIP_2) | instid1(VALU_DEP_3)
	v_cndmask_b32_e64 v18, v4, v5, s0
	v_cndmask_b32_e64 v17, 0, 1, s0
	;; [unrolled: 1-line block ×3, first 2 shown]
	v_cmp_gt_f32_e64 s1, v6, v18
	s_delay_alu instid0(VALU_DEP_1) | instskip(NEXT) | instid1(VALU_DEP_4)
	v_cndmask_b32_e64 v18, v18, v6, s1
	v_cndmask_b32_e64 v17, v17, 2, s1
	s_delay_alu instid0(VALU_DEP_4) | instskip(NEXT) | instid1(VALU_DEP_3)
	v_cndmask_b32_e64 v19, v19, v2, s1
	v_cmp_gt_f32_e64 s0, v7, v18
	s_delay_alu instid0(VALU_DEP_1) | instskip(NEXT) | instid1(VALU_DEP_3)
	v_cndmask_b32_e64 v17, v17, 3, s0
	v_cndmask_b32_e64 v18, v19, v3, s0
	s_delay_alu instid0(VALU_DEP_2)
	v_cmp_ne_u32_e64 s2, 0, v17
	v_cmp_le_i32_e64 s0, s5, v17
	v_cmp_gt_i32_e64 s1, s6, v17
	v_subrev_nc_u32_e32 v19, s5, v17
	v_add_f32_e32 v23, v15, v18
	v_cndmask_b32_e64 v20, 0xc61c4000, v4, s2
	v_cmp_ne_u32_e64 s2, 1, v17
	s_and_b32 s0, s0, s1
	global_store_b32 v[8:9], v18, off
	s_and_b32 s0, s11, s0
	s_cmp_lt_i32 s7, s4
	v_cndmask_b32_e64 v21, 0xc61c4000, v5, s2
	v_cmp_ne_u32_e64 s2, 2, v17
	v_cndmask_b32_e64 v18, 4, v19, s0
	s_cselect_b32 s0, -1, 0
	global_store_b32 v[10:11], v18, off
	global_store_b32 v[12:13], v16, off
	v_add_nc_u32_e32 v16, s10, v16
	v_cndmask_b32_e64 v22, 0xc61c4000, v6, s2
	v_cmp_ne_u32_e64 s2, 3, v17
	v_cndmask_b32_e64 v5, v5, v21, s0
	v_cndmask_b32_e64 v4, v4, v20, s0
	v_cndmask_b32_e32 v15, v15, v23, vcc_lo
	v_cndmask_b32_e64 v6, v6, v22, s0
	v_cndmask_b32_e64 v17, 0xc61c4000, v7, s2
	s_cmp_eq_u32 s4, s7
	s_delay_alu instid0(VALU_DEP_1) | instskip(SKIP_1) | instid1(VALU_DEP_1)
	v_cndmask_b32_e64 v7, v7, v17, s0
	v_add_co_u32 v8, s0, v8, 4
	v_add_co_ci_u32_e64 v9, s0, 0, v9, s0
	v_add_co_u32 v10, s0, v10, 4
	s_delay_alu instid0(VALU_DEP_1) | instskip(SKIP_1) | instid1(VALU_DEP_1)
	v_add_co_ci_u32_e64 v11, s0, 0, v11, s0
	v_add_co_u32 v12, s0, v12, 4
	v_add_co_ci_u32_e64 v13, s0, 0, v13, s0
	s_cbranch_scc0 .LBB254_8
; %bb.9:
	s_and_b32 vcc_lo, exec_lo, vcc_lo
	s_cbranch_vccnz .LBB254_12
	s_branch .LBB254_15
.LBB254_10:
                                        ; implicit-def: $vgpr4_vgpr5_vgpr6_vgpr7
	s_and_not1_b32 vcc_lo, exec_lo, s12
	s_cbranch_vccz .LBB254_5
	s_branch .LBB254_6
.LBB254_11:
	v_mov_b32_e32 v15, 0
	s_and_b32 vcc_lo, exec_lo, vcc_lo
	s_cbranch_vccz .LBB254_15
.LBB254_12:
	s_and_not1_b32 vcc_lo, exec_lo, s3
	s_cbranch_vccnz .LBB254_15
; %bb.13:
	v_mul_lo_u32 v0, v14, s4
	v_cmp_lt_f32_e32 vcc_lo, 0, v15
	v_cndmask_b32_e32 v2, 1.0, v15, vcc_lo
	s_delay_alu instid0(VALU_DEP_3) | instskip(NEXT) | instid1(VALU_DEP_1)
	v_ashrrev_i32_e32 v1, 31, v0
	v_lshlrev_b64 v[0:1], 2, v[0:1]
	s_delay_alu instid0(VALU_DEP_1) | instskip(NEXT) | instid1(VALU_DEP_2)
	v_add_co_u32 v0, vcc_lo, s8, v0
	v_add_co_ci_u32_e32 v1, vcc_lo, s9, v1, vcc_lo
	.p2align	6
.LBB254_14:                             ; =>This Inner Loop Header: Depth=1
	global_load_b32 v3, v[0:1], off
	s_add_i32 s4, s4, -1
	s_delay_alu instid0(SALU_CYCLE_1) | instskip(SKIP_3) | instid1(VALU_DEP_2)
	s_cmp_lg_u32 s4, 0
	s_waitcnt vmcnt(0)
	v_div_scale_f32 v4, null, v2, v2, v3
	v_div_scale_f32 v7, vcc_lo, v3, v2, v3
	v_rcp_f32_e32 v5, v4
	s_waitcnt_depctr 0xfff
	v_fma_f32 v6, -v4, v5, 1.0
	s_delay_alu instid0(VALU_DEP_1) | instskip(NEXT) | instid1(VALU_DEP_1)
	v_fmac_f32_e32 v5, v6, v5
	v_mul_f32_e32 v6, v7, v5
	s_delay_alu instid0(VALU_DEP_1) | instskip(NEXT) | instid1(VALU_DEP_1)
	v_fma_f32 v8, -v4, v6, v7
	v_fmac_f32_e32 v6, v8, v5
	s_delay_alu instid0(VALU_DEP_1) | instskip(NEXT) | instid1(VALU_DEP_1)
	v_fma_f32 v4, -v4, v6, v7
	v_div_fmas_f32 v4, v4, v5, v6
	s_delay_alu instid0(VALU_DEP_1)
	v_div_fixup_f32 v3, v4, v2, v3
	global_store_b32 v[0:1], v3, off
	v_add_co_u32 v0, vcc_lo, v0, 4
	v_add_co_ci_u32_e32 v1, vcc_lo, 0, v1, vcc_lo
	s_cbranch_scc1 .LBB254_14
.LBB254_15:
	s_nop 0
	s_sendmsg sendmsg(MSG_DEALLOC_VGPRS)
	s_endpgm
	.section	.rodata,"a",@progbits
	.p2align	6, 0x0
	.amdhsa_kernel _ZN4vllm3moe10topkGatingILi4ELi4ELi4ELi8ELi32Ei6__halfLNS0_11ScoringFuncE1EEEvPKT5_PKbPfiPT4_PiiiibPKf
		.amdhsa_group_segment_fixed_size 0
		.amdhsa_private_segment_fixed_size 0
		.amdhsa_kernarg_size 72
		.amdhsa_user_sgpr_count 15
		.amdhsa_user_sgpr_dispatch_ptr 0
		.amdhsa_user_sgpr_queue_ptr 0
		.amdhsa_user_sgpr_kernarg_segment_ptr 1
		.amdhsa_user_sgpr_dispatch_id 0
		.amdhsa_user_sgpr_private_segment_size 0
		.amdhsa_wavefront_size32 1
		.amdhsa_uses_dynamic_stack 0
		.amdhsa_enable_private_segment 0
		.amdhsa_system_sgpr_workgroup_id_x 1
		.amdhsa_system_sgpr_workgroup_id_y 0
		.amdhsa_system_sgpr_workgroup_id_z 0
		.amdhsa_system_sgpr_workgroup_info 0
		.amdhsa_system_vgpr_workitem_id 1
		.amdhsa_next_free_vgpr 24
		.amdhsa_next_free_sgpr 16
		.amdhsa_reserve_vcc 1
		.amdhsa_float_round_mode_32 0
		.amdhsa_float_round_mode_16_64 0
		.amdhsa_float_denorm_mode_32 3
		.amdhsa_float_denorm_mode_16_64 3
		.amdhsa_dx10_clamp 1
		.amdhsa_ieee_mode 1
		.amdhsa_fp16_overflow 0
		.amdhsa_workgroup_processor_mode 1
		.amdhsa_memory_ordered 1
		.amdhsa_forward_progress 0
		.amdhsa_shared_vgpr_count 0
		.amdhsa_exception_fp_ieee_invalid_op 0
		.amdhsa_exception_fp_denorm_src 0
		.amdhsa_exception_fp_ieee_div_zero 0
		.amdhsa_exception_fp_ieee_overflow 0
		.amdhsa_exception_fp_ieee_underflow 0
		.amdhsa_exception_fp_ieee_inexact 0
		.amdhsa_exception_int_div_zero 0
	.end_amdhsa_kernel
	.section	.text._ZN4vllm3moe10topkGatingILi4ELi4ELi4ELi8ELi32Ei6__halfLNS0_11ScoringFuncE1EEEvPKT5_PKbPfiPT4_PiiiibPKf,"axG",@progbits,_ZN4vllm3moe10topkGatingILi4ELi4ELi4ELi8ELi32Ei6__halfLNS0_11ScoringFuncE1EEEvPKT5_PKbPfiPT4_PiiiibPKf,comdat
.Lfunc_end254:
	.size	_ZN4vllm3moe10topkGatingILi4ELi4ELi4ELi8ELi32Ei6__halfLNS0_11ScoringFuncE1EEEvPKT5_PKbPfiPT4_PiiiibPKf, .Lfunc_end254-_ZN4vllm3moe10topkGatingILi4ELi4ELi4ELi8ELi32Ei6__halfLNS0_11ScoringFuncE1EEEvPKT5_PKbPfiPT4_PiiiibPKf
                                        ; -- End function
	.section	.AMDGPU.csdata,"",@progbits
; Kernel info:
; codeLenInByte = 1568
; NumSgprs: 18
; NumVgprs: 24
; ScratchSize: 0
; MemoryBound: 0
; FloatMode: 240
; IeeeMode: 1
; LDSByteSize: 0 bytes/workgroup (compile time only)
; SGPRBlocks: 2
; VGPRBlocks: 2
; NumSGPRsForWavesPerEU: 18
; NumVGPRsForWavesPerEU: 24
; Occupancy: 16
; WaveLimiterHint : 0
; COMPUTE_PGM_RSRC2:SCRATCH_EN: 0
; COMPUTE_PGM_RSRC2:USER_SGPR: 15
; COMPUTE_PGM_RSRC2:TRAP_HANDLER: 0
; COMPUTE_PGM_RSRC2:TGID_X_EN: 1
; COMPUTE_PGM_RSRC2:TGID_Y_EN: 0
; COMPUTE_PGM_RSRC2:TGID_Z_EN: 0
; COMPUTE_PGM_RSRC2:TIDIG_COMP_CNT: 1
	.section	.text._ZN4vllm3moe10topkGatingILi8ELi8ELi4ELi16ELi64Ei6__halfLNS0_11ScoringFuncE1EEEvPKT5_PKbPfiPT4_PiiiibPKf,"axG",@progbits,_ZN4vllm3moe10topkGatingILi8ELi8ELi4ELi16ELi64Ei6__halfLNS0_11ScoringFuncE1EEEvPKT5_PKbPfiPT4_PiiiibPKf,comdat
	.protected	_ZN4vllm3moe10topkGatingILi8ELi8ELi4ELi16ELi64Ei6__halfLNS0_11ScoringFuncE1EEEvPKT5_PKbPfiPT4_PiiiibPKf ; -- Begin function _ZN4vllm3moe10topkGatingILi8ELi8ELi4ELi16ELi64Ei6__halfLNS0_11ScoringFuncE1EEEvPKT5_PKbPfiPT4_PiiiibPKf
	.globl	_ZN4vllm3moe10topkGatingILi8ELi8ELi4ELi16ELi64Ei6__halfLNS0_11ScoringFuncE1EEEvPKT5_PKbPfiPT4_PiiiibPKf
	.p2align	8
	.type	_ZN4vllm3moe10topkGatingILi8ELi8ELi4ELi16ELi64Ei6__halfLNS0_11ScoringFuncE1EEEvPKT5_PKbPfiPT4_PiiiibPKf,@function
_ZN4vllm3moe10topkGatingILi8ELi8ELi4ELi16ELi64Ei6__halfLNS0_11ScoringFuncE1EEEvPKT5_PKbPfiPT4_PiiiibPKf: ; @_ZN4vllm3moe10topkGatingILi8ELi8ELi4ELi16ELi64Ei6__halfLNS0_11ScoringFuncE1EEEvPKT5_PKbPfiPT4_PiiiibPKf
; %bb.0:
	s_load_b32 s14, s[0:1], 0x18
	v_bfe_u32 v1, v0, 10, 10
	v_and_b32_e32 v0, 0x3ff, v0
	s_lshl_b32 s2, s15, 8
	s_delay_alu instid0(VALU_DEP_2) | instskip(NEXT) | instid1(VALU_DEP_1)
	v_lshlrev_b32_e32 v1, 6, v1
	v_add3_u32 v16, v1, v0, s2
	s_mov_b32 s2, exec_lo
	s_waitcnt lgkmcnt(0)
	s_delay_alu instid0(VALU_DEP_1)
	v_cmpx_gt_i32_e64 s14, v16
	s_cbranch_execz .LBB255_15
; %bb.1:
	s_clause 0x1
	s_load_b128 s[4:7], s[0:1], 0x0
	s_load_b64 s[12:13], s[0:1], 0x10
	s_mov_b32 s9, -1
	s_mov_b32 s15, -1
	s_waitcnt lgkmcnt(0)
	s_cmp_eq_u64 s[6:7], 0
	s_cbranch_scc1 .LBB255_3
; %bb.2:
	v_ashrrev_i32_e32 v1, 31, v16
	v_add_co_u32 v0, vcc_lo, s6, v16
	s_delay_alu instid0(VALU_DEP_2) | instskip(SKIP_3) | instid1(VALU_DEP_1)
	v_add_co_ci_u32_e32 v1, vcc_lo, s7, v1, vcc_lo
	global_load_u8 v0, v[0:1], off
	s_waitcnt vmcnt(0)
	v_and_b32_e32 v0, 1, v0
	v_cmp_eq_u32_e32 vcc_lo, 1, v0
	s_xor_b32 s2, vcc_lo, -1
	s_delay_alu instid0(SALU_CYCLE_1)
	s_or_not1_b32 s15, s2, exec_lo
.LBB255_3:
	v_lshlrev_b32_e32 v0, 3, v16
	s_load_b64 s[10:11], s[0:1], 0x40
	s_delay_alu instid0(VALU_DEP_1) | instskip(NEXT) | instid1(VALU_DEP_1)
	v_ashrrev_i32_e32 v1, 31, v0
	v_lshlrev_b64 v[0:1], 1, v[0:1]
	s_delay_alu instid0(VALU_DEP_1) | instskip(NEXT) | instid1(VALU_DEP_2)
	v_add_co_u32 v0, vcc_lo, s4, v0
	v_add_co_ci_u32_e32 v1, vcc_lo, s5, v1, vcc_lo
	s_waitcnt lgkmcnt(0)
	s_cmp_eq_u64 s[10:11], 0
	global_load_b128 v[0:3], v[0:1], off
	s_waitcnt vmcnt(0)
	v_cvt_f32_f16_e32 v4, v0
	v_lshrrev_b32_e32 v0, 16, v0
	v_cvt_f32_f16_e32 v7, v3
	v_lshrrev_b32_e32 v3, 16, v3
	v_cvt_f32_f16_e32 v5, v1
	v_mul_f32_e32 v4, 0xbfb8aa3b, v4
	v_cvt_f32_f16_e32 v0, v0
	v_mul_f32_e32 v7, 0xbfb8aa3b, v7
	v_cvt_f32_f16_e32 v3, v3
	v_lshrrev_b32_e32 v1, 16, v1
	v_exp_f32_e32 v4, v4
	v_cvt_f32_f16_e32 v6, v2
	v_lshrrev_b32_e32 v2, 16, v2
	v_dual_mul_f32 v5, 0xbfb8aa3b, v5 :: v_dual_mul_f32 v0, 0xbfb8aa3b, v0
	v_mul_f32_e32 v3, 0xbfb8aa3b, v3
	v_exp_f32_e32 v7, v7
	v_cvt_f32_f16_e32 v1, v1
	v_cvt_f32_f16_e32 v2, v2
	v_mul_f32_e32 v6, 0xbfb8aa3b, v6
	v_exp_f32_e32 v5, v5
	v_exp_f32_e32 v0, v0
	v_mul_f32_e32 v1, 0xbfb8aa3b, v1
	v_exp_f32_e32 v3, v3
	v_add_f32_e32 v4, 1.0, v4
	v_exp_f32_e32 v6, v6
	v_dual_add_f32 v7, 1.0, v7 :: v_dual_mul_f32 v2, 0xbfb8aa3b, v2
	v_exp_f32_e32 v1, v1
	s_delay_alu instid0(VALU_DEP_2) | instskip(SKIP_1) | instid1(VALU_DEP_3)
	v_div_scale_f32 v8, null, v4, v4, 1.0
	v_add_f32_e32 v5, 1.0, v5
	v_exp_f32_e32 v2, v2
	v_dual_add_f32 v0, 1.0, v0 :: v_dual_add_f32 v17, 1.0, v3
	s_delay_alu instid0(VALU_DEP_3) | instskip(SKIP_2) | instid1(TRANS32_DEP_3)
	v_rcp_f32_e32 v3, v8
	v_add_f32_e32 v6, 1.0, v6
	v_div_scale_f32 v10, null, v5, v5, 1.0
	v_add_f32_e32 v1, 1.0, v1
	v_div_scale_f32 v18, null, v0, v0, 1.0
	s_delay_alu instid0(VALU_DEP_4) | instskip(NEXT) | instid1(VALU_DEP_4)
	v_div_scale_f32 v12, null, v6, v6, 1.0
	v_rcp_f32_e32 v20, v10
	s_delay_alu instid0(TRANS32_DEP_2) | instskip(SKIP_3) | instid1(VALU_DEP_3)
	v_fma_f32 v32, -v8, v3, 1.0
	v_add_f32_e32 v14, 1.0, v2
	v_div_scale_f32 v2, null, v7, v7, 1.0
	v_rcp_f32_e32 v23, v12
	v_fmac_f32_e32 v3, v32, v3
	s_delay_alu instid0(VALU_DEP_3) | instskip(NEXT) | instid1(VALU_DEP_3)
	v_div_scale_f32 v24, null, v14, v14, 1.0
	v_rcp_f32_e32 v26, v2
	v_div_scale_f32 v27, null, v17, v17, 1.0
	v_rcp_f32_e32 v28, v18
	;; [unrolled: 2-line block ×3, first 2 shown]
	s_delay_alu instid0(VALU_DEP_2) | instskip(SKIP_1) | instid1(VALU_DEP_2)
	v_rcp_f32_e32 v33, v27
	v_div_scale_f32 v9, vcc_lo, 1.0, v4, 1.0
	v_rcp_f32_e32 v30, v21
	v_fma_f32 v34, -v10, v20, 1.0
	v_fma_f32 v35, -v12, v23, 1.0
	;; [unrolled: 1-line block ×4, first 2 shown]
	v_div_scale_f32 v11, s2, 1.0, v5, 1.0
	v_div_scale_f32 v19, s5, 1.0, v0, 1.0
	v_dual_fmac_f32 v20, v34, v20 :: v_dual_fmac_f32 v23, v35, v23
	v_fma_f32 v35, -v24, v31, 1.0
	v_dual_fmac_f32 v26, v36, v26 :: v_dual_mul_f32 v37, v9, v3
	v_fma_f32 v36, -v27, v33, 1.0
	s_delay_alu instid0(VALU_DEP_3) | instskip(SKIP_1) | instid1(VALU_DEP_3)
	v_dual_fmac_f32 v28, v32, v28 :: v_dual_fmac_f32 v31, v35, v31
	v_fma_f32 v34, -v21, v30, 1.0
	v_dual_mul_f32 v32, v11, v20 :: v_dual_fmac_f32 v33, v36, v33
	v_fma_f32 v36, -v8, v37, v9
	s_delay_alu instid0(VALU_DEP_4) | instskip(NEXT) | instid1(VALU_DEP_4)
	v_mul_f32_e32 v38, v19, v28
	v_fmac_f32_e32 v30, v34, v30
	v_div_scale_f32 v22, s6, 1.0, v1, 1.0
	s_delay_alu instid0(VALU_DEP_4) | instskip(NEXT) | instid1(VALU_DEP_4)
	v_fmac_f32_e32 v37, v36, v3
	v_fma_f32 v36, -v18, v38, v19
	v_div_scale_f32 v13, s3, 1.0, v6, 1.0
	v_div_scale_f32 v15, s4, 1.0, v7, 1.0
	s_delay_alu instid0(VALU_DEP_4) | instskip(NEXT) | instid1(VALU_DEP_4)
	v_fma_f32 v8, -v8, v37, v9
	v_fmac_f32_e32 v38, v36, v28
	v_fma_f32 v39, -v10, v32, v11
	v_div_scale_f32 v25, s7, 1.0, v14, 1.0
	s_delay_alu instid0(VALU_DEP_4) | instskip(NEXT) | instid1(VALU_DEP_4)
	v_div_fmas_f32 v3, v8, v3, v37
	v_fma_f32 v8, -v18, v38, v19
	s_mov_b32 vcc_lo, s5
	v_dual_mul_f32 v34, v13, v23 :: v_dual_mul_f32 v35, v15, v26
	s_delay_alu instid0(VALU_DEP_3) | instskip(NEXT) | instid1(VALU_DEP_3)
	v_div_fixup_f32 v3, v3, v4, 1.0
	v_div_fmas_f32 v4, v8, v28, v38
	v_fmac_f32_e32 v32, v39, v20
	s_delay_alu instid0(VALU_DEP_4)
	v_fma_f32 v41, -v12, v34, v13
	v_fma_f32 v43, -v2, v35, v15
	v_mul_f32_e32 v42, v25, v31
	v_div_fixup_f32 v4, v4, v0, 1.0
	v_mul_f32_e32 v40, v22, v30
	v_div_scale_f32 v29, s8, 1.0, v17, 1.0
	v_fma_f32 v9, -v10, v32, v11
	v_fmac_f32_e32 v34, v41, v23
	s_delay_alu instid0(VALU_DEP_4)
	v_fma_f32 v39, -v21, v40, v22
	v_fmac_f32_e32 v35, v43, v26
	v_fma_f32 v41, -v24, v42, v25
	s_mov_b32 vcc_lo, s2
	v_mul_f32_e32 v44, v29, v33
	v_fmac_f32_e32 v40, v39, v30
	v_div_fmas_f32 v8, v9, v20, v32
	s_mov_b32 vcc_lo, s6
	v_fmac_f32_e32 v42, v41, v31
	v_fma_f32 v10, -v12, v34, v13
	v_fma_f32 v11, -v21, v40, v22
	;; [unrolled: 1-line block ×5, first 2 shown]
	v_div_fixup_f32 v5, v8, v5, 1.0
	v_div_fmas_f32 v9, v11, v30, v40
	v_cmp_class_f32_e64 vcc_lo, v3, 0x1f8
	v_fmac_f32_e32 v44, v43, v33
	s_delay_alu instid0(VALU_DEP_3) | instskip(SKIP_2) | instid1(VALU_DEP_3)
	v_div_fixup_f32 v9, v9, v1, 1.0
	v_cndmask_b32_e32 v0, 0, v3, vcc_lo
	s_mov_b32 vcc_lo, s3
	v_fma_f32 v13, -v27, v44, v29
	v_div_fmas_f32 v3, v10, v23, v34
	s_mov_b32 vcc_lo, s7
	v_div_fmas_f32 v8, v12, v31, v42
	s_mov_b32 vcc_lo, s4
	v_div_fmas_f32 v10, v2, v26, v35
	v_cmp_class_f32_e64 vcc_lo, v4, 0x1f8
	s_delay_alu instid0(VALU_DEP_2)
	v_div_fixup_f32 v7, v10, v7, 1.0
	v_cndmask_b32_e32 v1, 0, v4, vcc_lo
	s_mov_b32 vcc_lo, s8
	v_div_fixup_f32 v4, v3, v6, 1.0
	v_div_fmas_f32 v6, v13, v33, v44
	v_cmp_class_f32_e64 vcc_lo, v5, 0x1f8
	v_cndmask_b32_e32 v2, 0, v5, vcc_lo
	v_cmp_class_f32_e64 vcc_lo, v9, 0x1f8
	v_div_fixup_f32 v5, v8, v14, 1.0
	v_div_fixup_f32 v8, v6, v17, 1.0
	v_cndmask_b32_e32 v3, 0, v9, vcc_lo
	v_cmp_class_f32_e64 vcc_lo, v4, 0x1f8
	v_cndmask_b32_e32 v4, 0, v4, vcc_lo
	v_cmp_class_f32_e64 vcc_lo, v5, 0x1f8
	;; [unrolled: 2-line block ×4, first 2 shown]
	v_cndmask_b32_e32 v7, 0, v8, vcc_lo
	s_cbranch_scc1 .LBB255_10
; %bb.4:
	s_load_b256 s[4:11], s[10:11], 0x0
	s_waitcnt lgkmcnt(0)
	v_dual_add_f32 v8, s4, v0 :: v_dual_add_f32 v9, s5, v1
	v_dual_add_f32 v10, s6, v2 :: v_dual_add_f32 v11, s7, v3
	;; [unrolled: 1-line block ×4, first 2 shown]
	s_cbranch_execnz .LBB255_6
.LBB255_5:
	v_dual_mov_b32 v15, v7 :: v_dual_mov_b32 v14, v6
	v_dual_mov_b32 v13, v5 :: v_dual_mov_b32 v12, v4
	;; [unrolled: 1-line block ×4, first 2 shown]
.LBB255_6:
	s_load_b128 s[4:7], s[0:1], 0x30
	s_mov_b32 s16, 0
	s_waitcnt lgkmcnt(0)
	s_bitcmp1_b32 s7, 0
	s_cselect_b32 vcc_lo, -1, 0
	s_cmp_gt_i32 s4, 0
	s_cselect_b32 s7, -1, 0
	s_cmp_lt_i32 s4, 1
	s_cbranch_scc1 .LBB255_11
; %bb.7:
	s_load_b128 s[8:11], s[0:1], 0x20
	v_mul_lo_u32 v18, v16, s4
	v_mov_b32_e32 v17, 0
	v_mov_b32_e32 v19, v16
.LBB255_8:                              ; =>This Inner Loop Header: Depth=1
	v_cmp_gt_f32_e64 s0, v9, v8
	s_delay_alu instid0(VALU_DEP_1) | instskip(SKIP_2) | instid1(VALU_DEP_3)
	v_cndmask_b32_e64 v21, v8, v9, s0
	v_cndmask_b32_e64 v20, 0, 1, s0
	;; [unrolled: 1-line block ×3, first 2 shown]
	v_cmp_gt_f32_e64 s1, v10, v21
	s_delay_alu instid0(VALU_DEP_1) | instskip(NEXT) | instid1(VALU_DEP_4)
	v_cndmask_b32_e64 v21, v21, v10, s1
	v_cndmask_b32_e64 v20, v20, 2, s1
	s_delay_alu instid0(VALU_DEP_4) | instskip(NEXT) | instid1(VALU_DEP_3)
	v_cndmask_b32_e64 v22, v22, v2, s1
	v_cmp_gt_f32_e64 s2, v11, v21
	s_delay_alu instid0(VALU_DEP_1) | instskip(NEXT) | instid1(VALU_DEP_4)
	v_cndmask_b32_e64 v21, v21, v11, s2
	v_cndmask_b32_e64 v20, v20, 3, s2
	s_delay_alu instid0(VALU_DEP_4) | instskip(NEXT) | instid1(VALU_DEP_3)
	v_cndmask_b32_e64 v22, v22, v3, s2
	v_cmp_gt_f32_e64 s3, v12, v21
	s_delay_alu instid0(VALU_DEP_1) | instskip(NEXT) | instid1(VALU_DEP_4)
	v_cndmask_b32_e64 v24, v21, v12, s3
	v_cndmask_b32_e64 v23, v20, 4, s3
	v_add_nc_u32_e32 v20, s16, v18
	v_cndmask_b32_e64 v26, v22, v4, s3
	s_add_i32 s16, s16, 1
	v_cmp_gt_f32_e64 s0, v13, v24
	s_delay_alu instid0(VALU_DEP_3) | instskip(NEXT) | instid1(VALU_DEP_2)
	v_ashrrev_i32_e32 v21, 31, v20
	v_cndmask_b32_e64 v24, v24, v13, s0
	v_cndmask_b32_e64 v25, v23, 5, s0
	s_delay_alu instid0(VALU_DEP_3) | instskip(SKIP_1) | instid1(VALU_DEP_4)
	v_lshlrev_b64 v[20:21], 2, v[20:21]
	v_cndmask_b32_e64 v26, v26, v5, s0
	v_cmp_gt_f32_e64 s1, v14, v24
	s_delay_alu instid0(VALU_DEP_3) | instskip(NEXT) | instid1(VALU_DEP_2)
	v_add_co_u32 v22, s2, s12, v20
	v_cndmask_b32_e64 v28, v24, v14, s1
	s_waitcnt lgkmcnt(0)
	v_add_co_u32 v24, s0, s8, v20
	v_cndmask_b32_e64 v27, v25, 6, s1
	v_add_co_ci_u32_e64 v25, s0, s9, v21, s0
	v_cmp_gt_f32_e64 s0, v15, v28
	v_add_co_ci_u32_e64 v23, s2, s13, v21, s2
	v_cndmask_b32_e64 v26, v26, v6, s1
	v_add_co_u32 v20, s1, s10, v20
	s_delay_alu instid0(VALU_DEP_4) | instskip(SKIP_1) | instid1(VALU_DEP_4)
	v_cndmask_b32_e64 v27, v27, 7, s0
	v_add_co_ci_u32_e64 v21, s1, s11, v21, s1
	v_cndmask_b32_e64 v26, v26, v7, s0
	s_delay_alu instid0(VALU_DEP_3)
	v_cmp_ne_u32_e64 s2, 0, v27
	v_cmp_le_i32_e64 s0, s5, v27
	v_cmp_gt_i32_e64 s1, s6, v27
	v_subrev_nc_u32_e32 v28, s5, v27
	v_add_f32_e32 v36, v17, v26
	v_cndmask_b32_e64 v29, 0xc61c4000, v8, s2
	v_cmp_ne_u32_e64 s2, 1, v27
	s_and_b32 s1, s0, s1
	v_cmp_ne_u32_e64 s0, 7, v27
	s_delay_alu instid0(VALU_DEP_2) | instskip(SKIP_1) | instid1(VALU_DEP_1)
	v_cndmask_b32_e64 v30, 0xc61c4000, v9, s2
	v_cmp_ne_u32_e64 s2, 2, v27
	v_cndmask_b32_e64 v31, 0xc61c4000, v10, s2
	v_cmp_ne_u32_e64 s2, 3, v27
	s_delay_alu instid0(VALU_DEP_1) | instskip(SKIP_1) | instid1(VALU_DEP_1)
	v_cndmask_b32_e64 v32, 0xc61c4000, v11, s2
	v_cmp_ne_u32_e64 s2, 4, v27
	v_cndmask_b32_e64 v33, 0xc61c4000, v12, s2
	v_cmp_ne_u32_e64 s2, 5, v27
	s_delay_alu instid0(VALU_DEP_1)
	v_cndmask_b32_e64 v34, 0xc61c4000, v13, s2
	v_cmp_ne_u32_e64 s2, 6, v27
	v_cndmask_b32_e64 v27, 0xc61c4000, v15, s0
	s_and_b32 s0, s15, s1
	s_cmp_lt_i32 s16, s4
	v_cndmask_b32_e64 v28, 8, v28, s0
	v_cndmask_b32_e64 v35, 0xc61c4000, v14, s2
	s_cselect_b32 s0, -1, 0
	global_store_b32 v[24:25], v28, off
	global_store_b32 v[20:21], v19, off
	v_add_nc_u32_e32 v19, s14, v19
	v_cndmask_b32_e32 v17, v17, v36, vcc_lo
	v_cndmask_b32_e64 v15, v15, v27, s0
	v_cndmask_b32_e64 v14, v14, v35, s0
	;; [unrolled: 1-line block ×8, first 2 shown]
	s_cmp_eq_u32 s4, s16
	global_store_b32 v[22:23], v26, off
	s_cbranch_scc0 .LBB255_8
; %bb.9:
	s_and_b32 vcc_lo, exec_lo, vcc_lo
	s_cbranch_vccnz .LBB255_12
	s_branch .LBB255_15
.LBB255_10:
                                        ; implicit-def: $vgpr8_vgpr9_vgpr10_vgpr11_vgpr12_vgpr13_vgpr14_vgpr15
	s_and_not1_b32 vcc_lo, exec_lo, s9
	s_cbranch_vccz .LBB255_5
	s_branch .LBB255_6
.LBB255_11:
	v_mov_b32_e32 v17, 0
	s_and_b32 vcc_lo, exec_lo, vcc_lo
	s_cbranch_vccz .LBB255_15
.LBB255_12:
	s_and_not1_b32 vcc_lo, exec_lo, s7
	s_cbranch_vccnz .LBB255_15
; %bb.13:
	v_mul_lo_u32 v0, v16, s4
	v_cmp_lt_f32_e32 vcc_lo, 0, v17
	v_cndmask_b32_e32 v2, 1.0, v17, vcc_lo
	s_delay_alu instid0(VALU_DEP_3) | instskip(NEXT) | instid1(VALU_DEP_1)
	v_ashrrev_i32_e32 v1, 31, v0
	v_lshlrev_b64 v[0:1], 2, v[0:1]
	s_delay_alu instid0(VALU_DEP_1) | instskip(NEXT) | instid1(VALU_DEP_2)
	v_add_co_u32 v0, vcc_lo, s12, v0
	v_add_co_ci_u32_e32 v1, vcc_lo, s13, v1, vcc_lo
	.p2align	6
.LBB255_14:                             ; =>This Inner Loop Header: Depth=1
	global_load_b32 v3, v[0:1], off
	s_add_i32 s4, s4, -1
	s_delay_alu instid0(SALU_CYCLE_1) | instskip(SKIP_3) | instid1(VALU_DEP_2)
	s_cmp_lg_u32 s4, 0
	s_waitcnt vmcnt(0)
	v_div_scale_f32 v4, null, v2, v2, v3
	v_div_scale_f32 v7, vcc_lo, v3, v2, v3
	v_rcp_f32_e32 v5, v4
	s_waitcnt_depctr 0xfff
	v_fma_f32 v6, -v4, v5, 1.0
	s_delay_alu instid0(VALU_DEP_1) | instskip(NEXT) | instid1(VALU_DEP_1)
	v_fmac_f32_e32 v5, v6, v5
	v_mul_f32_e32 v6, v7, v5
	s_delay_alu instid0(VALU_DEP_1) | instskip(NEXT) | instid1(VALU_DEP_1)
	v_fma_f32 v8, -v4, v6, v7
	v_fmac_f32_e32 v6, v8, v5
	s_delay_alu instid0(VALU_DEP_1) | instskip(NEXT) | instid1(VALU_DEP_1)
	v_fma_f32 v4, -v4, v6, v7
	v_div_fmas_f32 v4, v4, v5, v6
	s_delay_alu instid0(VALU_DEP_1)
	v_div_fixup_f32 v3, v4, v2, v3
	global_store_b32 v[0:1], v3, off
	v_add_co_u32 v0, vcc_lo, v0, 4
	v_add_co_ci_u32_e32 v1, vcc_lo, 0, v1, vcc_lo
	s_cbranch_scc1 .LBB255_14
.LBB255_15:
	s_nop 0
	s_sendmsg sendmsg(MSG_DEALLOC_VGPRS)
	s_endpgm
	.section	.rodata,"a",@progbits
	.p2align	6, 0x0
	.amdhsa_kernel _ZN4vllm3moe10topkGatingILi8ELi8ELi4ELi16ELi64Ei6__halfLNS0_11ScoringFuncE1EEEvPKT5_PKbPfiPT4_PiiiibPKf
		.amdhsa_group_segment_fixed_size 0
		.amdhsa_private_segment_fixed_size 0
		.amdhsa_kernarg_size 72
		.amdhsa_user_sgpr_count 15
		.amdhsa_user_sgpr_dispatch_ptr 0
		.amdhsa_user_sgpr_queue_ptr 0
		.amdhsa_user_sgpr_kernarg_segment_ptr 1
		.amdhsa_user_sgpr_dispatch_id 0
		.amdhsa_user_sgpr_private_segment_size 0
		.amdhsa_wavefront_size32 1
		.amdhsa_uses_dynamic_stack 0
		.amdhsa_enable_private_segment 0
		.amdhsa_system_sgpr_workgroup_id_x 1
		.amdhsa_system_sgpr_workgroup_id_y 0
		.amdhsa_system_sgpr_workgroup_id_z 0
		.amdhsa_system_sgpr_workgroup_info 0
		.amdhsa_system_vgpr_workitem_id 1
		.amdhsa_next_free_vgpr 45
		.amdhsa_next_free_sgpr 17
		.amdhsa_reserve_vcc 1
		.amdhsa_float_round_mode_32 0
		.amdhsa_float_round_mode_16_64 0
		.amdhsa_float_denorm_mode_32 3
		.amdhsa_float_denorm_mode_16_64 3
		.amdhsa_dx10_clamp 1
		.amdhsa_ieee_mode 1
		.amdhsa_fp16_overflow 0
		.amdhsa_workgroup_processor_mode 1
		.amdhsa_memory_ordered 1
		.amdhsa_forward_progress 0
		.amdhsa_shared_vgpr_count 0
		.amdhsa_exception_fp_ieee_invalid_op 0
		.amdhsa_exception_fp_denorm_src 0
		.amdhsa_exception_fp_ieee_div_zero 0
		.amdhsa_exception_fp_ieee_overflow 0
		.amdhsa_exception_fp_ieee_underflow 0
		.amdhsa_exception_fp_ieee_inexact 0
		.amdhsa_exception_int_div_zero 0
	.end_amdhsa_kernel
	.section	.text._ZN4vllm3moe10topkGatingILi8ELi8ELi4ELi16ELi64Ei6__halfLNS0_11ScoringFuncE1EEEvPKT5_PKbPfiPT4_PiiiibPKf,"axG",@progbits,_ZN4vllm3moe10topkGatingILi8ELi8ELi4ELi16ELi64Ei6__halfLNS0_11ScoringFuncE1EEEvPKT5_PKbPfiPT4_PiiiibPKf,comdat
.Lfunc_end255:
	.size	_ZN4vllm3moe10topkGatingILi8ELi8ELi4ELi16ELi64Ei6__halfLNS0_11ScoringFuncE1EEEvPKT5_PKbPfiPT4_PiiiibPKf, .Lfunc_end255-_ZN4vllm3moe10topkGatingILi8ELi8ELi4ELi16ELi64Ei6__halfLNS0_11ScoringFuncE1EEEvPKT5_PKbPfiPT4_PiiiibPKf
                                        ; -- End function
	.section	.AMDGPU.csdata,"",@progbits
; Kernel info:
; codeLenInByte = 2240
; NumSgprs: 19
; NumVgprs: 45
; ScratchSize: 0
; MemoryBound: 0
; FloatMode: 240
; IeeeMode: 1
; LDSByteSize: 0 bytes/workgroup (compile time only)
; SGPRBlocks: 2
; VGPRBlocks: 5
; NumSGPRsForWavesPerEU: 19
; NumVGPRsForWavesPerEU: 45
; Occupancy: 16
; WaveLimiterHint : 0
; COMPUTE_PGM_RSRC2:SCRATCH_EN: 0
; COMPUTE_PGM_RSRC2:USER_SGPR: 15
; COMPUTE_PGM_RSRC2:TRAP_HANDLER: 0
; COMPUTE_PGM_RSRC2:TGID_X_EN: 1
; COMPUTE_PGM_RSRC2:TGID_Y_EN: 0
; COMPUTE_PGM_RSRC2:TGID_Z_EN: 0
; COMPUTE_PGM_RSRC2:TIDIG_COMP_CNT: 1
	.section	.text._ZN4vllm3moe10topkGatingILi8ELi8ELi4ELi16ELi32Ei6__halfLNS0_11ScoringFuncE1EEEvPKT5_PKbPfiPT4_PiiiibPKf,"axG",@progbits,_ZN4vllm3moe10topkGatingILi8ELi8ELi4ELi16ELi32Ei6__halfLNS0_11ScoringFuncE1EEEvPKT5_PKbPfiPT4_PiiiibPKf,comdat
	.protected	_ZN4vllm3moe10topkGatingILi8ELi8ELi4ELi16ELi32Ei6__halfLNS0_11ScoringFuncE1EEEvPKT5_PKbPfiPT4_PiiiibPKf ; -- Begin function _ZN4vllm3moe10topkGatingILi8ELi8ELi4ELi16ELi32Ei6__halfLNS0_11ScoringFuncE1EEEvPKT5_PKbPfiPT4_PiiiibPKf
	.globl	_ZN4vllm3moe10topkGatingILi8ELi8ELi4ELi16ELi32Ei6__halfLNS0_11ScoringFuncE1EEEvPKT5_PKbPfiPT4_PiiiibPKf
	.p2align	8
	.type	_ZN4vllm3moe10topkGatingILi8ELi8ELi4ELi16ELi32Ei6__halfLNS0_11ScoringFuncE1EEEvPKT5_PKbPfiPT4_PiiiibPKf,@function
_ZN4vllm3moe10topkGatingILi8ELi8ELi4ELi16ELi32Ei6__halfLNS0_11ScoringFuncE1EEEvPKT5_PKbPfiPT4_PiiiibPKf: ; @_ZN4vllm3moe10topkGatingILi8ELi8ELi4ELi16ELi32Ei6__halfLNS0_11ScoringFuncE1EEEvPKT5_PKbPfiPT4_PiiiibPKf
; %bb.0:
	s_load_b32 s14, s[0:1], 0x18
	v_bfe_u32 v1, v0, 10, 10
	v_and_b32_e32 v0, 0x3ff, v0
	s_lshl_b32 s2, s15, 7
	s_delay_alu instid0(VALU_DEP_2) | instskip(NEXT) | instid1(VALU_DEP_1)
	v_lshlrev_b32_e32 v1, 5, v1
	v_add3_u32 v16, v1, v0, s2
	s_mov_b32 s2, exec_lo
	s_waitcnt lgkmcnt(0)
	s_delay_alu instid0(VALU_DEP_1)
	v_cmpx_gt_i32_e64 s14, v16
	s_cbranch_execz .LBB256_15
; %bb.1:
	s_clause 0x1
	s_load_b128 s[4:7], s[0:1], 0x0
	s_load_b64 s[12:13], s[0:1], 0x10
	s_mov_b32 s9, -1
	s_mov_b32 s15, -1
	s_waitcnt lgkmcnt(0)
	s_cmp_eq_u64 s[6:7], 0
	s_cbranch_scc1 .LBB256_3
; %bb.2:
	v_ashrrev_i32_e32 v1, 31, v16
	v_add_co_u32 v0, vcc_lo, s6, v16
	s_delay_alu instid0(VALU_DEP_2) | instskip(SKIP_3) | instid1(VALU_DEP_1)
	v_add_co_ci_u32_e32 v1, vcc_lo, s7, v1, vcc_lo
	global_load_u8 v0, v[0:1], off
	s_waitcnt vmcnt(0)
	v_and_b32_e32 v0, 1, v0
	v_cmp_eq_u32_e32 vcc_lo, 1, v0
	s_xor_b32 s2, vcc_lo, -1
	s_delay_alu instid0(SALU_CYCLE_1)
	s_or_not1_b32 s15, s2, exec_lo
.LBB256_3:
	v_lshlrev_b32_e32 v0, 3, v16
	s_load_b64 s[10:11], s[0:1], 0x40
	s_delay_alu instid0(VALU_DEP_1) | instskip(NEXT) | instid1(VALU_DEP_1)
	v_ashrrev_i32_e32 v1, 31, v0
	v_lshlrev_b64 v[0:1], 1, v[0:1]
	s_delay_alu instid0(VALU_DEP_1) | instskip(NEXT) | instid1(VALU_DEP_2)
	v_add_co_u32 v0, vcc_lo, s4, v0
	v_add_co_ci_u32_e32 v1, vcc_lo, s5, v1, vcc_lo
	s_waitcnt lgkmcnt(0)
	s_cmp_eq_u64 s[10:11], 0
	global_load_b128 v[0:3], v[0:1], off
	s_waitcnt vmcnt(0)
	v_cvt_f32_f16_e32 v4, v0
	v_lshrrev_b32_e32 v0, 16, v0
	v_cvt_f32_f16_e32 v7, v3
	v_lshrrev_b32_e32 v3, 16, v3
	v_cvt_f32_f16_e32 v5, v1
	v_mul_f32_e32 v4, 0xbfb8aa3b, v4
	v_cvt_f32_f16_e32 v0, v0
	v_mul_f32_e32 v7, 0xbfb8aa3b, v7
	v_cvt_f32_f16_e32 v3, v3
	v_lshrrev_b32_e32 v1, 16, v1
	v_exp_f32_e32 v4, v4
	v_cvt_f32_f16_e32 v6, v2
	v_lshrrev_b32_e32 v2, 16, v2
	v_dual_mul_f32 v5, 0xbfb8aa3b, v5 :: v_dual_mul_f32 v0, 0xbfb8aa3b, v0
	v_mul_f32_e32 v3, 0xbfb8aa3b, v3
	v_exp_f32_e32 v7, v7
	v_cvt_f32_f16_e32 v1, v1
	v_cvt_f32_f16_e32 v2, v2
	v_mul_f32_e32 v6, 0xbfb8aa3b, v6
	v_exp_f32_e32 v5, v5
	v_exp_f32_e32 v0, v0
	v_mul_f32_e32 v1, 0xbfb8aa3b, v1
	v_exp_f32_e32 v3, v3
	v_add_f32_e32 v4, 1.0, v4
	v_exp_f32_e32 v6, v6
	v_dual_add_f32 v7, 1.0, v7 :: v_dual_mul_f32 v2, 0xbfb8aa3b, v2
	v_exp_f32_e32 v1, v1
	s_delay_alu instid0(VALU_DEP_2) | instskip(SKIP_1) | instid1(VALU_DEP_3)
	v_div_scale_f32 v8, null, v4, v4, 1.0
	v_add_f32_e32 v5, 1.0, v5
	v_exp_f32_e32 v2, v2
	v_dual_add_f32 v0, 1.0, v0 :: v_dual_add_f32 v17, 1.0, v3
	s_delay_alu instid0(VALU_DEP_3) | instskip(SKIP_2) | instid1(TRANS32_DEP_3)
	v_rcp_f32_e32 v3, v8
	v_add_f32_e32 v6, 1.0, v6
	v_div_scale_f32 v10, null, v5, v5, 1.0
	v_add_f32_e32 v1, 1.0, v1
	v_div_scale_f32 v18, null, v0, v0, 1.0
	s_delay_alu instid0(VALU_DEP_4) | instskip(NEXT) | instid1(VALU_DEP_4)
	v_div_scale_f32 v12, null, v6, v6, 1.0
	v_rcp_f32_e32 v20, v10
	s_delay_alu instid0(TRANS32_DEP_2) | instskip(SKIP_3) | instid1(VALU_DEP_3)
	v_fma_f32 v32, -v8, v3, 1.0
	v_add_f32_e32 v14, 1.0, v2
	v_div_scale_f32 v2, null, v7, v7, 1.0
	v_rcp_f32_e32 v23, v12
	v_fmac_f32_e32 v3, v32, v3
	s_delay_alu instid0(VALU_DEP_3) | instskip(NEXT) | instid1(VALU_DEP_3)
	v_div_scale_f32 v24, null, v14, v14, 1.0
	v_rcp_f32_e32 v26, v2
	v_div_scale_f32 v27, null, v17, v17, 1.0
	v_rcp_f32_e32 v28, v18
	;; [unrolled: 2-line block ×3, first 2 shown]
	s_delay_alu instid0(VALU_DEP_2) | instskip(SKIP_1) | instid1(VALU_DEP_2)
	v_rcp_f32_e32 v33, v27
	v_div_scale_f32 v9, vcc_lo, 1.0, v4, 1.0
	v_rcp_f32_e32 v30, v21
	v_fma_f32 v34, -v10, v20, 1.0
	v_fma_f32 v35, -v12, v23, 1.0
	;; [unrolled: 1-line block ×4, first 2 shown]
	v_div_scale_f32 v11, s2, 1.0, v5, 1.0
	v_div_scale_f32 v19, s5, 1.0, v0, 1.0
	v_dual_fmac_f32 v20, v34, v20 :: v_dual_fmac_f32 v23, v35, v23
	v_fma_f32 v35, -v24, v31, 1.0
	v_dual_fmac_f32 v26, v36, v26 :: v_dual_mul_f32 v37, v9, v3
	v_fma_f32 v36, -v27, v33, 1.0
	s_delay_alu instid0(VALU_DEP_3) | instskip(SKIP_1) | instid1(VALU_DEP_3)
	v_dual_fmac_f32 v28, v32, v28 :: v_dual_fmac_f32 v31, v35, v31
	v_fma_f32 v34, -v21, v30, 1.0
	v_dual_mul_f32 v32, v11, v20 :: v_dual_fmac_f32 v33, v36, v33
	v_fma_f32 v36, -v8, v37, v9
	s_delay_alu instid0(VALU_DEP_4) | instskip(NEXT) | instid1(VALU_DEP_4)
	v_mul_f32_e32 v38, v19, v28
	v_fmac_f32_e32 v30, v34, v30
	v_div_scale_f32 v22, s6, 1.0, v1, 1.0
	s_delay_alu instid0(VALU_DEP_4) | instskip(NEXT) | instid1(VALU_DEP_4)
	v_fmac_f32_e32 v37, v36, v3
	v_fma_f32 v36, -v18, v38, v19
	v_div_scale_f32 v13, s3, 1.0, v6, 1.0
	v_div_scale_f32 v15, s4, 1.0, v7, 1.0
	s_delay_alu instid0(VALU_DEP_4) | instskip(NEXT) | instid1(VALU_DEP_4)
	v_fma_f32 v8, -v8, v37, v9
	v_fmac_f32_e32 v38, v36, v28
	v_fma_f32 v39, -v10, v32, v11
	v_div_scale_f32 v25, s7, 1.0, v14, 1.0
	s_delay_alu instid0(VALU_DEP_4) | instskip(NEXT) | instid1(VALU_DEP_4)
	v_div_fmas_f32 v3, v8, v3, v37
	v_fma_f32 v8, -v18, v38, v19
	s_mov_b32 vcc_lo, s5
	v_dual_mul_f32 v34, v13, v23 :: v_dual_mul_f32 v35, v15, v26
	s_delay_alu instid0(VALU_DEP_3) | instskip(NEXT) | instid1(VALU_DEP_3)
	v_div_fixup_f32 v3, v3, v4, 1.0
	v_div_fmas_f32 v4, v8, v28, v38
	v_fmac_f32_e32 v32, v39, v20
	s_delay_alu instid0(VALU_DEP_4)
	v_fma_f32 v41, -v12, v34, v13
	v_fma_f32 v43, -v2, v35, v15
	v_mul_f32_e32 v42, v25, v31
	v_div_fixup_f32 v4, v4, v0, 1.0
	v_mul_f32_e32 v40, v22, v30
	v_div_scale_f32 v29, s8, 1.0, v17, 1.0
	v_fma_f32 v9, -v10, v32, v11
	v_fmac_f32_e32 v34, v41, v23
	s_delay_alu instid0(VALU_DEP_4)
	v_fma_f32 v39, -v21, v40, v22
	v_fmac_f32_e32 v35, v43, v26
	v_fma_f32 v41, -v24, v42, v25
	s_mov_b32 vcc_lo, s2
	v_mul_f32_e32 v44, v29, v33
	v_fmac_f32_e32 v40, v39, v30
	v_div_fmas_f32 v8, v9, v20, v32
	s_mov_b32 vcc_lo, s6
	v_fmac_f32_e32 v42, v41, v31
	v_fma_f32 v10, -v12, v34, v13
	v_fma_f32 v11, -v21, v40, v22
	;; [unrolled: 1-line block ×5, first 2 shown]
	v_div_fixup_f32 v5, v8, v5, 1.0
	v_div_fmas_f32 v9, v11, v30, v40
	v_cmp_class_f32_e64 vcc_lo, v3, 0x1f8
	v_fmac_f32_e32 v44, v43, v33
	s_delay_alu instid0(VALU_DEP_3) | instskip(SKIP_2) | instid1(VALU_DEP_3)
	v_div_fixup_f32 v9, v9, v1, 1.0
	v_cndmask_b32_e32 v0, 0, v3, vcc_lo
	s_mov_b32 vcc_lo, s3
	v_fma_f32 v13, -v27, v44, v29
	v_div_fmas_f32 v3, v10, v23, v34
	s_mov_b32 vcc_lo, s7
	v_div_fmas_f32 v8, v12, v31, v42
	s_mov_b32 vcc_lo, s4
	v_div_fmas_f32 v10, v2, v26, v35
	v_cmp_class_f32_e64 vcc_lo, v4, 0x1f8
	s_delay_alu instid0(VALU_DEP_2)
	v_div_fixup_f32 v7, v10, v7, 1.0
	v_cndmask_b32_e32 v1, 0, v4, vcc_lo
	s_mov_b32 vcc_lo, s8
	v_div_fixup_f32 v4, v3, v6, 1.0
	v_div_fmas_f32 v6, v13, v33, v44
	v_cmp_class_f32_e64 vcc_lo, v5, 0x1f8
	v_cndmask_b32_e32 v2, 0, v5, vcc_lo
	v_cmp_class_f32_e64 vcc_lo, v9, 0x1f8
	v_div_fixup_f32 v5, v8, v14, 1.0
	v_div_fixup_f32 v8, v6, v17, 1.0
	v_cndmask_b32_e32 v3, 0, v9, vcc_lo
	v_cmp_class_f32_e64 vcc_lo, v4, 0x1f8
	v_cndmask_b32_e32 v4, 0, v4, vcc_lo
	v_cmp_class_f32_e64 vcc_lo, v5, 0x1f8
	;; [unrolled: 2-line block ×4, first 2 shown]
	v_cndmask_b32_e32 v7, 0, v8, vcc_lo
	s_cbranch_scc1 .LBB256_10
; %bb.4:
	s_load_b256 s[4:11], s[10:11], 0x0
	s_waitcnt lgkmcnt(0)
	v_dual_add_f32 v8, s4, v0 :: v_dual_add_f32 v9, s5, v1
	v_dual_add_f32 v10, s6, v2 :: v_dual_add_f32 v11, s7, v3
	;; [unrolled: 1-line block ×4, first 2 shown]
	s_cbranch_execnz .LBB256_6
.LBB256_5:
	v_dual_mov_b32 v15, v7 :: v_dual_mov_b32 v14, v6
	v_dual_mov_b32 v13, v5 :: v_dual_mov_b32 v12, v4
	v_dual_mov_b32 v11, v3 :: v_dual_mov_b32 v10, v2
	v_dual_mov_b32 v9, v1 :: v_dual_mov_b32 v8, v0
.LBB256_6:
	s_load_b128 s[4:7], s[0:1], 0x30
	s_mov_b32 s16, 0
	s_waitcnt lgkmcnt(0)
	s_bitcmp1_b32 s7, 0
	s_cselect_b32 vcc_lo, -1, 0
	s_cmp_gt_i32 s4, 0
	s_cselect_b32 s7, -1, 0
	s_cmp_lt_i32 s4, 1
	s_cbranch_scc1 .LBB256_11
; %bb.7:
	s_load_b128 s[8:11], s[0:1], 0x20
	v_mul_lo_u32 v18, v16, s4
	v_mov_b32_e32 v17, 0
	v_mov_b32_e32 v19, v16
.LBB256_8:                              ; =>This Inner Loop Header: Depth=1
	v_cmp_gt_f32_e64 s0, v9, v8
	s_delay_alu instid0(VALU_DEP_1) | instskip(SKIP_2) | instid1(VALU_DEP_3)
	v_cndmask_b32_e64 v21, v8, v9, s0
	v_cndmask_b32_e64 v20, 0, 1, s0
	;; [unrolled: 1-line block ×3, first 2 shown]
	v_cmp_gt_f32_e64 s1, v10, v21
	s_delay_alu instid0(VALU_DEP_1) | instskip(NEXT) | instid1(VALU_DEP_4)
	v_cndmask_b32_e64 v21, v21, v10, s1
	v_cndmask_b32_e64 v20, v20, 2, s1
	s_delay_alu instid0(VALU_DEP_4) | instskip(NEXT) | instid1(VALU_DEP_3)
	v_cndmask_b32_e64 v22, v22, v2, s1
	v_cmp_gt_f32_e64 s2, v11, v21
	s_delay_alu instid0(VALU_DEP_1) | instskip(NEXT) | instid1(VALU_DEP_4)
	v_cndmask_b32_e64 v21, v21, v11, s2
	v_cndmask_b32_e64 v20, v20, 3, s2
	s_delay_alu instid0(VALU_DEP_4) | instskip(NEXT) | instid1(VALU_DEP_3)
	v_cndmask_b32_e64 v22, v22, v3, s2
	v_cmp_gt_f32_e64 s3, v12, v21
	s_delay_alu instid0(VALU_DEP_1) | instskip(NEXT) | instid1(VALU_DEP_4)
	v_cndmask_b32_e64 v24, v21, v12, s3
	v_cndmask_b32_e64 v23, v20, 4, s3
	v_add_nc_u32_e32 v20, s16, v18
	v_cndmask_b32_e64 v26, v22, v4, s3
	s_add_i32 s16, s16, 1
	v_cmp_gt_f32_e64 s0, v13, v24
	s_delay_alu instid0(VALU_DEP_3) | instskip(NEXT) | instid1(VALU_DEP_2)
	v_ashrrev_i32_e32 v21, 31, v20
	v_cndmask_b32_e64 v24, v24, v13, s0
	v_cndmask_b32_e64 v25, v23, 5, s0
	s_delay_alu instid0(VALU_DEP_3) | instskip(SKIP_1) | instid1(VALU_DEP_4)
	v_lshlrev_b64 v[20:21], 2, v[20:21]
	v_cndmask_b32_e64 v26, v26, v5, s0
	v_cmp_gt_f32_e64 s1, v14, v24
	s_delay_alu instid0(VALU_DEP_3) | instskip(NEXT) | instid1(VALU_DEP_2)
	v_add_co_u32 v22, s2, s12, v20
	v_cndmask_b32_e64 v28, v24, v14, s1
	s_waitcnt lgkmcnt(0)
	v_add_co_u32 v24, s0, s8, v20
	v_cndmask_b32_e64 v27, v25, 6, s1
	v_add_co_ci_u32_e64 v25, s0, s9, v21, s0
	v_cmp_gt_f32_e64 s0, v15, v28
	v_add_co_ci_u32_e64 v23, s2, s13, v21, s2
	v_cndmask_b32_e64 v26, v26, v6, s1
	v_add_co_u32 v20, s1, s10, v20
	s_delay_alu instid0(VALU_DEP_4) | instskip(SKIP_1) | instid1(VALU_DEP_4)
	v_cndmask_b32_e64 v27, v27, 7, s0
	v_add_co_ci_u32_e64 v21, s1, s11, v21, s1
	v_cndmask_b32_e64 v26, v26, v7, s0
	s_delay_alu instid0(VALU_DEP_3)
	v_cmp_ne_u32_e64 s2, 0, v27
	v_cmp_le_i32_e64 s0, s5, v27
	v_cmp_gt_i32_e64 s1, s6, v27
	v_subrev_nc_u32_e32 v28, s5, v27
	v_add_f32_e32 v36, v17, v26
	v_cndmask_b32_e64 v29, 0xc61c4000, v8, s2
	v_cmp_ne_u32_e64 s2, 1, v27
	s_and_b32 s1, s0, s1
	v_cmp_ne_u32_e64 s0, 7, v27
	s_delay_alu instid0(VALU_DEP_2) | instskip(SKIP_1) | instid1(VALU_DEP_1)
	v_cndmask_b32_e64 v30, 0xc61c4000, v9, s2
	v_cmp_ne_u32_e64 s2, 2, v27
	v_cndmask_b32_e64 v31, 0xc61c4000, v10, s2
	v_cmp_ne_u32_e64 s2, 3, v27
	s_delay_alu instid0(VALU_DEP_1) | instskip(SKIP_1) | instid1(VALU_DEP_1)
	v_cndmask_b32_e64 v32, 0xc61c4000, v11, s2
	v_cmp_ne_u32_e64 s2, 4, v27
	v_cndmask_b32_e64 v33, 0xc61c4000, v12, s2
	v_cmp_ne_u32_e64 s2, 5, v27
	s_delay_alu instid0(VALU_DEP_1)
	v_cndmask_b32_e64 v34, 0xc61c4000, v13, s2
	v_cmp_ne_u32_e64 s2, 6, v27
	v_cndmask_b32_e64 v27, 0xc61c4000, v15, s0
	s_and_b32 s0, s15, s1
	s_cmp_lt_i32 s16, s4
	v_cndmask_b32_e64 v28, 8, v28, s0
	v_cndmask_b32_e64 v35, 0xc61c4000, v14, s2
	s_cselect_b32 s0, -1, 0
	global_store_b32 v[24:25], v28, off
	global_store_b32 v[20:21], v19, off
	v_add_nc_u32_e32 v19, s14, v19
	v_cndmask_b32_e32 v17, v17, v36, vcc_lo
	v_cndmask_b32_e64 v15, v15, v27, s0
	v_cndmask_b32_e64 v14, v14, v35, s0
	;; [unrolled: 1-line block ×8, first 2 shown]
	s_cmp_eq_u32 s4, s16
	global_store_b32 v[22:23], v26, off
	s_cbranch_scc0 .LBB256_8
; %bb.9:
	s_and_b32 vcc_lo, exec_lo, vcc_lo
	s_cbranch_vccnz .LBB256_12
	s_branch .LBB256_15
.LBB256_10:
                                        ; implicit-def: $vgpr8_vgpr9_vgpr10_vgpr11_vgpr12_vgpr13_vgpr14_vgpr15
	s_and_not1_b32 vcc_lo, exec_lo, s9
	s_cbranch_vccz .LBB256_5
	s_branch .LBB256_6
.LBB256_11:
	v_mov_b32_e32 v17, 0
	s_and_b32 vcc_lo, exec_lo, vcc_lo
	s_cbranch_vccz .LBB256_15
.LBB256_12:
	s_and_not1_b32 vcc_lo, exec_lo, s7
	s_cbranch_vccnz .LBB256_15
; %bb.13:
	v_mul_lo_u32 v0, v16, s4
	v_cmp_lt_f32_e32 vcc_lo, 0, v17
	v_cndmask_b32_e32 v2, 1.0, v17, vcc_lo
	s_delay_alu instid0(VALU_DEP_3) | instskip(NEXT) | instid1(VALU_DEP_1)
	v_ashrrev_i32_e32 v1, 31, v0
	v_lshlrev_b64 v[0:1], 2, v[0:1]
	s_delay_alu instid0(VALU_DEP_1) | instskip(NEXT) | instid1(VALU_DEP_2)
	v_add_co_u32 v0, vcc_lo, s12, v0
	v_add_co_ci_u32_e32 v1, vcc_lo, s13, v1, vcc_lo
	.p2align	6
.LBB256_14:                             ; =>This Inner Loop Header: Depth=1
	global_load_b32 v3, v[0:1], off
	s_add_i32 s4, s4, -1
	s_delay_alu instid0(SALU_CYCLE_1) | instskip(SKIP_3) | instid1(VALU_DEP_2)
	s_cmp_lg_u32 s4, 0
	s_waitcnt vmcnt(0)
	v_div_scale_f32 v4, null, v2, v2, v3
	v_div_scale_f32 v7, vcc_lo, v3, v2, v3
	v_rcp_f32_e32 v5, v4
	s_waitcnt_depctr 0xfff
	v_fma_f32 v6, -v4, v5, 1.0
	s_delay_alu instid0(VALU_DEP_1) | instskip(NEXT) | instid1(VALU_DEP_1)
	v_fmac_f32_e32 v5, v6, v5
	v_mul_f32_e32 v6, v7, v5
	s_delay_alu instid0(VALU_DEP_1) | instskip(NEXT) | instid1(VALU_DEP_1)
	v_fma_f32 v8, -v4, v6, v7
	v_fmac_f32_e32 v6, v8, v5
	s_delay_alu instid0(VALU_DEP_1) | instskip(NEXT) | instid1(VALU_DEP_1)
	v_fma_f32 v4, -v4, v6, v7
	v_div_fmas_f32 v4, v4, v5, v6
	s_delay_alu instid0(VALU_DEP_1)
	v_div_fixup_f32 v3, v4, v2, v3
	global_store_b32 v[0:1], v3, off
	v_add_co_u32 v0, vcc_lo, v0, 4
	v_add_co_ci_u32_e32 v1, vcc_lo, 0, v1, vcc_lo
	s_cbranch_scc1 .LBB256_14
.LBB256_15:
	s_nop 0
	s_sendmsg sendmsg(MSG_DEALLOC_VGPRS)
	s_endpgm
	.section	.rodata,"a",@progbits
	.p2align	6, 0x0
	.amdhsa_kernel _ZN4vllm3moe10topkGatingILi8ELi8ELi4ELi16ELi32Ei6__halfLNS0_11ScoringFuncE1EEEvPKT5_PKbPfiPT4_PiiiibPKf
		.amdhsa_group_segment_fixed_size 0
		.amdhsa_private_segment_fixed_size 0
		.amdhsa_kernarg_size 72
		.amdhsa_user_sgpr_count 15
		.amdhsa_user_sgpr_dispatch_ptr 0
		.amdhsa_user_sgpr_queue_ptr 0
		.amdhsa_user_sgpr_kernarg_segment_ptr 1
		.amdhsa_user_sgpr_dispatch_id 0
		.amdhsa_user_sgpr_private_segment_size 0
		.amdhsa_wavefront_size32 1
		.amdhsa_uses_dynamic_stack 0
		.amdhsa_enable_private_segment 0
		.amdhsa_system_sgpr_workgroup_id_x 1
		.amdhsa_system_sgpr_workgroup_id_y 0
		.amdhsa_system_sgpr_workgroup_id_z 0
		.amdhsa_system_sgpr_workgroup_info 0
		.amdhsa_system_vgpr_workitem_id 1
		.amdhsa_next_free_vgpr 45
		.amdhsa_next_free_sgpr 17
		.amdhsa_reserve_vcc 1
		.amdhsa_float_round_mode_32 0
		.amdhsa_float_round_mode_16_64 0
		.amdhsa_float_denorm_mode_32 3
		.amdhsa_float_denorm_mode_16_64 3
		.amdhsa_dx10_clamp 1
		.amdhsa_ieee_mode 1
		.amdhsa_fp16_overflow 0
		.amdhsa_workgroup_processor_mode 1
		.amdhsa_memory_ordered 1
		.amdhsa_forward_progress 0
		.amdhsa_shared_vgpr_count 0
		.amdhsa_exception_fp_ieee_invalid_op 0
		.amdhsa_exception_fp_denorm_src 0
		.amdhsa_exception_fp_ieee_div_zero 0
		.amdhsa_exception_fp_ieee_overflow 0
		.amdhsa_exception_fp_ieee_underflow 0
		.amdhsa_exception_fp_ieee_inexact 0
		.amdhsa_exception_int_div_zero 0
	.end_amdhsa_kernel
	.section	.text._ZN4vllm3moe10topkGatingILi8ELi8ELi4ELi16ELi32Ei6__halfLNS0_11ScoringFuncE1EEEvPKT5_PKbPfiPT4_PiiiibPKf,"axG",@progbits,_ZN4vllm3moe10topkGatingILi8ELi8ELi4ELi16ELi32Ei6__halfLNS0_11ScoringFuncE1EEEvPKT5_PKbPfiPT4_PiiiibPKf,comdat
.Lfunc_end256:
	.size	_ZN4vllm3moe10topkGatingILi8ELi8ELi4ELi16ELi32Ei6__halfLNS0_11ScoringFuncE1EEEvPKT5_PKbPfiPT4_PiiiibPKf, .Lfunc_end256-_ZN4vllm3moe10topkGatingILi8ELi8ELi4ELi16ELi32Ei6__halfLNS0_11ScoringFuncE1EEEvPKT5_PKbPfiPT4_PiiiibPKf
                                        ; -- End function
	.section	.AMDGPU.csdata,"",@progbits
; Kernel info:
; codeLenInByte = 2240
; NumSgprs: 19
; NumVgprs: 45
; ScratchSize: 0
; MemoryBound: 0
; FloatMode: 240
; IeeeMode: 1
; LDSByteSize: 0 bytes/workgroup (compile time only)
; SGPRBlocks: 2
; VGPRBlocks: 5
; NumSGPRsForWavesPerEU: 19
; NumVGPRsForWavesPerEU: 45
; Occupancy: 16
; WaveLimiterHint : 0
; COMPUTE_PGM_RSRC2:SCRATCH_EN: 0
; COMPUTE_PGM_RSRC2:USER_SGPR: 15
; COMPUTE_PGM_RSRC2:TRAP_HANDLER: 0
; COMPUTE_PGM_RSRC2:TGID_X_EN: 1
; COMPUTE_PGM_RSRC2:TGID_Y_EN: 0
; COMPUTE_PGM_RSRC2:TGID_Z_EN: 0
; COMPUTE_PGM_RSRC2:TIDIG_COMP_CNT: 1
	.section	.text._ZN4vllm3moe10topkGatingILi8ELi16ELi4ELi16ELi64Ei6__halfLNS0_11ScoringFuncE1EEEvPKT5_PKbPfiPT4_PiiiibPKf,"axG",@progbits,_ZN4vllm3moe10topkGatingILi8ELi16ELi4ELi16ELi64Ei6__halfLNS0_11ScoringFuncE1EEEvPKT5_PKbPfiPT4_PiiiibPKf,comdat
	.protected	_ZN4vllm3moe10topkGatingILi8ELi16ELi4ELi16ELi64Ei6__halfLNS0_11ScoringFuncE1EEEvPKT5_PKbPfiPT4_PiiiibPKf ; -- Begin function _ZN4vllm3moe10topkGatingILi8ELi16ELi4ELi16ELi64Ei6__halfLNS0_11ScoringFuncE1EEEvPKT5_PKbPfiPT4_PiiiibPKf
	.globl	_ZN4vllm3moe10topkGatingILi8ELi16ELi4ELi16ELi64Ei6__halfLNS0_11ScoringFuncE1EEEvPKT5_PKbPfiPT4_PiiiibPKf
	.p2align	8
	.type	_ZN4vllm3moe10topkGatingILi8ELi16ELi4ELi16ELi64Ei6__halfLNS0_11ScoringFuncE1EEEvPKT5_PKbPfiPT4_PiiiibPKf,@function
_ZN4vllm3moe10topkGatingILi8ELi16ELi4ELi16ELi64Ei6__halfLNS0_11ScoringFuncE1EEEvPKT5_PKbPfiPT4_PiiiibPKf: ; @_ZN4vllm3moe10topkGatingILi8ELi16ELi4ELi16ELi64Ei6__halfLNS0_11ScoringFuncE1EEEvPKT5_PKbPfiPT4_PiiiibPKf
; %bb.0:
	s_load_b32 s18, s[0:1], 0x18
	v_bfe_u32 v1, v0, 10, 10
	v_and_b32_e32 v0, 0x3ff, v0
	s_lshl_b32 s2, s15, 7
	s_delay_alu instid0(VALU_DEP_2) | instskip(NEXT) | instid1(VALU_DEP_2)
	v_lshlrev_b32_e32 v1, 5, v1
	v_lshrrev_b32_e32 v2, 1, v0
	s_delay_alu instid0(VALU_DEP_1) | instskip(SKIP_2) | instid1(VALU_DEP_1)
	v_add3_u32 v16, s2, v1, v2
	s_mov_b32 s2, exec_lo
	s_waitcnt lgkmcnt(0)
	v_cmpx_gt_i32_e64 s18, v16
	s_cbranch_execz .LBB257_25
; %bb.1:
	s_clause 0x1
	s_load_b128 s[4:7], s[0:1], 0x0
	s_load_b64 s[16:17], s[0:1], 0x10
	s_mov_b32 s9, -1
	s_mov_b32 s19, -1
	s_waitcnt lgkmcnt(0)
	s_cmp_eq_u64 s[6:7], 0
	s_cbranch_scc1 .LBB257_3
; %bb.2:
	v_ashrrev_i32_e32 v2, 31, v16
	v_add_co_u32 v1, vcc_lo, s6, v16
	s_delay_alu instid0(VALU_DEP_2) | instskip(SKIP_3) | instid1(VALU_DEP_1)
	v_add_co_ci_u32_e32 v2, vcc_lo, s7, v2, vcc_lo
	global_load_u8 v1, v[1:2], off
	s_waitcnt vmcnt(0)
	v_and_b32_e32 v1, 1, v1
	v_cmp_eq_u32_e32 vcc_lo, 1, v1
	s_xor_b32 s2, vcc_lo, -1
	s_delay_alu instid0(SALU_CYCLE_1)
	s_or_not1_b32 s19, s2, exec_lo
.LBB257_3:
	v_lshlrev_b32_e32 v1, 4, v16
	v_and_b32_e32 v17, 1, v0
	s_load_b64 s[10:11], s[0:1], 0x40
	s_delay_alu instid0(VALU_DEP_2) | instskip(NEXT) | instid1(VALU_DEP_1)
	v_ashrrev_i32_e32 v2, 31, v1
	v_lshlrev_b64 v[0:1], 1, v[1:2]
	s_delay_alu instid0(VALU_DEP_3) | instskip(NEXT) | instid1(VALU_DEP_2)
	v_lshlrev_b32_e32 v2, 4, v17
	v_add_co_u32 v0, vcc_lo, s4, v0
	s_delay_alu instid0(VALU_DEP_3) | instskip(NEXT) | instid1(VALU_DEP_2)
	v_add_co_ci_u32_e32 v1, vcc_lo, s5, v1, vcc_lo
	v_add_co_u32 v0, vcc_lo, v0, v2
	s_delay_alu instid0(VALU_DEP_2)
	v_add_co_ci_u32_e32 v1, vcc_lo, 0, v1, vcc_lo
	s_waitcnt lgkmcnt(0)
	s_cmp_eq_u64 s[10:11], 0
	global_load_b128 v[0:3], v[0:1], off
	s_waitcnt vmcnt(0)
	v_cvt_f32_f16_e32 v4, v0
	v_lshrrev_b32_e32 v0, 16, v0
	v_cvt_f32_f16_e32 v5, v1
	v_lshrrev_b32_e32 v1, 16, v1
	v_cvt_f32_f16_e32 v6, v2
	v_lshrrev_b32_e32 v2, 16, v2
	v_cvt_f32_f16_e32 v7, v3
	v_lshrrev_b32_e32 v3, 16, v3
	v_dual_mul_f32 v4, 0xbfb8aa3b, v4 :: v_dual_mul_f32 v5, 0xbfb8aa3b, v5
	v_cvt_f32_f16_e32 v0, v0
	v_cvt_f32_f16_e32 v1, v1
	;; [unrolled: 1-line block ×4, first 2 shown]
	v_dual_mul_f32 v6, 0xbfb8aa3b, v6 :: v_dual_mul_f32 v7, 0xbfb8aa3b, v7
	v_exp_f32_e32 v4, v4
	v_dual_mul_f32 v0, 0xbfb8aa3b, v0 :: v_dual_mul_f32 v1, 0xbfb8aa3b, v1
	v_exp_f32_e32 v5, v5
	s_delay_alu instid0(VALU_DEP_2)
	v_exp_f32_e32 v6, v6
	v_mul_f32_e32 v2, 0xbfb8aa3b, v2
	v_exp_f32_e32 v7, v7
	v_dual_mul_f32 v3, 0xbfb8aa3b, v3 :: v_dual_lshlrev_b32 v18, 3, v17
	v_exp_f32_e32 v0, v0
	v_exp_f32_e32 v1, v1
	;; [unrolled: 1-line block ×3, first 2 shown]
	s_delay_alu instid0(VALU_DEP_1) | instskip(SKIP_2) | instid1(VALU_DEP_2)
	v_exp_f32_e32 v3, v3
	v_dual_add_f32 v4, 1.0, v4 :: v_dual_add_f32 v5, 1.0, v5
	v_dual_add_f32 v6, 1.0, v6 :: v_dual_add_f32 v7, 1.0, v7
	v_div_scale_f32 v8, null, v4, v4, 1.0
	s_delay_alu instid0(TRANS32_DEP_3) | instskip(NEXT) | instid1(VALU_DEP_4)
	v_dual_add_f32 v0, 1.0, v0 :: v_dual_add_f32 v1, 1.0, v1
	v_div_scale_f32 v10, null, v5, v5, 1.0
	s_delay_alu instid0(VALU_DEP_4) | instskip(NEXT) | instid1(TRANS32_DEP_1)
	v_div_scale_f32 v12, null, v6, v6, 1.0
	v_dual_add_f32 v14, 1.0, v2 :: v_dual_add_f32 v19, 1.0, v3
	v_div_scale_f32 v2, null, v7, v7, 1.0
	v_rcp_f32_e32 v3, v8
	v_div_scale_f32 v20, null, v0, v0, 1.0
	v_rcp_f32_e32 v22, v10
	;; [unrolled: 2-line block ×3, first 2 shown]
	v_rcp_f32_e32 v28, v2
	v_div_scale_f32 v29, null, v19, v19, 1.0
	v_rcp_f32_e32 v30, v20
	v_div_scale_f32 v26, null, v14, v14, 1.0
	v_rcp_f32_e32 v32, v23
	v_fma_f32 v34, -v8, v3, 1.0
	v_rcp_f32_e32 v35, v29
	v_div_scale_f32 v9, vcc_lo, 1.0, v4, 1.0
	v_rcp_f32_e32 v33, v26
	v_fma_f32 v36, -v10, v22, 1.0
	v_fma_f32 v37, -v12, v25, 1.0
	;; [unrolled: 1-line block ×3, first 2 shown]
	v_fmac_f32_e32 v3, v34, v3
	v_fma_f32 v34, -v20, v30, 1.0
	v_fmac_f32_e32 v22, v36, v22
	v_div_scale_f32 v11, s2, 1.0, v5, 1.0
	v_fma_f32 v36, -v23, v32, 1.0
	v_dual_fmac_f32 v25, v37, v25 :: v_dual_fmac_f32 v28, v38, v28
	v_fma_f32 v38, -v29, v35, 1.0
	v_dual_mul_f32 v39, v9, v3 :: v_dual_fmac_f32 v30, v34, v30
	v_div_scale_f32 v21, s5, 1.0, v0, 1.0
	v_div_scale_f32 v24, s6, 1.0, v1, 1.0
	v_fma_f32 v37, -v26, v33, 1.0
	v_mul_f32_e32 v34, v11, v22
	v_dual_fmac_f32 v32, v36, v32 :: v_dual_fmac_f32 v35, v38, v35
	v_fma_f32 v38, -v8, v39, v9
	v_mul_f32_e32 v40, v21, v30
	v_div_scale_f32 v13, s3, 1.0, v6, 1.0
	v_div_scale_f32 v15, s4, 1.0, v7, 1.0
	s_delay_alu instid0(VALU_DEP_4)
	v_fmac_f32_e32 v39, v38, v3
	v_fmac_f32_e32 v33, v37, v33
	v_fma_f32 v41, -v10, v34, v11
	v_mul_f32_e32 v42, v24, v32
	v_fma_f32 v38, -v20, v40, v21
	v_div_scale_f32 v27, s7, 1.0, v14, 1.0
	v_dual_mul_f32 v36, v13, v25 :: v_dual_mul_f32 v37, v15, v28
	v_fmac_f32_e32 v34, v41, v22
	v_fma_f32 v41, -v23, v42, v24
	v_fma_f32 v8, -v8, v39, v9
	v_fmac_f32_e32 v40, v38, v30
	v_fma_f32 v43, -v12, v36, v13
	v_fma_f32 v45, -v2, v37, v15
	v_mul_f32_e32 v44, v27, v33
	v_fmac_f32_e32 v42, v41, v32
	v_div_fmas_f32 v3, v8, v3, v39
	v_fma_f32 v8, -v20, v40, v21
	v_fmac_f32_e32 v37, v45, v28
	v_fma_f32 v9, -v10, v34, v11
	v_fmac_f32_e32 v36, v43, v25
	v_fma_f32 v43, -v26, v44, v27
	s_mov_b32 vcc_lo, s5
	v_fma_f32 v11, -v23, v42, v24
	v_div_fixup_f32 v3, v3, v4, 1.0
	v_div_fmas_f32 v4, v8, v30, v40
	s_mov_b32 vcc_lo, s2
	v_fmac_f32_e32 v44, v43, v33
	v_div_fmas_f32 v8, v9, v22, v34
	s_mov_b32 vcc_lo, s6
	v_fma_f32 v10, -v12, v36, v13
	v_div_fmas_f32 v9, v11, v32, v42
	v_cmp_class_f32_e64 vcc_lo, v3, 0x1f8
	v_fma_f32 v12, -v26, v44, v27
	v_div_fixup_f32 v4, v4, v0, 1.0
	v_div_scale_f32 v31, s8, 1.0, v19, 1.0
	v_cndmask_b32_e32 v0, 0, v3, vcc_lo
	s_mov_b32 vcc_lo, s3
	v_fma_f32 v2, -v2, v37, v15
	v_div_fmas_f32 v3, v10, v25, v36
	s_mov_b32 vcc_lo, s7
	v_div_fixup_f32 v5, v8, v5, 1.0
	v_div_fmas_f32 v8, v12, v33, v44
	s_mov_b32 vcc_lo, s4
	v_div_fixup_f32 v9, v9, v1, 1.0
	v_div_fmas_f32 v10, v2, v28, v37
	v_cmp_class_f32_e64 vcc_lo, v4, 0x1f8
	v_mul_f32_e32 v46, v31, v35
	s_delay_alu instid0(VALU_DEP_3) | instskip(SKIP_1) | instid1(VALU_DEP_3)
	v_div_fixup_f32 v7, v10, v7, 1.0
	v_cndmask_b32_e32 v1, 0, v4, vcc_lo
	v_fma_f32 v45, -v29, v46, v31
	s_mov_b32 vcc_lo, s8
	v_div_fixup_f32 v4, v3, v6, 1.0
	s_delay_alu instid0(VALU_DEP_2) | instskip(NEXT) | instid1(VALU_DEP_1)
	v_fmac_f32_e32 v46, v45, v35
	v_fma_f32 v13, -v29, v46, v31
	s_delay_alu instid0(VALU_DEP_1)
	v_div_fmas_f32 v6, v13, v35, v46
	v_cmp_class_f32_e64 vcc_lo, v5, 0x1f8
	v_cndmask_b32_e32 v2, 0, v5, vcc_lo
	v_cmp_class_f32_e64 vcc_lo, v9, 0x1f8
	v_div_fixup_f32 v5, v8, v14, 1.0
	v_div_fixup_f32 v8, v6, v19, 1.0
	v_cndmask_b32_e32 v3, 0, v9, vcc_lo
	v_cmp_class_f32_e64 vcc_lo, v4, 0x1f8
	v_cndmask_b32_e32 v4, 0, v4, vcc_lo
	v_cmp_class_f32_e64 vcc_lo, v5, 0x1f8
	v_cndmask_b32_e32 v5, 0, v5, vcc_lo
	v_cmp_class_f32_e64 vcc_lo, v7, 0x1f8
	v_cndmask_b32_e32 v6, 0, v7, vcc_lo
	v_cmp_class_f32_e64 vcc_lo, v8, 0x1f8
	v_cndmask_b32_e32 v7, 0, v8, vcc_lo
	s_cbranch_scc1 .LBB257_19
; %bb.4:
	v_lshlrev_b32_e32 v12, 2, v18
	s_clause 0x1
	global_load_b128 v[8:11], v12, s[10:11]
	global_load_b128 v[12:15], v12, s[10:11] offset:16
	s_waitcnt vmcnt(1)
	v_dual_add_f32 v9, v9, v1 :: v_dual_add_f32 v8, v8, v0
	v_dual_add_f32 v11, v11, v3 :: v_dual_add_f32 v10, v10, v2
	s_waitcnt vmcnt(0)
	v_dual_add_f32 v13, v13, v5 :: v_dual_add_f32 v12, v12, v4
	v_dual_add_f32 v15, v15, v7 :: v_dual_add_f32 v14, v14, v6
	s_cbranch_execnz .LBB257_6
.LBB257_5:
	v_dual_mov_b32 v15, v7 :: v_dual_mov_b32 v14, v6
	v_dual_mov_b32 v13, v5 :: v_dual_mov_b32 v12, v4
	;; [unrolled: 1-line block ×4, first 2 shown]
.LBB257_6:
	s_load_b128 s[8:11], s[0:1], 0x30
	v_cmp_eq_u32_e64 s2, 0, v17
	s_mov_b32 s6, 0
	s_waitcnt lgkmcnt(0)
	s_bitcmp1_b32 s11, 0
	s_cselect_b32 vcc_lo, -1, 0
	s_cmp_gt_i32 s8, 0
	s_cselect_b32 s5, -1, 0
	s_cmp_lt_i32 s8, 1
	s_cbranch_scc1 .LBB257_20
; %bb.7:
	v_mbcnt_lo_u32_b32 v19, -1, 0
	s_load_b128 s[12:15], s[0:1], 0x20
	v_mov_b32_e32 v22, v16
	s_delay_alu instid0(VALU_DEP_2) | instskip(SKIP_1) | instid1(VALU_DEP_2)
	v_and_b32_e32 v20, 30, v19
	v_xor_b32_e32 v21, 1, v19
	v_add_nc_u32_e32 v20, 2, v20
	s_delay_alu instid0(VALU_DEP_1) | instskip(SKIP_1) | instid1(VALU_DEP_2)
	v_cmp_lt_i32_e64 s0, v21, v20
	v_mul_lo_u32 v20, v16, s8
	v_cndmask_b32_e64 v21, v19, v21, s0
	v_mov_b32_e32 v19, 0
	s_delay_alu instid0(VALU_DEP_2)
	v_lshlrev_b32_e32 v21, 2, v21
	s_branch .LBB257_10
.LBB257_8:                              ;   in Loop: Header=BB257_10 Depth=1
	s_or_b32 exec_lo, exec_lo, s1
.LBB257_9:                              ;   in Loop: Header=BB257_10 Depth=1
	v_add_nc_u32_e32 v22, s18, v22
	s_cmp_eq_u32 s8, s6
	s_cbranch_scc1 .LBB257_21
.LBB257_10:                             ; =>This Inner Loop Header: Depth=1
	v_cmp_gt_f32_e64 s0, v9, v8
	s_delay_alu instid0(VALU_DEP_1) | instskip(SKIP_2) | instid1(VALU_DEP_3)
	v_cndmask_b32_e64 v24, v8, v9, s0
	v_cndmask_b32_e64 v23, 0, 1, s0
	;; [unrolled: 1-line block ×3, first 2 shown]
	v_cmp_gt_f32_e64 s1, v10, v24
	s_delay_alu instid0(VALU_DEP_1) | instskip(NEXT) | instid1(VALU_DEP_4)
	v_cndmask_b32_e64 v24, v24, v10, s1
	v_cndmask_b32_e64 v23, v23, 2, s1
	s_delay_alu instid0(VALU_DEP_4) | instskip(NEXT) | instid1(VALU_DEP_3)
	v_cndmask_b32_e64 v25, v25, v2, s1
	v_cmp_gt_f32_e64 s3, v11, v24
	s_delay_alu instid0(VALU_DEP_1) | instskip(NEXT) | instid1(VALU_DEP_4)
	v_cndmask_b32_e64 v24, v24, v11, s3
	v_cndmask_b32_e64 v23, v23, 3, s3
	s_delay_alu instid0(VALU_DEP_4) | instskip(NEXT) | instid1(VALU_DEP_3)
	v_cndmask_b32_e64 v25, v25, v3, s3
	v_cmp_gt_f32_e64 s4, v12, v24
	s_delay_alu instid0(VALU_DEP_1) | instskip(NEXT) | instid1(VALU_DEP_4)
	v_cndmask_b32_e64 v24, v24, v12, s4
	v_cndmask_b32_e64 v23, v23, 4, s4
	s_delay_alu instid0(VALU_DEP_4) | instskip(SKIP_1) | instid1(VALU_DEP_3)
	v_cndmask_b32_e64 v25, v25, v4, s4
	s_mov_b32 s4, exec_lo
	v_cmp_gt_f32_e64 s0, v13, v24
	s_delay_alu instid0(VALU_DEP_1) | instskip(SKIP_2) | instid1(VALU_DEP_3)
	v_cndmask_b32_e64 v24, v24, v13, s0
	v_cndmask_b32_e64 v23, v23, 5, s0
	;; [unrolled: 1-line block ×3, first 2 shown]
	v_cmp_gt_f32_e64 s1, v14, v24
	s_delay_alu instid0(VALU_DEP_1) | instskip(NEXT) | instid1(VALU_DEP_4)
	v_cndmask_b32_e64 v24, v24, v14, s1
	v_cndmask_b32_e64 v23, v23, 6, s1
	s_delay_alu instid0(VALU_DEP_4) | instskip(NEXT) | instid1(VALU_DEP_3)
	v_cndmask_b32_e64 v25, v25, v6, s1
	v_cmp_gt_f32_e64 s0, v15, v24
	s_delay_alu instid0(VALU_DEP_1) | instskip(SKIP_1) | instid1(VALU_DEP_4)
	v_cndmask_b32_e64 v23, v23, 7, s0
	v_cndmask_b32_e64 v27, v24, v15, s0
	;; [unrolled: 1-line block ×3, first 2 shown]
	s_delay_alu instid0(VALU_DEP_3)
	v_or_b32_e32 v23, v18, v23
	ds_bpermute_b32 v28, v21, v27
	ds_bpermute_b32 v25, v21, v24
	;; [unrolled: 1-line block ×3, first 2 shown]
	s_waitcnt lgkmcnt(0)
	v_cmp_lt_f32_e64 s3, v27, v28
	v_cmpx_nlt_f32_e32 v27, v28
	s_cbranch_execnz .LBB257_14
; %bb.11:                               ;   in Loop: Header=BB257_10 Depth=1
	s_or_b32 exec_lo, exec_lo, s4
	s_delay_alu instid0(VALU_DEP_2)
	s_and_saveexec_b32 s0, s3
	s_cbranch_execnz .LBB257_15
.LBB257_12:                             ;   in Loop: Header=BB257_10 Depth=1
	s_or_b32 exec_lo, exec_lo, s0
	s_and_saveexec_b32 s3, s2
	s_cbranch_execnz .LBB257_16
.LBB257_13:                             ;   in Loop: Header=BB257_10 Depth=1
	s_or_b32 exec_lo, exec_lo, s3
	s_add_i32 s6, s6, 1
	s_delay_alu instid0(SALU_CYCLE_1)
	s_cmp_ge_i32 s6, s8
	s_cbranch_scc1 .LBB257_9
	s_branch .LBB257_17
.LBB257_14:                             ;   in Loop: Header=BB257_10 Depth=1
	v_cmp_eq_f32_e64 s0, v27, v28
	v_cmp_lt_i32_e64 s1, v26, v23
	s_delay_alu instid0(VALU_DEP_1) | instskip(SKIP_2) | instid1(SALU_CYCLE_1)
	s_and_b32 s0, s0, s1
	s_and_not1_b32 s1, s3, exec_lo
	s_and_b32 s0, s0, exec_lo
	s_or_b32 s3, s1, s0
	s_or_b32 exec_lo, exec_lo, s4
	s_and_saveexec_b32 s0, s3
	s_cbranch_execz .LBB257_12
.LBB257_15:                             ;   in Loop: Header=BB257_10 Depth=1
	v_dual_mov_b32 v23, v26 :: v_dual_mov_b32 v24, v25
	s_or_b32 exec_lo, exec_lo, s0
	s_and_saveexec_b32 s3, s2
	s_cbranch_execz .LBB257_13
.LBB257_16:                             ;   in Loop: Header=BB257_10 Depth=1
	v_add_nc_u32_e32 v25, s6, v20
	v_cmp_le_i32_e64 s0, s9, v23
	v_cmp_gt_i32_e64 s1, s10, v23
	v_subrev_nc_u32_e32 v27, s9, v23
	v_add_f32_e32 v32, v19, v24
	v_ashrrev_i32_e32 v26, 31, v25
	s_delay_alu instid0(VALU_DEP_4) | instskip(NEXT) | instid1(SALU_CYCLE_1)
	s_and_b32 s0, s0, s1
	s_and_b32 s0, s19, s0
	s_delay_alu instid0(VALU_DEP_1) | instskip(SKIP_2) | instid1(VALU_DEP_3)
	v_lshlrev_b64 v[25:26], 2, v[25:26]
	v_cndmask_b32_e64 v31, 16, v27, s0
	v_cndmask_b32_e32 v19, v19, v32, vcc_lo
	v_add_co_u32 v27, s0, s16, v25
	s_delay_alu instid0(VALU_DEP_1) | instskip(SKIP_1) | instid1(VALU_DEP_1)
	v_add_co_ci_u32_e64 v28, s0, s17, v26, s0
	v_add_co_u32 v29, s0, s12, v25
	v_add_co_ci_u32_e64 v30, s0, s13, v26, s0
	v_add_co_u32 v25, s0, s14, v25
	s_delay_alu instid0(VALU_DEP_1)
	v_add_co_ci_u32_e64 v26, s0, s15, v26, s0
	global_store_b32 v[27:28], v24, off
	global_store_b32 v[29:30], v31, off
	;; [unrolled: 1-line block ×3, first 2 shown]
	s_or_b32 exec_lo, exec_lo, s3
	s_add_i32 s6, s6, 1
	s_delay_alu instid0(SALU_CYCLE_1)
	s_cmp_ge_i32 s6, s8
	s_cbranch_scc1 .LBB257_9
.LBB257_17:                             ;   in Loop: Header=BB257_10 Depth=1
	v_ashrrev_i32_e32 v25, 31, v23
	s_mov_b32 s1, exec_lo
	s_delay_alu instid0(VALU_DEP_1) | instskip(NEXT) | instid1(VALU_DEP_1)
	v_lshrrev_b32_e32 v24, 29, v25
	v_add_nc_u32_e32 v26, v23, v24
	s_delay_alu instid0(VALU_DEP_1) | instskip(SKIP_1) | instid1(VALU_DEP_1)
	v_ashrrev_i32_e32 v24, 3, v26
	v_lshrrev_b32_e32 v26, 31, v26
	v_add_nc_u32_e32 v26, v24, v26
	s_delay_alu instid0(VALU_DEP_1) | instskip(NEXT) | instid1(VALU_DEP_1)
	v_and_b32_e32 v26, -2, v26
	v_sub_nc_u32_e32 v26, v24, v26
	s_delay_alu instid0(VALU_DEP_1)
	v_cmpx_eq_u32_e64 v17, v26
	s_cbranch_execz .LBB257_8
; %bb.18:                               ;   in Loop: Header=BB257_10 Depth=1
	v_lshrrev_b32_e32 v25, 28, v25
	v_lshlrev_b32_e32 v24, 3, v24
	s_delay_alu instid0(VALU_DEP_2) | instskip(NEXT) | instid1(VALU_DEP_2)
	v_add_nc_u32_e32 v25, v23, v25
	v_sub_nc_u32_e32 v23, v23, v24
	s_delay_alu instid0(VALU_DEP_2) | instskip(NEXT) | instid1(VALU_DEP_1)
	v_ashrrev_i32_e32 v24, 4, v25
	v_lshl_add_u32 v23, v24, 3, v23
	s_delay_alu instid0(VALU_DEP_1) | instskip(NEXT) | instid1(VALU_DEP_1)
	v_cmp_ne_u32_e64 s0, 7, v23
	v_cndmask_b32_e64 v15, 0xc61c4000, v15, s0
	v_cmp_ne_u32_e64 s0, 6, v23
	s_delay_alu instid0(VALU_DEP_1) | instskip(SKIP_1) | instid1(VALU_DEP_1)
	v_cndmask_b32_e64 v14, 0xc61c4000, v14, s0
	v_cmp_ne_u32_e64 s0, 5, v23
	v_cndmask_b32_e64 v13, 0xc61c4000, v13, s0
	v_cmp_ne_u32_e64 s0, 4, v23
	s_delay_alu instid0(VALU_DEP_1) | instskip(SKIP_1) | instid1(VALU_DEP_1)
	v_cndmask_b32_e64 v12, 0xc61c4000, v12, s0
	v_cmp_ne_u32_e64 s0, 3, v23
	v_cndmask_b32_e64 v11, 0xc61c4000, v11, s0
	v_cmp_ne_u32_e64 s0, 2, v23
	s_delay_alu instid0(VALU_DEP_1) | instskip(SKIP_1) | instid1(VALU_DEP_1)
	v_cndmask_b32_e64 v10, 0xc61c4000, v10, s0
	v_cmp_ne_u32_e64 s0, 1, v23
	v_cndmask_b32_e64 v9, 0xc61c4000, v9, s0
	v_cmp_ne_u32_e64 s0, 0, v23
	s_delay_alu instid0(VALU_DEP_1)
	v_cndmask_b32_e64 v8, 0xc61c4000, v8, s0
	s_branch .LBB257_8
.LBB257_19:
                                        ; implicit-def: $vgpr8_vgpr9_vgpr10_vgpr11_vgpr12_vgpr13_vgpr14_vgpr15
	s_and_not1_b32 vcc_lo, exec_lo, s9
	s_cbranch_vccz .LBB257_5
	s_branch .LBB257_6
.LBB257_20:
	v_mov_b32_e32 v19, 0
.LBB257_21:
	v_cmp_eq_u32_e64 s0, 0, v17
	s_delay_alu instid0(VALU_DEP_1) | instskip(NEXT) | instid1(SALU_CYCLE_1)
	s_and_b32 s0, s0, vcc_lo
	s_and_b32 exec_lo, exec_lo, s0
	s_cbranch_execz .LBB257_25
; %bb.22:
	s_and_not1_b32 vcc_lo, exec_lo, s5
	s_cbranch_vccnz .LBB257_25
; %bb.23:
	v_mul_lo_u32 v0, v16, s8
	v_cmp_lt_f32_e32 vcc_lo, 0, v19
	v_cndmask_b32_e32 v2, 1.0, v19, vcc_lo
	s_delay_alu instid0(VALU_DEP_3) | instskip(NEXT) | instid1(VALU_DEP_1)
	v_ashrrev_i32_e32 v1, 31, v0
	v_lshlrev_b64 v[0:1], 2, v[0:1]
	s_delay_alu instid0(VALU_DEP_1) | instskip(NEXT) | instid1(VALU_DEP_2)
	v_add_co_u32 v0, vcc_lo, s16, v0
	v_add_co_ci_u32_e32 v1, vcc_lo, s17, v1, vcc_lo
	.p2align	6
.LBB257_24:                             ; =>This Inner Loop Header: Depth=1
	global_load_b32 v3, v[0:1], off
	s_add_i32 s8, s8, -1
	s_delay_alu instid0(SALU_CYCLE_1) | instskip(SKIP_3) | instid1(VALU_DEP_2)
	s_cmp_lg_u32 s8, 0
	s_waitcnt vmcnt(0)
	v_div_scale_f32 v4, null, v2, v2, v3
	v_div_scale_f32 v7, vcc_lo, v3, v2, v3
	v_rcp_f32_e32 v5, v4
	s_waitcnt_depctr 0xfff
	v_fma_f32 v6, -v4, v5, 1.0
	s_delay_alu instid0(VALU_DEP_1) | instskip(NEXT) | instid1(VALU_DEP_1)
	v_fmac_f32_e32 v5, v6, v5
	v_mul_f32_e32 v6, v7, v5
	s_delay_alu instid0(VALU_DEP_1) | instskip(NEXT) | instid1(VALU_DEP_1)
	v_fma_f32 v8, -v4, v6, v7
	v_fmac_f32_e32 v6, v8, v5
	s_delay_alu instid0(VALU_DEP_1) | instskip(NEXT) | instid1(VALU_DEP_1)
	v_fma_f32 v4, -v4, v6, v7
	v_div_fmas_f32 v4, v4, v5, v6
	s_delay_alu instid0(VALU_DEP_1)
	v_div_fixup_f32 v3, v4, v2, v3
	global_store_b32 v[0:1], v3, off
	v_add_co_u32 v0, vcc_lo, v0, 4
	v_add_co_ci_u32_e32 v1, vcc_lo, 0, v1, vcc_lo
	s_cbranch_scc1 .LBB257_24
.LBB257_25:
	s_nop 0
	s_sendmsg sendmsg(MSG_DEALLOC_VGPRS)
	s_endpgm
	.section	.rodata,"a",@progbits
	.p2align	6, 0x0
	.amdhsa_kernel _ZN4vllm3moe10topkGatingILi8ELi16ELi4ELi16ELi64Ei6__halfLNS0_11ScoringFuncE1EEEvPKT5_PKbPfiPT4_PiiiibPKf
		.amdhsa_group_segment_fixed_size 0
		.amdhsa_private_segment_fixed_size 0
		.amdhsa_kernarg_size 72
		.amdhsa_user_sgpr_count 15
		.amdhsa_user_sgpr_dispatch_ptr 0
		.amdhsa_user_sgpr_queue_ptr 0
		.amdhsa_user_sgpr_kernarg_segment_ptr 1
		.amdhsa_user_sgpr_dispatch_id 0
		.amdhsa_user_sgpr_private_segment_size 0
		.amdhsa_wavefront_size32 1
		.amdhsa_uses_dynamic_stack 0
		.amdhsa_enable_private_segment 0
		.amdhsa_system_sgpr_workgroup_id_x 1
		.amdhsa_system_sgpr_workgroup_id_y 0
		.amdhsa_system_sgpr_workgroup_id_z 0
		.amdhsa_system_sgpr_workgroup_info 0
		.amdhsa_system_vgpr_workitem_id 1
		.amdhsa_next_free_vgpr 47
		.amdhsa_next_free_sgpr 20
		.amdhsa_reserve_vcc 1
		.amdhsa_float_round_mode_32 0
		.amdhsa_float_round_mode_16_64 0
		.amdhsa_float_denorm_mode_32 3
		.amdhsa_float_denorm_mode_16_64 3
		.amdhsa_dx10_clamp 1
		.amdhsa_ieee_mode 1
		.amdhsa_fp16_overflow 0
		.amdhsa_workgroup_processor_mode 1
		.amdhsa_memory_ordered 1
		.amdhsa_forward_progress 0
		.amdhsa_shared_vgpr_count 0
		.amdhsa_exception_fp_ieee_invalid_op 0
		.amdhsa_exception_fp_denorm_src 0
		.amdhsa_exception_fp_ieee_div_zero 0
		.amdhsa_exception_fp_ieee_overflow 0
		.amdhsa_exception_fp_ieee_underflow 0
		.amdhsa_exception_fp_ieee_inexact 0
		.amdhsa_exception_int_div_zero 0
	.end_amdhsa_kernel
	.section	.text._ZN4vllm3moe10topkGatingILi8ELi16ELi4ELi16ELi64Ei6__halfLNS0_11ScoringFuncE1EEEvPKT5_PKbPfiPT4_PiiiibPKf,"axG",@progbits,_ZN4vllm3moe10topkGatingILi8ELi16ELi4ELi16ELi64Ei6__halfLNS0_11ScoringFuncE1EEEvPKT5_PKbPfiPT4_PiiiibPKf,comdat
.Lfunc_end257:
	.size	_ZN4vllm3moe10topkGatingILi8ELi16ELi4ELi16ELi64Ei6__halfLNS0_11ScoringFuncE1EEEvPKT5_PKbPfiPT4_PiiiibPKf, .Lfunc_end257-_ZN4vllm3moe10topkGatingILi8ELi16ELi4ELi16ELi64Ei6__halfLNS0_11ScoringFuncE1EEEvPKT5_PKbPfiPT4_PiiiibPKf
                                        ; -- End function
	.section	.AMDGPU.csdata,"",@progbits
; Kernel info:
; codeLenInByte = 2580
; NumSgprs: 22
; NumVgprs: 47
; ScratchSize: 0
; MemoryBound: 0
; FloatMode: 240
; IeeeMode: 1
; LDSByteSize: 0 bytes/workgroup (compile time only)
; SGPRBlocks: 2
; VGPRBlocks: 5
; NumSGPRsForWavesPerEU: 22
; NumVGPRsForWavesPerEU: 47
; Occupancy: 16
; WaveLimiterHint : 0
; COMPUTE_PGM_RSRC2:SCRATCH_EN: 0
; COMPUTE_PGM_RSRC2:USER_SGPR: 15
; COMPUTE_PGM_RSRC2:TRAP_HANDLER: 0
; COMPUTE_PGM_RSRC2:TGID_X_EN: 1
; COMPUTE_PGM_RSRC2:TGID_Y_EN: 0
; COMPUTE_PGM_RSRC2:TGID_Z_EN: 0
; COMPUTE_PGM_RSRC2:TIDIG_COMP_CNT: 1
	.section	.text._ZN4vllm3moe10topkGatingILi8ELi16ELi4ELi16ELi32Ei6__halfLNS0_11ScoringFuncE1EEEvPKT5_PKbPfiPT4_PiiiibPKf,"axG",@progbits,_ZN4vllm3moe10topkGatingILi8ELi16ELi4ELi16ELi32Ei6__halfLNS0_11ScoringFuncE1EEEvPKT5_PKbPfiPT4_PiiiibPKf,comdat
	.protected	_ZN4vllm3moe10topkGatingILi8ELi16ELi4ELi16ELi32Ei6__halfLNS0_11ScoringFuncE1EEEvPKT5_PKbPfiPT4_PiiiibPKf ; -- Begin function _ZN4vllm3moe10topkGatingILi8ELi16ELi4ELi16ELi32Ei6__halfLNS0_11ScoringFuncE1EEEvPKT5_PKbPfiPT4_PiiiibPKf
	.globl	_ZN4vllm3moe10topkGatingILi8ELi16ELi4ELi16ELi32Ei6__halfLNS0_11ScoringFuncE1EEEvPKT5_PKbPfiPT4_PiiiibPKf
	.p2align	8
	.type	_ZN4vllm3moe10topkGatingILi8ELi16ELi4ELi16ELi32Ei6__halfLNS0_11ScoringFuncE1EEEvPKT5_PKbPfiPT4_PiiiibPKf,@function
_ZN4vllm3moe10topkGatingILi8ELi16ELi4ELi16ELi32Ei6__halfLNS0_11ScoringFuncE1EEEvPKT5_PKbPfiPT4_PiiiibPKf: ; @_ZN4vllm3moe10topkGatingILi8ELi16ELi4ELi16ELi32Ei6__halfLNS0_11ScoringFuncE1EEEvPKT5_PKbPfiPT4_PiiiibPKf
; %bb.0:
	s_load_b32 s18, s[0:1], 0x18
	v_bfe_u32 v1, v0, 10, 10
	v_and_b32_e32 v0, 0x3ff, v0
	s_lshl_b32 s2, s15, 6
	s_delay_alu instid0(VALU_DEP_2) | instskip(NEXT) | instid1(VALU_DEP_2)
	v_lshlrev_b32_e32 v1, 4, v1
	v_lshrrev_b32_e32 v2, 1, v0
	s_delay_alu instid0(VALU_DEP_1) | instskip(SKIP_2) | instid1(VALU_DEP_1)
	v_add3_u32 v16, s2, v1, v2
	s_mov_b32 s2, exec_lo
	s_waitcnt lgkmcnt(0)
	v_cmpx_gt_i32_e64 s18, v16
	s_cbranch_execz .LBB258_25
; %bb.1:
	s_clause 0x1
	s_load_b128 s[4:7], s[0:1], 0x0
	s_load_b64 s[16:17], s[0:1], 0x10
	s_mov_b32 s9, -1
	s_mov_b32 s19, -1
	s_waitcnt lgkmcnt(0)
	s_cmp_eq_u64 s[6:7], 0
	s_cbranch_scc1 .LBB258_3
; %bb.2:
	v_ashrrev_i32_e32 v2, 31, v16
	v_add_co_u32 v1, vcc_lo, s6, v16
	s_delay_alu instid0(VALU_DEP_2) | instskip(SKIP_3) | instid1(VALU_DEP_1)
	v_add_co_ci_u32_e32 v2, vcc_lo, s7, v2, vcc_lo
	global_load_u8 v1, v[1:2], off
	s_waitcnt vmcnt(0)
	v_and_b32_e32 v1, 1, v1
	v_cmp_eq_u32_e32 vcc_lo, 1, v1
	s_xor_b32 s2, vcc_lo, -1
	s_delay_alu instid0(SALU_CYCLE_1)
	s_or_not1_b32 s19, s2, exec_lo
.LBB258_3:
	v_lshlrev_b32_e32 v1, 4, v16
	v_and_b32_e32 v17, 1, v0
	s_load_b64 s[10:11], s[0:1], 0x40
	s_delay_alu instid0(VALU_DEP_2) | instskip(NEXT) | instid1(VALU_DEP_1)
	v_ashrrev_i32_e32 v2, 31, v1
	v_lshlrev_b64 v[0:1], 1, v[1:2]
	s_delay_alu instid0(VALU_DEP_3) | instskip(NEXT) | instid1(VALU_DEP_2)
	v_lshlrev_b32_e32 v2, 4, v17
	v_add_co_u32 v0, vcc_lo, s4, v0
	s_delay_alu instid0(VALU_DEP_3) | instskip(NEXT) | instid1(VALU_DEP_2)
	v_add_co_ci_u32_e32 v1, vcc_lo, s5, v1, vcc_lo
	v_add_co_u32 v0, vcc_lo, v0, v2
	s_delay_alu instid0(VALU_DEP_2)
	v_add_co_ci_u32_e32 v1, vcc_lo, 0, v1, vcc_lo
	s_waitcnt lgkmcnt(0)
	s_cmp_eq_u64 s[10:11], 0
	global_load_b128 v[0:3], v[0:1], off
	s_waitcnt vmcnt(0)
	v_cvt_f32_f16_e32 v4, v0
	v_lshrrev_b32_e32 v0, 16, v0
	v_cvt_f32_f16_e32 v5, v1
	v_lshrrev_b32_e32 v1, 16, v1
	;; [unrolled: 2-line block ×4, first 2 shown]
	v_dual_mul_f32 v4, 0xbfb8aa3b, v4 :: v_dual_mul_f32 v5, 0xbfb8aa3b, v5
	v_cvt_f32_f16_e32 v0, v0
	v_cvt_f32_f16_e32 v1, v1
	;; [unrolled: 1-line block ×4, first 2 shown]
	v_dual_mul_f32 v6, 0xbfb8aa3b, v6 :: v_dual_mul_f32 v7, 0xbfb8aa3b, v7
	v_exp_f32_e32 v4, v4
	v_dual_mul_f32 v0, 0xbfb8aa3b, v0 :: v_dual_mul_f32 v1, 0xbfb8aa3b, v1
	v_exp_f32_e32 v5, v5
	s_delay_alu instid0(VALU_DEP_2)
	v_exp_f32_e32 v6, v6
	v_mul_f32_e32 v2, 0xbfb8aa3b, v2
	v_exp_f32_e32 v7, v7
	v_dual_mul_f32 v3, 0xbfb8aa3b, v3 :: v_dual_lshlrev_b32 v18, 3, v17
	v_exp_f32_e32 v0, v0
	v_exp_f32_e32 v1, v1
	;; [unrolled: 1-line block ×3, first 2 shown]
	s_delay_alu instid0(VALU_DEP_1) | instskip(SKIP_2) | instid1(VALU_DEP_2)
	v_exp_f32_e32 v3, v3
	v_dual_add_f32 v4, 1.0, v4 :: v_dual_add_f32 v5, 1.0, v5
	v_dual_add_f32 v6, 1.0, v6 :: v_dual_add_f32 v7, 1.0, v7
	v_div_scale_f32 v8, null, v4, v4, 1.0
	s_delay_alu instid0(TRANS32_DEP_3) | instskip(NEXT) | instid1(VALU_DEP_4)
	v_dual_add_f32 v0, 1.0, v0 :: v_dual_add_f32 v1, 1.0, v1
	v_div_scale_f32 v10, null, v5, v5, 1.0
	s_delay_alu instid0(VALU_DEP_4) | instskip(NEXT) | instid1(TRANS32_DEP_1)
	v_div_scale_f32 v12, null, v6, v6, 1.0
	v_dual_add_f32 v14, 1.0, v2 :: v_dual_add_f32 v19, 1.0, v3
	v_div_scale_f32 v2, null, v7, v7, 1.0
	v_rcp_f32_e32 v3, v8
	v_div_scale_f32 v20, null, v0, v0, 1.0
	v_rcp_f32_e32 v22, v10
	;; [unrolled: 2-line block ×3, first 2 shown]
	v_rcp_f32_e32 v28, v2
	v_div_scale_f32 v29, null, v19, v19, 1.0
	v_rcp_f32_e32 v30, v20
	v_div_scale_f32 v26, null, v14, v14, 1.0
	v_rcp_f32_e32 v32, v23
	v_fma_f32 v34, -v8, v3, 1.0
	v_rcp_f32_e32 v35, v29
	v_div_scale_f32 v9, vcc_lo, 1.0, v4, 1.0
	v_rcp_f32_e32 v33, v26
	v_fma_f32 v36, -v10, v22, 1.0
	v_fma_f32 v37, -v12, v25, 1.0
	;; [unrolled: 1-line block ×3, first 2 shown]
	v_fmac_f32_e32 v3, v34, v3
	v_fma_f32 v34, -v20, v30, 1.0
	v_fmac_f32_e32 v22, v36, v22
	v_div_scale_f32 v11, s2, 1.0, v5, 1.0
	v_fma_f32 v36, -v23, v32, 1.0
	v_dual_fmac_f32 v25, v37, v25 :: v_dual_fmac_f32 v28, v38, v28
	v_fma_f32 v38, -v29, v35, 1.0
	v_dual_mul_f32 v39, v9, v3 :: v_dual_fmac_f32 v30, v34, v30
	v_div_scale_f32 v21, s5, 1.0, v0, 1.0
	v_div_scale_f32 v24, s6, 1.0, v1, 1.0
	v_fma_f32 v37, -v26, v33, 1.0
	v_mul_f32_e32 v34, v11, v22
	v_dual_fmac_f32 v32, v36, v32 :: v_dual_fmac_f32 v35, v38, v35
	v_fma_f32 v38, -v8, v39, v9
	v_mul_f32_e32 v40, v21, v30
	v_div_scale_f32 v13, s3, 1.0, v6, 1.0
	v_div_scale_f32 v15, s4, 1.0, v7, 1.0
	s_delay_alu instid0(VALU_DEP_4)
	v_fmac_f32_e32 v39, v38, v3
	v_fmac_f32_e32 v33, v37, v33
	v_fma_f32 v41, -v10, v34, v11
	v_mul_f32_e32 v42, v24, v32
	v_fma_f32 v38, -v20, v40, v21
	v_div_scale_f32 v27, s7, 1.0, v14, 1.0
	v_dual_mul_f32 v36, v13, v25 :: v_dual_mul_f32 v37, v15, v28
	v_fmac_f32_e32 v34, v41, v22
	v_fma_f32 v41, -v23, v42, v24
	v_fma_f32 v8, -v8, v39, v9
	v_fmac_f32_e32 v40, v38, v30
	v_fma_f32 v43, -v12, v36, v13
	v_fma_f32 v45, -v2, v37, v15
	v_mul_f32_e32 v44, v27, v33
	v_fmac_f32_e32 v42, v41, v32
	v_div_fmas_f32 v3, v8, v3, v39
	v_fma_f32 v8, -v20, v40, v21
	v_fmac_f32_e32 v37, v45, v28
	v_fma_f32 v9, -v10, v34, v11
	v_fmac_f32_e32 v36, v43, v25
	v_fma_f32 v43, -v26, v44, v27
	s_mov_b32 vcc_lo, s5
	v_fma_f32 v11, -v23, v42, v24
	v_div_fixup_f32 v3, v3, v4, 1.0
	v_div_fmas_f32 v4, v8, v30, v40
	s_mov_b32 vcc_lo, s2
	v_fmac_f32_e32 v44, v43, v33
	v_div_fmas_f32 v8, v9, v22, v34
	s_mov_b32 vcc_lo, s6
	v_fma_f32 v10, -v12, v36, v13
	v_div_fmas_f32 v9, v11, v32, v42
	v_cmp_class_f32_e64 vcc_lo, v3, 0x1f8
	v_fma_f32 v12, -v26, v44, v27
	v_div_fixup_f32 v4, v4, v0, 1.0
	v_div_scale_f32 v31, s8, 1.0, v19, 1.0
	v_cndmask_b32_e32 v0, 0, v3, vcc_lo
	s_mov_b32 vcc_lo, s3
	v_fma_f32 v2, -v2, v37, v15
	v_div_fmas_f32 v3, v10, v25, v36
	s_mov_b32 vcc_lo, s7
	v_div_fixup_f32 v5, v8, v5, 1.0
	v_div_fmas_f32 v8, v12, v33, v44
	s_mov_b32 vcc_lo, s4
	v_div_fixup_f32 v9, v9, v1, 1.0
	v_div_fmas_f32 v10, v2, v28, v37
	v_cmp_class_f32_e64 vcc_lo, v4, 0x1f8
	v_mul_f32_e32 v46, v31, v35
	s_delay_alu instid0(VALU_DEP_3) | instskip(SKIP_1) | instid1(VALU_DEP_3)
	v_div_fixup_f32 v7, v10, v7, 1.0
	v_cndmask_b32_e32 v1, 0, v4, vcc_lo
	v_fma_f32 v45, -v29, v46, v31
	s_mov_b32 vcc_lo, s8
	v_div_fixup_f32 v4, v3, v6, 1.0
	s_delay_alu instid0(VALU_DEP_2) | instskip(NEXT) | instid1(VALU_DEP_1)
	v_fmac_f32_e32 v46, v45, v35
	v_fma_f32 v13, -v29, v46, v31
	s_delay_alu instid0(VALU_DEP_1)
	v_div_fmas_f32 v6, v13, v35, v46
	v_cmp_class_f32_e64 vcc_lo, v5, 0x1f8
	v_cndmask_b32_e32 v2, 0, v5, vcc_lo
	v_cmp_class_f32_e64 vcc_lo, v9, 0x1f8
	v_div_fixup_f32 v5, v8, v14, 1.0
	v_div_fixup_f32 v8, v6, v19, 1.0
	v_cndmask_b32_e32 v3, 0, v9, vcc_lo
	v_cmp_class_f32_e64 vcc_lo, v4, 0x1f8
	v_cndmask_b32_e32 v4, 0, v4, vcc_lo
	v_cmp_class_f32_e64 vcc_lo, v5, 0x1f8
	;; [unrolled: 2-line block ×4, first 2 shown]
	v_cndmask_b32_e32 v7, 0, v8, vcc_lo
	s_cbranch_scc1 .LBB258_19
; %bb.4:
	v_lshlrev_b32_e32 v12, 2, v18
	s_clause 0x1
	global_load_b128 v[8:11], v12, s[10:11]
	global_load_b128 v[12:15], v12, s[10:11] offset:16
	s_waitcnt vmcnt(1)
	v_dual_add_f32 v9, v9, v1 :: v_dual_add_f32 v8, v8, v0
	v_dual_add_f32 v11, v11, v3 :: v_dual_add_f32 v10, v10, v2
	s_waitcnt vmcnt(0)
	v_dual_add_f32 v13, v13, v5 :: v_dual_add_f32 v12, v12, v4
	v_dual_add_f32 v15, v15, v7 :: v_dual_add_f32 v14, v14, v6
	s_cbranch_execnz .LBB258_6
.LBB258_5:
	v_dual_mov_b32 v15, v7 :: v_dual_mov_b32 v14, v6
	v_dual_mov_b32 v13, v5 :: v_dual_mov_b32 v12, v4
	;; [unrolled: 1-line block ×4, first 2 shown]
.LBB258_6:
	s_load_b128 s[8:11], s[0:1], 0x30
	v_cmp_eq_u32_e64 s2, 0, v17
	s_mov_b32 s6, 0
	s_waitcnt lgkmcnt(0)
	s_bitcmp1_b32 s11, 0
	s_cselect_b32 vcc_lo, -1, 0
	s_cmp_gt_i32 s8, 0
	s_cselect_b32 s5, -1, 0
	s_cmp_lt_i32 s8, 1
	s_cbranch_scc1 .LBB258_20
; %bb.7:
	v_mbcnt_lo_u32_b32 v19, -1, 0
	s_load_b128 s[12:15], s[0:1], 0x20
	v_mov_b32_e32 v22, v16
	s_delay_alu instid0(VALU_DEP_2) | instskip(SKIP_1) | instid1(VALU_DEP_2)
	v_and_b32_e32 v20, 30, v19
	v_xor_b32_e32 v21, 1, v19
	v_add_nc_u32_e32 v20, 2, v20
	s_delay_alu instid0(VALU_DEP_1) | instskip(SKIP_1) | instid1(VALU_DEP_2)
	v_cmp_lt_i32_e64 s0, v21, v20
	v_mul_lo_u32 v20, v16, s8
	v_cndmask_b32_e64 v21, v19, v21, s0
	v_mov_b32_e32 v19, 0
	s_delay_alu instid0(VALU_DEP_2)
	v_lshlrev_b32_e32 v21, 2, v21
	s_branch .LBB258_10
.LBB258_8:                              ;   in Loop: Header=BB258_10 Depth=1
	s_or_b32 exec_lo, exec_lo, s1
.LBB258_9:                              ;   in Loop: Header=BB258_10 Depth=1
	v_add_nc_u32_e32 v22, s18, v22
	s_cmp_eq_u32 s8, s6
	s_cbranch_scc1 .LBB258_21
.LBB258_10:                             ; =>This Inner Loop Header: Depth=1
	v_cmp_gt_f32_e64 s0, v9, v8
	s_delay_alu instid0(VALU_DEP_1) | instskip(SKIP_2) | instid1(VALU_DEP_3)
	v_cndmask_b32_e64 v24, v8, v9, s0
	v_cndmask_b32_e64 v23, 0, 1, s0
	;; [unrolled: 1-line block ×3, first 2 shown]
	v_cmp_gt_f32_e64 s1, v10, v24
	s_delay_alu instid0(VALU_DEP_1) | instskip(NEXT) | instid1(VALU_DEP_4)
	v_cndmask_b32_e64 v24, v24, v10, s1
	v_cndmask_b32_e64 v23, v23, 2, s1
	s_delay_alu instid0(VALU_DEP_4) | instskip(NEXT) | instid1(VALU_DEP_3)
	v_cndmask_b32_e64 v25, v25, v2, s1
	v_cmp_gt_f32_e64 s3, v11, v24
	s_delay_alu instid0(VALU_DEP_1) | instskip(NEXT) | instid1(VALU_DEP_4)
	v_cndmask_b32_e64 v24, v24, v11, s3
	v_cndmask_b32_e64 v23, v23, 3, s3
	s_delay_alu instid0(VALU_DEP_4) | instskip(NEXT) | instid1(VALU_DEP_3)
	v_cndmask_b32_e64 v25, v25, v3, s3
	v_cmp_gt_f32_e64 s4, v12, v24
	s_delay_alu instid0(VALU_DEP_1) | instskip(NEXT) | instid1(VALU_DEP_4)
	v_cndmask_b32_e64 v24, v24, v12, s4
	v_cndmask_b32_e64 v23, v23, 4, s4
	s_delay_alu instid0(VALU_DEP_4) | instskip(SKIP_1) | instid1(VALU_DEP_3)
	v_cndmask_b32_e64 v25, v25, v4, s4
	s_mov_b32 s4, exec_lo
	v_cmp_gt_f32_e64 s0, v13, v24
	s_delay_alu instid0(VALU_DEP_1) | instskip(SKIP_2) | instid1(VALU_DEP_3)
	v_cndmask_b32_e64 v24, v24, v13, s0
	v_cndmask_b32_e64 v23, v23, 5, s0
	;; [unrolled: 1-line block ×3, first 2 shown]
	v_cmp_gt_f32_e64 s1, v14, v24
	s_delay_alu instid0(VALU_DEP_1) | instskip(NEXT) | instid1(VALU_DEP_4)
	v_cndmask_b32_e64 v24, v24, v14, s1
	v_cndmask_b32_e64 v23, v23, 6, s1
	s_delay_alu instid0(VALU_DEP_4) | instskip(NEXT) | instid1(VALU_DEP_3)
	v_cndmask_b32_e64 v25, v25, v6, s1
	v_cmp_gt_f32_e64 s0, v15, v24
	s_delay_alu instid0(VALU_DEP_1) | instskip(SKIP_1) | instid1(VALU_DEP_4)
	v_cndmask_b32_e64 v23, v23, 7, s0
	v_cndmask_b32_e64 v27, v24, v15, s0
	;; [unrolled: 1-line block ×3, first 2 shown]
	s_delay_alu instid0(VALU_DEP_3)
	v_or_b32_e32 v23, v18, v23
	ds_bpermute_b32 v28, v21, v27
	ds_bpermute_b32 v25, v21, v24
	;; [unrolled: 1-line block ×3, first 2 shown]
	s_waitcnt lgkmcnt(0)
	v_cmp_lt_f32_e64 s3, v27, v28
	v_cmpx_nlt_f32_e32 v27, v28
	s_cbranch_execnz .LBB258_14
; %bb.11:                               ;   in Loop: Header=BB258_10 Depth=1
	s_or_b32 exec_lo, exec_lo, s4
	s_delay_alu instid0(VALU_DEP_2)
	s_and_saveexec_b32 s0, s3
	s_cbranch_execnz .LBB258_15
.LBB258_12:                             ;   in Loop: Header=BB258_10 Depth=1
	s_or_b32 exec_lo, exec_lo, s0
	s_and_saveexec_b32 s3, s2
	s_cbranch_execnz .LBB258_16
.LBB258_13:                             ;   in Loop: Header=BB258_10 Depth=1
	s_or_b32 exec_lo, exec_lo, s3
	s_add_i32 s6, s6, 1
	s_delay_alu instid0(SALU_CYCLE_1)
	s_cmp_ge_i32 s6, s8
	s_cbranch_scc1 .LBB258_9
	s_branch .LBB258_17
.LBB258_14:                             ;   in Loop: Header=BB258_10 Depth=1
	v_cmp_eq_f32_e64 s0, v27, v28
	v_cmp_lt_i32_e64 s1, v26, v23
	s_delay_alu instid0(VALU_DEP_1) | instskip(SKIP_2) | instid1(SALU_CYCLE_1)
	s_and_b32 s0, s0, s1
	s_and_not1_b32 s1, s3, exec_lo
	s_and_b32 s0, s0, exec_lo
	s_or_b32 s3, s1, s0
	s_or_b32 exec_lo, exec_lo, s4
	s_and_saveexec_b32 s0, s3
	s_cbranch_execz .LBB258_12
.LBB258_15:                             ;   in Loop: Header=BB258_10 Depth=1
	v_dual_mov_b32 v23, v26 :: v_dual_mov_b32 v24, v25
	s_or_b32 exec_lo, exec_lo, s0
	s_and_saveexec_b32 s3, s2
	s_cbranch_execz .LBB258_13
.LBB258_16:                             ;   in Loop: Header=BB258_10 Depth=1
	v_add_nc_u32_e32 v25, s6, v20
	v_cmp_le_i32_e64 s0, s9, v23
	v_cmp_gt_i32_e64 s1, s10, v23
	v_subrev_nc_u32_e32 v27, s9, v23
	v_add_f32_e32 v32, v19, v24
	v_ashrrev_i32_e32 v26, 31, v25
	s_delay_alu instid0(VALU_DEP_4) | instskip(NEXT) | instid1(SALU_CYCLE_1)
	s_and_b32 s0, s0, s1
	s_and_b32 s0, s19, s0
	s_delay_alu instid0(VALU_DEP_1) | instskip(SKIP_2) | instid1(VALU_DEP_3)
	v_lshlrev_b64 v[25:26], 2, v[25:26]
	v_cndmask_b32_e64 v31, 16, v27, s0
	v_cndmask_b32_e32 v19, v19, v32, vcc_lo
	v_add_co_u32 v27, s0, s16, v25
	s_delay_alu instid0(VALU_DEP_1) | instskip(SKIP_1) | instid1(VALU_DEP_1)
	v_add_co_ci_u32_e64 v28, s0, s17, v26, s0
	v_add_co_u32 v29, s0, s12, v25
	v_add_co_ci_u32_e64 v30, s0, s13, v26, s0
	v_add_co_u32 v25, s0, s14, v25
	s_delay_alu instid0(VALU_DEP_1)
	v_add_co_ci_u32_e64 v26, s0, s15, v26, s0
	global_store_b32 v[27:28], v24, off
	global_store_b32 v[29:30], v31, off
	;; [unrolled: 1-line block ×3, first 2 shown]
	s_or_b32 exec_lo, exec_lo, s3
	s_add_i32 s6, s6, 1
	s_delay_alu instid0(SALU_CYCLE_1)
	s_cmp_ge_i32 s6, s8
	s_cbranch_scc1 .LBB258_9
.LBB258_17:                             ;   in Loop: Header=BB258_10 Depth=1
	v_ashrrev_i32_e32 v25, 31, v23
	s_mov_b32 s1, exec_lo
	s_delay_alu instid0(VALU_DEP_1) | instskip(NEXT) | instid1(VALU_DEP_1)
	v_lshrrev_b32_e32 v24, 29, v25
	v_add_nc_u32_e32 v26, v23, v24
	s_delay_alu instid0(VALU_DEP_1) | instskip(SKIP_1) | instid1(VALU_DEP_1)
	v_ashrrev_i32_e32 v24, 3, v26
	v_lshrrev_b32_e32 v26, 31, v26
	v_add_nc_u32_e32 v26, v24, v26
	s_delay_alu instid0(VALU_DEP_1) | instskip(NEXT) | instid1(VALU_DEP_1)
	v_and_b32_e32 v26, -2, v26
	v_sub_nc_u32_e32 v26, v24, v26
	s_delay_alu instid0(VALU_DEP_1)
	v_cmpx_eq_u32_e64 v17, v26
	s_cbranch_execz .LBB258_8
; %bb.18:                               ;   in Loop: Header=BB258_10 Depth=1
	v_lshrrev_b32_e32 v25, 28, v25
	v_lshlrev_b32_e32 v24, 3, v24
	s_delay_alu instid0(VALU_DEP_2) | instskip(NEXT) | instid1(VALU_DEP_2)
	v_add_nc_u32_e32 v25, v23, v25
	v_sub_nc_u32_e32 v23, v23, v24
	s_delay_alu instid0(VALU_DEP_2) | instskip(NEXT) | instid1(VALU_DEP_1)
	v_ashrrev_i32_e32 v24, 4, v25
	v_lshl_add_u32 v23, v24, 3, v23
	s_delay_alu instid0(VALU_DEP_1) | instskip(NEXT) | instid1(VALU_DEP_1)
	v_cmp_ne_u32_e64 s0, 7, v23
	v_cndmask_b32_e64 v15, 0xc61c4000, v15, s0
	v_cmp_ne_u32_e64 s0, 6, v23
	s_delay_alu instid0(VALU_DEP_1) | instskip(SKIP_1) | instid1(VALU_DEP_1)
	v_cndmask_b32_e64 v14, 0xc61c4000, v14, s0
	v_cmp_ne_u32_e64 s0, 5, v23
	v_cndmask_b32_e64 v13, 0xc61c4000, v13, s0
	v_cmp_ne_u32_e64 s0, 4, v23
	s_delay_alu instid0(VALU_DEP_1) | instskip(SKIP_1) | instid1(VALU_DEP_1)
	v_cndmask_b32_e64 v12, 0xc61c4000, v12, s0
	;; [unrolled: 5-line block ×3, first 2 shown]
	v_cmp_ne_u32_e64 s0, 1, v23
	v_cndmask_b32_e64 v9, 0xc61c4000, v9, s0
	v_cmp_ne_u32_e64 s0, 0, v23
	s_delay_alu instid0(VALU_DEP_1)
	v_cndmask_b32_e64 v8, 0xc61c4000, v8, s0
	s_branch .LBB258_8
.LBB258_19:
                                        ; implicit-def: $vgpr8_vgpr9_vgpr10_vgpr11_vgpr12_vgpr13_vgpr14_vgpr15
	s_and_not1_b32 vcc_lo, exec_lo, s9
	s_cbranch_vccz .LBB258_5
	s_branch .LBB258_6
.LBB258_20:
	v_mov_b32_e32 v19, 0
.LBB258_21:
	v_cmp_eq_u32_e64 s0, 0, v17
	s_delay_alu instid0(VALU_DEP_1) | instskip(NEXT) | instid1(SALU_CYCLE_1)
	s_and_b32 s0, s0, vcc_lo
	s_and_b32 exec_lo, exec_lo, s0
	s_cbranch_execz .LBB258_25
; %bb.22:
	s_and_not1_b32 vcc_lo, exec_lo, s5
	s_cbranch_vccnz .LBB258_25
; %bb.23:
	v_mul_lo_u32 v0, v16, s8
	v_cmp_lt_f32_e32 vcc_lo, 0, v19
	v_cndmask_b32_e32 v2, 1.0, v19, vcc_lo
	s_delay_alu instid0(VALU_DEP_3) | instskip(NEXT) | instid1(VALU_DEP_1)
	v_ashrrev_i32_e32 v1, 31, v0
	v_lshlrev_b64 v[0:1], 2, v[0:1]
	s_delay_alu instid0(VALU_DEP_1) | instskip(NEXT) | instid1(VALU_DEP_2)
	v_add_co_u32 v0, vcc_lo, s16, v0
	v_add_co_ci_u32_e32 v1, vcc_lo, s17, v1, vcc_lo
	.p2align	6
.LBB258_24:                             ; =>This Inner Loop Header: Depth=1
	global_load_b32 v3, v[0:1], off
	s_add_i32 s8, s8, -1
	s_delay_alu instid0(SALU_CYCLE_1) | instskip(SKIP_3) | instid1(VALU_DEP_2)
	s_cmp_lg_u32 s8, 0
	s_waitcnt vmcnt(0)
	v_div_scale_f32 v4, null, v2, v2, v3
	v_div_scale_f32 v7, vcc_lo, v3, v2, v3
	v_rcp_f32_e32 v5, v4
	s_waitcnt_depctr 0xfff
	v_fma_f32 v6, -v4, v5, 1.0
	s_delay_alu instid0(VALU_DEP_1) | instskip(NEXT) | instid1(VALU_DEP_1)
	v_fmac_f32_e32 v5, v6, v5
	v_mul_f32_e32 v6, v7, v5
	s_delay_alu instid0(VALU_DEP_1) | instskip(NEXT) | instid1(VALU_DEP_1)
	v_fma_f32 v8, -v4, v6, v7
	v_fmac_f32_e32 v6, v8, v5
	s_delay_alu instid0(VALU_DEP_1) | instskip(NEXT) | instid1(VALU_DEP_1)
	v_fma_f32 v4, -v4, v6, v7
	v_div_fmas_f32 v4, v4, v5, v6
	s_delay_alu instid0(VALU_DEP_1)
	v_div_fixup_f32 v3, v4, v2, v3
	global_store_b32 v[0:1], v3, off
	v_add_co_u32 v0, vcc_lo, v0, 4
	v_add_co_ci_u32_e32 v1, vcc_lo, 0, v1, vcc_lo
	s_cbranch_scc1 .LBB258_24
.LBB258_25:
	s_nop 0
	s_sendmsg sendmsg(MSG_DEALLOC_VGPRS)
	s_endpgm
	.section	.rodata,"a",@progbits
	.p2align	6, 0x0
	.amdhsa_kernel _ZN4vllm3moe10topkGatingILi8ELi16ELi4ELi16ELi32Ei6__halfLNS0_11ScoringFuncE1EEEvPKT5_PKbPfiPT4_PiiiibPKf
		.amdhsa_group_segment_fixed_size 0
		.amdhsa_private_segment_fixed_size 0
		.amdhsa_kernarg_size 72
		.amdhsa_user_sgpr_count 15
		.amdhsa_user_sgpr_dispatch_ptr 0
		.amdhsa_user_sgpr_queue_ptr 0
		.amdhsa_user_sgpr_kernarg_segment_ptr 1
		.amdhsa_user_sgpr_dispatch_id 0
		.amdhsa_user_sgpr_private_segment_size 0
		.amdhsa_wavefront_size32 1
		.amdhsa_uses_dynamic_stack 0
		.amdhsa_enable_private_segment 0
		.amdhsa_system_sgpr_workgroup_id_x 1
		.amdhsa_system_sgpr_workgroup_id_y 0
		.amdhsa_system_sgpr_workgroup_id_z 0
		.amdhsa_system_sgpr_workgroup_info 0
		.amdhsa_system_vgpr_workitem_id 1
		.amdhsa_next_free_vgpr 47
		.amdhsa_next_free_sgpr 20
		.amdhsa_reserve_vcc 1
		.amdhsa_float_round_mode_32 0
		.amdhsa_float_round_mode_16_64 0
		.amdhsa_float_denorm_mode_32 3
		.amdhsa_float_denorm_mode_16_64 3
		.amdhsa_dx10_clamp 1
		.amdhsa_ieee_mode 1
		.amdhsa_fp16_overflow 0
		.amdhsa_workgroup_processor_mode 1
		.amdhsa_memory_ordered 1
		.amdhsa_forward_progress 0
		.amdhsa_shared_vgpr_count 0
		.amdhsa_exception_fp_ieee_invalid_op 0
		.amdhsa_exception_fp_denorm_src 0
		.amdhsa_exception_fp_ieee_div_zero 0
		.amdhsa_exception_fp_ieee_overflow 0
		.amdhsa_exception_fp_ieee_underflow 0
		.amdhsa_exception_fp_ieee_inexact 0
		.amdhsa_exception_int_div_zero 0
	.end_amdhsa_kernel
	.section	.text._ZN4vllm3moe10topkGatingILi8ELi16ELi4ELi16ELi32Ei6__halfLNS0_11ScoringFuncE1EEEvPKT5_PKbPfiPT4_PiiiibPKf,"axG",@progbits,_ZN4vllm3moe10topkGatingILi8ELi16ELi4ELi16ELi32Ei6__halfLNS0_11ScoringFuncE1EEEvPKT5_PKbPfiPT4_PiiiibPKf,comdat
.Lfunc_end258:
	.size	_ZN4vllm3moe10topkGatingILi8ELi16ELi4ELi16ELi32Ei6__halfLNS0_11ScoringFuncE1EEEvPKT5_PKbPfiPT4_PiiiibPKf, .Lfunc_end258-_ZN4vllm3moe10topkGatingILi8ELi16ELi4ELi16ELi32Ei6__halfLNS0_11ScoringFuncE1EEEvPKT5_PKbPfiPT4_PiiiibPKf
                                        ; -- End function
	.section	.AMDGPU.csdata,"",@progbits
; Kernel info:
; codeLenInByte = 2580
; NumSgprs: 22
; NumVgprs: 47
; ScratchSize: 0
; MemoryBound: 0
; FloatMode: 240
; IeeeMode: 1
; LDSByteSize: 0 bytes/workgroup (compile time only)
; SGPRBlocks: 2
; VGPRBlocks: 5
; NumSGPRsForWavesPerEU: 22
; NumVGPRsForWavesPerEU: 47
; Occupancy: 16
; WaveLimiterHint : 0
; COMPUTE_PGM_RSRC2:SCRATCH_EN: 0
; COMPUTE_PGM_RSRC2:USER_SGPR: 15
; COMPUTE_PGM_RSRC2:TRAP_HANDLER: 0
; COMPUTE_PGM_RSRC2:TGID_X_EN: 1
; COMPUTE_PGM_RSRC2:TGID_Y_EN: 0
; COMPUTE_PGM_RSRC2:TGID_Z_EN: 0
; COMPUTE_PGM_RSRC2:TIDIG_COMP_CNT: 1
	.section	.text._ZN4vllm3moe10topkGatingILi8ELi32ELi4ELi16ELi64Ei6__halfLNS0_11ScoringFuncE1EEEvPKT5_PKbPfiPT4_PiiiibPKf,"axG",@progbits,_ZN4vllm3moe10topkGatingILi8ELi32ELi4ELi16ELi64Ei6__halfLNS0_11ScoringFuncE1EEEvPKT5_PKbPfiPT4_PiiiibPKf,comdat
	.protected	_ZN4vllm3moe10topkGatingILi8ELi32ELi4ELi16ELi64Ei6__halfLNS0_11ScoringFuncE1EEEvPKT5_PKbPfiPT4_PiiiibPKf ; -- Begin function _ZN4vllm3moe10topkGatingILi8ELi32ELi4ELi16ELi64Ei6__halfLNS0_11ScoringFuncE1EEEvPKT5_PKbPfiPT4_PiiiibPKf
	.globl	_ZN4vllm3moe10topkGatingILi8ELi32ELi4ELi16ELi64Ei6__halfLNS0_11ScoringFuncE1EEEvPKT5_PKbPfiPT4_PiiiibPKf
	.p2align	8
	.type	_ZN4vllm3moe10topkGatingILi8ELi32ELi4ELi16ELi64Ei6__halfLNS0_11ScoringFuncE1EEEvPKT5_PKbPfiPT4_PiiiibPKf,@function
_ZN4vllm3moe10topkGatingILi8ELi32ELi4ELi16ELi64Ei6__halfLNS0_11ScoringFuncE1EEEvPKT5_PKbPfiPT4_PiiiibPKf: ; @_ZN4vllm3moe10topkGatingILi8ELi32ELi4ELi16ELi64Ei6__halfLNS0_11ScoringFuncE1EEEvPKT5_PKbPfiPT4_PiiiibPKf
; %bb.0:
	s_load_b32 s18, s[0:1], 0x18
	v_bfe_u32 v1, v0, 10, 10
	v_and_b32_e32 v0, 0x3ff, v0
	s_lshl_b32 s2, s15, 6
	s_delay_alu instid0(VALU_DEP_2) | instskip(NEXT) | instid1(VALU_DEP_2)
	v_lshlrev_b32_e32 v1, 4, v1
	v_lshrrev_b32_e32 v2, 2, v0
	s_delay_alu instid0(VALU_DEP_1) | instskip(SKIP_2) | instid1(VALU_DEP_1)
	v_add3_u32 v16, s2, v1, v2
	s_mov_b32 s2, exec_lo
	s_waitcnt lgkmcnt(0)
	v_cmpx_gt_i32_e64 s18, v16
	s_cbranch_execz .LBB259_29
; %bb.1:
	s_clause 0x1
	s_load_b128 s[4:7], s[0:1], 0x0
	s_load_b64 s[16:17], s[0:1], 0x10
	s_mov_b32 s9, -1
	s_mov_b32 s19, -1
	s_waitcnt lgkmcnt(0)
	s_cmp_eq_u64 s[6:7], 0
	s_cbranch_scc1 .LBB259_3
; %bb.2:
	v_ashrrev_i32_e32 v2, 31, v16
	v_add_co_u32 v1, vcc_lo, s6, v16
	s_delay_alu instid0(VALU_DEP_2) | instskip(SKIP_3) | instid1(VALU_DEP_1)
	v_add_co_ci_u32_e32 v2, vcc_lo, s7, v2, vcc_lo
	global_load_u8 v1, v[1:2], off
	s_waitcnt vmcnt(0)
	v_and_b32_e32 v1, 1, v1
	v_cmp_eq_u32_e32 vcc_lo, 1, v1
	s_xor_b32 s2, vcc_lo, -1
	s_delay_alu instid0(SALU_CYCLE_1)
	s_or_not1_b32 s19, s2, exec_lo
.LBB259_3:
	v_lshlrev_b32_e32 v1, 5, v16
	v_and_b32_e32 v17, 3, v0
	s_load_b64 s[10:11], s[0:1], 0x40
	s_delay_alu instid0(VALU_DEP_2) | instskip(NEXT) | instid1(VALU_DEP_1)
	v_ashrrev_i32_e32 v2, 31, v1
	v_lshlrev_b64 v[0:1], 1, v[1:2]
	s_delay_alu instid0(VALU_DEP_3) | instskip(NEXT) | instid1(VALU_DEP_2)
	v_lshlrev_b32_e32 v2, 4, v17
	v_add_co_u32 v0, vcc_lo, s4, v0
	s_delay_alu instid0(VALU_DEP_3) | instskip(NEXT) | instid1(VALU_DEP_2)
	v_add_co_ci_u32_e32 v1, vcc_lo, s5, v1, vcc_lo
	v_add_co_u32 v0, vcc_lo, v0, v2
	s_delay_alu instid0(VALU_DEP_2)
	v_add_co_ci_u32_e32 v1, vcc_lo, 0, v1, vcc_lo
	s_waitcnt lgkmcnt(0)
	s_cmp_eq_u64 s[10:11], 0
	global_load_b128 v[0:3], v[0:1], off
	s_waitcnt vmcnt(0)
	v_cvt_f32_f16_e32 v4, v0
	v_lshrrev_b32_e32 v0, 16, v0
	v_cvt_f32_f16_e32 v5, v1
	v_lshrrev_b32_e32 v1, 16, v1
	v_cvt_f32_f16_e32 v6, v2
	v_lshrrev_b32_e32 v2, 16, v2
	v_cvt_f32_f16_e32 v7, v3
	v_lshrrev_b32_e32 v3, 16, v3
	v_dual_mul_f32 v4, 0xbfb8aa3b, v4 :: v_dual_mul_f32 v5, 0xbfb8aa3b, v5
	v_cvt_f32_f16_e32 v0, v0
	v_cvt_f32_f16_e32 v1, v1
	;; [unrolled: 1-line block ×4, first 2 shown]
	v_dual_mul_f32 v6, 0xbfb8aa3b, v6 :: v_dual_mul_f32 v7, 0xbfb8aa3b, v7
	v_exp_f32_e32 v4, v4
	v_dual_mul_f32 v0, 0xbfb8aa3b, v0 :: v_dual_mul_f32 v1, 0xbfb8aa3b, v1
	v_exp_f32_e32 v5, v5
	s_delay_alu instid0(VALU_DEP_2)
	v_exp_f32_e32 v6, v6
	v_mul_f32_e32 v2, 0xbfb8aa3b, v2
	v_exp_f32_e32 v7, v7
	v_dual_mul_f32 v3, 0xbfb8aa3b, v3 :: v_dual_lshlrev_b32 v18, 3, v17
	v_exp_f32_e32 v0, v0
	v_exp_f32_e32 v1, v1
	;; [unrolled: 1-line block ×3, first 2 shown]
	s_delay_alu instid0(VALU_DEP_1) | instskip(SKIP_2) | instid1(VALU_DEP_2)
	v_exp_f32_e32 v3, v3
	v_dual_add_f32 v4, 1.0, v4 :: v_dual_add_f32 v5, 1.0, v5
	v_dual_add_f32 v6, 1.0, v6 :: v_dual_add_f32 v7, 1.0, v7
	v_div_scale_f32 v8, null, v4, v4, 1.0
	s_delay_alu instid0(TRANS32_DEP_3) | instskip(NEXT) | instid1(VALU_DEP_4)
	v_dual_add_f32 v0, 1.0, v0 :: v_dual_add_f32 v1, 1.0, v1
	v_div_scale_f32 v10, null, v5, v5, 1.0
	s_delay_alu instid0(VALU_DEP_4) | instskip(NEXT) | instid1(TRANS32_DEP_1)
	v_div_scale_f32 v12, null, v6, v6, 1.0
	v_dual_add_f32 v14, 1.0, v2 :: v_dual_add_f32 v19, 1.0, v3
	v_div_scale_f32 v2, null, v7, v7, 1.0
	v_rcp_f32_e32 v3, v8
	v_div_scale_f32 v20, null, v0, v0, 1.0
	v_rcp_f32_e32 v22, v10
	;; [unrolled: 2-line block ×3, first 2 shown]
	v_rcp_f32_e32 v28, v2
	v_div_scale_f32 v29, null, v19, v19, 1.0
	v_rcp_f32_e32 v30, v20
	v_div_scale_f32 v26, null, v14, v14, 1.0
	v_rcp_f32_e32 v32, v23
	v_fma_f32 v34, -v8, v3, 1.0
	v_rcp_f32_e32 v35, v29
	v_div_scale_f32 v9, vcc_lo, 1.0, v4, 1.0
	v_rcp_f32_e32 v33, v26
	v_fma_f32 v36, -v10, v22, 1.0
	v_fma_f32 v37, -v12, v25, 1.0
	;; [unrolled: 1-line block ×3, first 2 shown]
	v_fmac_f32_e32 v3, v34, v3
	v_fma_f32 v34, -v20, v30, 1.0
	v_fmac_f32_e32 v22, v36, v22
	v_div_scale_f32 v11, s2, 1.0, v5, 1.0
	v_fma_f32 v36, -v23, v32, 1.0
	v_dual_fmac_f32 v25, v37, v25 :: v_dual_fmac_f32 v28, v38, v28
	v_fma_f32 v38, -v29, v35, 1.0
	v_dual_mul_f32 v39, v9, v3 :: v_dual_fmac_f32 v30, v34, v30
	v_div_scale_f32 v21, s5, 1.0, v0, 1.0
	v_div_scale_f32 v24, s6, 1.0, v1, 1.0
	v_fma_f32 v37, -v26, v33, 1.0
	v_mul_f32_e32 v34, v11, v22
	v_dual_fmac_f32 v32, v36, v32 :: v_dual_fmac_f32 v35, v38, v35
	v_fma_f32 v38, -v8, v39, v9
	v_mul_f32_e32 v40, v21, v30
	v_div_scale_f32 v13, s3, 1.0, v6, 1.0
	v_div_scale_f32 v15, s4, 1.0, v7, 1.0
	s_delay_alu instid0(VALU_DEP_4)
	v_fmac_f32_e32 v39, v38, v3
	v_fmac_f32_e32 v33, v37, v33
	v_fma_f32 v41, -v10, v34, v11
	v_mul_f32_e32 v42, v24, v32
	v_fma_f32 v38, -v20, v40, v21
	v_div_scale_f32 v27, s7, 1.0, v14, 1.0
	v_dual_mul_f32 v36, v13, v25 :: v_dual_mul_f32 v37, v15, v28
	v_fmac_f32_e32 v34, v41, v22
	v_fma_f32 v41, -v23, v42, v24
	v_fma_f32 v8, -v8, v39, v9
	v_fmac_f32_e32 v40, v38, v30
	v_fma_f32 v43, -v12, v36, v13
	v_fma_f32 v45, -v2, v37, v15
	v_mul_f32_e32 v44, v27, v33
	v_fmac_f32_e32 v42, v41, v32
	v_div_fmas_f32 v3, v8, v3, v39
	v_fma_f32 v8, -v20, v40, v21
	v_fmac_f32_e32 v37, v45, v28
	v_fma_f32 v9, -v10, v34, v11
	v_fmac_f32_e32 v36, v43, v25
	v_fma_f32 v43, -v26, v44, v27
	s_mov_b32 vcc_lo, s5
	v_fma_f32 v11, -v23, v42, v24
	v_div_fixup_f32 v3, v3, v4, 1.0
	v_div_fmas_f32 v4, v8, v30, v40
	s_mov_b32 vcc_lo, s2
	v_fmac_f32_e32 v44, v43, v33
	v_div_fmas_f32 v8, v9, v22, v34
	s_mov_b32 vcc_lo, s6
	v_fma_f32 v10, -v12, v36, v13
	v_div_fmas_f32 v9, v11, v32, v42
	v_cmp_class_f32_e64 vcc_lo, v3, 0x1f8
	v_fma_f32 v12, -v26, v44, v27
	v_div_fixup_f32 v4, v4, v0, 1.0
	v_div_scale_f32 v31, s8, 1.0, v19, 1.0
	v_cndmask_b32_e32 v0, 0, v3, vcc_lo
	s_mov_b32 vcc_lo, s3
	v_fma_f32 v2, -v2, v37, v15
	v_div_fmas_f32 v3, v10, v25, v36
	s_mov_b32 vcc_lo, s7
	v_div_fixup_f32 v5, v8, v5, 1.0
	v_div_fmas_f32 v8, v12, v33, v44
	s_mov_b32 vcc_lo, s4
	v_div_fixup_f32 v9, v9, v1, 1.0
	v_div_fmas_f32 v10, v2, v28, v37
	v_cmp_class_f32_e64 vcc_lo, v4, 0x1f8
	v_mul_f32_e32 v46, v31, v35
	s_delay_alu instid0(VALU_DEP_3) | instskip(SKIP_1) | instid1(VALU_DEP_3)
	v_div_fixup_f32 v7, v10, v7, 1.0
	v_cndmask_b32_e32 v1, 0, v4, vcc_lo
	v_fma_f32 v45, -v29, v46, v31
	s_mov_b32 vcc_lo, s8
	v_div_fixup_f32 v4, v3, v6, 1.0
	s_delay_alu instid0(VALU_DEP_2) | instskip(NEXT) | instid1(VALU_DEP_1)
	v_fmac_f32_e32 v46, v45, v35
	v_fma_f32 v13, -v29, v46, v31
	s_delay_alu instid0(VALU_DEP_1)
	v_div_fmas_f32 v6, v13, v35, v46
	v_cmp_class_f32_e64 vcc_lo, v5, 0x1f8
	v_cndmask_b32_e32 v2, 0, v5, vcc_lo
	v_cmp_class_f32_e64 vcc_lo, v9, 0x1f8
	v_div_fixup_f32 v5, v8, v14, 1.0
	v_div_fixup_f32 v8, v6, v19, 1.0
	v_cndmask_b32_e32 v3, 0, v9, vcc_lo
	v_cmp_class_f32_e64 vcc_lo, v4, 0x1f8
	v_cndmask_b32_e32 v4, 0, v4, vcc_lo
	v_cmp_class_f32_e64 vcc_lo, v5, 0x1f8
	;; [unrolled: 2-line block ×4, first 2 shown]
	v_cndmask_b32_e32 v7, 0, v8, vcc_lo
	s_cbranch_scc1 .LBB259_23
; %bb.4:
	v_lshlrev_b32_e32 v12, 2, v18
	s_clause 0x1
	global_load_b128 v[8:11], v12, s[10:11]
	global_load_b128 v[12:15], v12, s[10:11] offset:16
	s_waitcnt vmcnt(1)
	v_dual_add_f32 v9, v9, v1 :: v_dual_add_f32 v8, v8, v0
	v_dual_add_f32 v11, v11, v3 :: v_dual_add_f32 v10, v10, v2
	s_waitcnt vmcnt(0)
	v_dual_add_f32 v13, v13, v5 :: v_dual_add_f32 v12, v12, v4
	v_dual_add_f32 v15, v15, v7 :: v_dual_add_f32 v14, v14, v6
	s_cbranch_execnz .LBB259_6
.LBB259_5:
	v_dual_mov_b32 v15, v7 :: v_dual_mov_b32 v14, v6
	v_dual_mov_b32 v13, v5 :: v_dual_mov_b32 v12, v4
	;; [unrolled: 1-line block ×4, first 2 shown]
.LBB259_6:
	s_load_b128 s[8:11], s[0:1], 0x30
	v_cmp_eq_u32_e64 s2, 0, v17
	s_mov_b32 s6, 0
	s_waitcnt lgkmcnt(0)
	s_bitcmp1_b32 s11, 0
	s_cselect_b32 vcc_lo, -1, 0
	s_cmp_gt_i32 s8, 0
	s_cselect_b32 s5, -1, 0
	s_cmp_lt_i32 s8, 1
	s_cbranch_scc1 .LBB259_24
; %bb.7:
	v_mbcnt_lo_u32_b32 v19, -1, 0
	s_load_b128 s[12:15], s[0:1], 0x20
	s_delay_alu instid0(VALU_DEP_1) | instskip(SKIP_2) | instid1(VALU_DEP_3)
	v_dual_mov_b32 v23, v16 :: v_dual_and_b32 v20, 28, v19
	v_xor_b32_e32 v21, 2, v19
	v_xor_b32_e32 v22, 1, v19
	v_add_nc_u32_e32 v20, 4, v20
	s_delay_alu instid0(VALU_DEP_1) | instskip(NEXT) | instid1(VALU_DEP_1)
	v_cmp_lt_i32_e64 s0, v21, v20
	v_cndmask_b32_e64 v21, v19, v21, s0
	s_delay_alu instid0(VALU_DEP_4) | instskip(SKIP_1) | instid1(VALU_DEP_3)
	v_cmp_lt_i32_e64 s0, v22, v20
	v_mul_lo_u32 v20, v16, s8
	v_lshlrev_b32_e32 v21, 2, v21
	s_delay_alu instid0(VALU_DEP_3) | instskip(NEXT) | instid1(VALU_DEP_1)
	v_cndmask_b32_e64 v22, v19, v22, s0
	v_dual_mov_b32 v19, 0 :: v_dual_lshlrev_b32 v22, 2, v22
	s_branch .LBB259_10
.LBB259_8:                              ;   in Loop: Header=BB259_10 Depth=1
	s_or_b32 exec_lo, exec_lo, s1
.LBB259_9:                              ;   in Loop: Header=BB259_10 Depth=1
	v_add_nc_u32_e32 v23, s18, v23
	s_cmp_eq_u32 s8, s6
	s_cbranch_scc1 .LBB259_25
.LBB259_10:                             ; =>This Inner Loop Header: Depth=1
	v_cmp_gt_f32_e64 s0, v9, v8
	s_delay_alu instid0(VALU_DEP_1) | instskip(SKIP_2) | instid1(VALU_DEP_3)
	v_cndmask_b32_e64 v25, v8, v9, s0
	v_cndmask_b32_e64 v24, 0, 1, s0
	v_cndmask_b32_e64 v26, v0, v1, s0
	v_cmp_gt_f32_e64 s1, v10, v25
	s_delay_alu instid0(VALU_DEP_1) | instskip(NEXT) | instid1(VALU_DEP_4)
	v_cndmask_b32_e64 v25, v25, v10, s1
	v_cndmask_b32_e64 v24, v24, 2, s1
	s_delay_alu instid0(VALU_DEP_4) | instskip(NEXT) | instid1(VALU_DEP_3)
	v_cndmask_b32_e64 v26, v26, v2, s1
	v_cmp_gt_f32_e64 s3, v11, v25
	s_delay_alu instid0(VALU_DEP_1) | instskip(NEXT) | instid1(VALU_DEP_4)
	v_cndmask_b32_e64 v25, v25, v11, s3
	v_cndmask_b32_e64 v24, v24, 3, s3
	s_delay_alu instid0(VALU_DEP_4) | instskip(NEXT) | instid1(VALU_DEP_3)
	v_cndmask_b32_e64 v26, v26, v3, s3
	v_cmp_gt_f32_e64 s4, v12, v25
	s_delay_alu instid0(VALU_DEP_1) | instskip(NEXT) | instid1(VALU_DEP_4)
	v_cndmask_b32_e64 v25, v25, v12, s4
	v_cndmask_b32_e64 v24, v24, 4, s4
	s_delay_alu instid0(VALU_DEP_4) | instskip(SKIP_1) | instid1(VALU_DEP_3)
	v_cndmask_b32_e64 v26, v26, v4, s4
	s_mov_b32 s4, exec_lo
	v_cmp_gt_f32_e64 s0, v13, v25
	s_delay_alu instid0(VALU_DEP_1) | instskip(SKIP_2) | instid1(VALU_DEP_3)
	v_cndmask_b32_e64 v25, v25, v13, s0
	v_cndmask_b32_e64 v24, v24, 5, s0
	;; [unrolled: 1-line block ×3, first 2 shown]
	v_cmp_gt_f32_e64 s1, v14, v25
	s_delay_alu instid0(VALU_DEP_1) | instskip(NEXT) | instid1(VALU_DEP_4)
	v_cndmask_b32_e64 v25, v25, v14, s1
	v_cndmask_b32_e64 v24, v24, 6, s1
	s_waitcnt lgkmcnt(0)
	v_cndmask_b32_e64 v27, v26, v6, s1
	s_delay_alu instid0(VALU_DEP_3) | instskip(NEXT) | instid1(VALU_DEP_1)
	v_cmp_gt_f32_e64 s0, v15, v25
	v_cndmask_b32_e64 v24, v24, 7, s0
	v_cndmask_b32_e64 v26, v25, v15, s0
	s_delay_alu instid0(VALU_DEP_4) | instskip(NEXT) | instid1(VALU_DEP_3)
	v_cndmask_b32_e64 v25, v27, v7, s0
	v_or_b32_e32 v24, v18, v24
	ds_bpermute_b32 v27, v21, v26
	ds_bpermute_b32 v29, v21, v25
	;; [unrolled: 1-line block ×3, first 2 shown]
	s_waitcnt lgkmcnt(0)
	v_cmp_lt_f32_e64 s3, v26, v27
	v_cmpx_nlt_f32_e32 v26, v27
; %bb.11:                               ;   in Loop: Header=BB259_10 Depth=1
	v_cmp_eq_f32_e64 s0, v26, v27
	v_cmp_lt_i32_e64 s1, v28, v24
	s_delay_alu instid0(VALU_DEP_1) | instskip(SKIP_2) | instid1(SALU_CYCLE_1)
	s_and_b32 s0, s0, s1
	s_and_not1_b32 s1, s3, exec_lo
	s_and_b32 s0, s0, exec_lo
	s_or_b32 s3, s1, s0
; %bb.12:                               ;   in Loop: Header=BB259_10 Depth=1
	s_or_b32 exec_lo, exec_lo, s4
	s_and_saveexec_b32 s0, s3
; %bb.13:                               ;   in Loop: Header=BB259_10 Depth=1
	v_dual_mov_b32 v25, v29 :: v_dual_mov_b32 v26, v27
	v_mov_b32_e32 v24, v28
; %bb.14:                               ;   in Loop: Header=BB259_10 Depth=1
	s_or_b32 exec_lo, exec_lo, s0
	ds_bpermute_b32 v29, v22, v26
	ds_bpermute_b32 v27, v22, v25
	;; [unrolled: 1-line block ×3, first 2 shown]
	s_mov_b32 s4, exec_lo
	s_waitcnt lgkmcnt(2)
	v_cmp_lt_f32_e64 s3, v26, v29
	v_cmpx_nlt_f32_e32 v26, v29
	s_cbranch_execnz .LBB259_18
; %bb.15:                               ;   in Loop: Header=BB259_10 Depth=1
	s_or_b32 exec_lo, exec_lo, s4
	s_delay_alu instid0(VALU_DEP_2)
	s_and_saveexec_b32 s0, s3
	s_cbranch_execnz .LBB259_19
.LBB259_16:                             ;   in Loop: Header=BB259_10 Depth=1
	s_or_b32 exec_lo, exec_lo, s0
	s_and_saveexec_b32 s3, s2
	s_cbranch_execnz .LBB259_20
.LBB259_17:                             ;   in Loop: Header=BB259_10 Depth=1
	s_or_b32 exec_lo, exec_lo, s3
	s_add_i32 s6, s6, 1
	s_delay_alu instid0(SALU_CYCLE_1)
	s_cmp_ge_i32 s6, s8
	s_cbranch_scc1 .LBB259_9
	s_branch .LBB259_21
.LBB259_18:                             ;   in Loop: Header=BB259_10 Depth=1
	v_cmp_eq_f32_e64 s0, v26, v29
	s_waitcnt lgkmcnt(0)
	v_cmp_lt_i32_e64 s1, v28, v24
	s_delay_alu instid0(VALU_DEP_1) | instskip(SKIP_2) | instid1(SALU_CYCLE_1)
	s_and_b32 s0, s0, s1
	s_and_not1_b32 s1, s3, exec_lo
	s_and_b32 s0, s0, exec_lo
	s_or_b32 s3, s1, s0
	s_or_b32 exec_lo, exec_lo, s4
	s_and_saveexec_b32 s0, s3
	s_cbranch_execz .LBB259_16
.LBB259_19:                             ;   in Loop: Header=BB259_10 Depth=1
	s_waitcnt lgkmcnt(0)
	v_dual_mov_b32 v24, v28 :: v_dual_mov_b32 v25, v27
	s_or_b32 exec_lo, exec_lo, s0
	s_and_saveexec_b32 s3, s2
	s_cbranch_execz .LBB259_17
.LBB259_20:                             ;   in Loop: Header=BB259_10 Depth=1
	s_delay_alu instid0(VALU_DEP_1)
	v_dual_add_f32 v33, v19, v25 :: v_dual_add_nc_u32 v26, s6, v20
	v_cmp_le_i32_e64 s0, s9, v24
	v_cmp_gt_i32_e64 s1, s10, v24
	s_waitcnt lgkmcnt(0)
	v_subrev_nc_u32_e32 v28, s9, v24
	v_ashrrev_i32_e32 v27, 31, v26
	v_cndmask_b32_e32 v19, v19, v33, vcc_lo
	s_and_b32 s0, s0, s1
	s_delay_alu instid0(SALU_CYCLE_1) | instskip(NEXT) | instid1(VALU_DEP_2)
	s_and_b32 s0, s19, s0
	v_lshlrev_b64 v[26:27], 2, v[26:27]
	v_cndmask_b32_e64 v32, 32, v28, s0
	s_delay_alu instid0(VALU_DEP_2) | instskip(NEXT) | instid1(VALU_DEP_1)
	v_add_co_u32 v28, s0, s16, v26
	v_add_co_ci_u32_e64 v29, s0, s17, v27, s0
	v_add_co_u32 v30, s0, s12, v26
	s_delay_alu instid0(VALU_DEP_1) | instskip(SKIP_1) | instid1(VALU_DEP_1)
	v_add_co_ci_u32_e64 v31, s0, s13, v27, s0
	v_add_co_u32 v26, s0, s14, v26
	v_add_co_ci_u32_e64 v27, s0, s15, v27, s0
	global_store_b32 v[28:29], v25, off
	global_store_b32 v[30:31], v32, off
	;; [unrolled: 1-line block ×3, first 2 shown]
	s_or_b32 exec_lo, exec_lo, s3
	s_add_i32 s6, s6, 1
	s_delay_alu instid0(SALU_CYCLE_1)
	s_cmp_ge_i32 s6, s8
	s_cbranch_scc1 .LBB259_9
.LBB259_21:                             ;   in Loop: Header=BB259_10 Depth=1
	v_ashrrev_i32_e32 v26, 31, v24
	s_mov_b32 s1, exec_lo
	s_delay_alu instid0(VALU_DEP_1) | instskip(NEXT) | instid1(VALU_DEP_1)
	v_lshrrev_b32_e32 v25, 29, v26
	v_add_nc_u32_e32 v25, v24, v25
	s_delay_alu instid0(VALU_DEP_1) | instskip(SKIP_1) | instid1(VALU_DEP_1)
	v_ashrrev_i32_e32 v25, 3, v25
	s_waitcnt lgkmcnt(1)
	v_lshrrev_b32_e32 v27, 30, v25
	s_delay_alu instid0(VALU_DEP_1) | instskip(NEXT) | instid1(VALU_DEP_1)
	v_add_nc_u32_e32 v27, v25, v27
	v_and_b32_e32 v27, -4, v27
	s_delay_alu instid0(VALU_DEP_1) | instskip(NEXT) | instid1(VALU_DEP_1)
	v_sub_nc_u32_e32 v27, v25, v27
	v_cmpx_eq_u32_e64 v17, v27
	s_cbranch_execz .LBB259_8
; %bb.22:                               ;   in Loop: Header=BB259_10 Depth=1
	v_lshrrev_b32_e32 v26, 27, v26
	v_lshlrev_b32_e32 v25, 3, v25
	s_delay_alu instid0(VALU_DEP_2) | instskip(NEXT) | instid1(VALU_DEP_2)
	v_add_nc_u32_e32 v26, v24, v26
	v_sub_nc_u32_e32 v24, v24, v25
	s_delay_alu instid0(VALU_DEP_2) | instskip(NEXT) | instid1(VALU_DEP_1)
	v_ashrrev_i32_e32 v25, 5, v26
	v_lshl_add_u32 v24, v25, 3, v24
	s_delay_alu instid0(VALU_DEP_1) | instskip(NEXT) | instid1(VALU_DEP_1)
	v_cmp_ne_u32_e64 s0, 7, v24
	v_cndmask_b32_e64 v15, 0xc61c4000, v15, s0
	v_cmp_ne_u32_e64 s0, 6, v24
	s_delay_alu instid0(VALU_DEP_1) | instskip(SKIP_1) | instid1(VALU_DEP_1)
	v_cndmask_b32_e64 v14, 0xc61c4000, v14, s0
	v_cmp_ne_u32_e64 s0, 5, v24
	v_cndmask_b32_e64 v13, 0xc61c4000, v13, s0
	v_cmp_ne_u32_e64 s0, 4, v24
	s_delay_alu instid0(VALU_DEP_1) | instskip(SKIP_1) | instid1(VALU_DEP_1)
	v_cndmask_b32_e64 v12, 0xc61c4000, v12, s0
	;; [unrolled: 5-line block ×3, first 2 shown]
	v_cmp_ne_u32_e64 s0, 1, v24
	v_cndmask_b32_e64 v9, 0xc61c4000, v9, s0
	v_cmp_ne_u32_e64 s0, 0, v24
	s_delay_alu instid0(VALU_DEP_1)
	v_cndmask_b32_e64 v8, 0xc61c4000, v8, s0
	s_branch .LBB259_8
.LBB259_23:
                                        ; implicit-def: $vgpr8_vgpr9_vgpr10_vgpr11_vgpr12_vgpr13_vgpr14_vgpr15
	s_and_not1_b32 vcc_lo, exec_lo, s9
	s_cbranch_vccz .LBB259_5
	s_branch .LBB259_6
.LBB259_24:
	v_mov_b32_e32 v19, 0
.LBB259_25:
	v_cmp_eq_u32_e64 s0, 0, v17
	s_delay_alu instid0(VALU_DEP_1) | instskip(NEXT) | instid1(SALU_CYCLE_1)
	s_and_b32 s0, s0, vcc_lo
	s_and_b32 exec_lo, exec_lo, s0
	s_cbranch_execz .LBB259_29
; %bb.26:
	s_and_not1_b32 vcc_lo, exec_lo, s5
	s_cbranch_vccnz .LBB259_29
; %bb.27:
	v_mul_lo_u32 v0, v16, s8
	v_cmp_lt_f32_e32 vcc_lo, 0, v19
	v_cndmask_b32_e32 v2, 1.0, v19, vcc_lo
	s_delay_alu instid0(VALU_DEP_3) | instskip(NEXT) | instid1(VALU_DEP_1)
	v_ashrrev_i32_e32 v1, 31, v0
	v_lshlrev_b64 v[0:1], 2, v[0:1]
	s_delay_alu instid0(VALU_DEP_1) | instskip(NEXT) | instid1(VALU_DEP_2)
	v_add_co_u32 v0, vcc_lo, s16, v0
	v_add_co_ci_u32_e32 v1, vcc_lo, s17, v1, vcc_lo
	.p2align	6
.LBB259_28:                             ; =>This Inner Loop Header: Depth=1
	global_load_b32 v3, v[0:1], off
	s_add_i32 s8, s8, -1
	s_delay_alu instid0(SALU_CYCLE_1) | instskip(SKIP_3) | instid1(VALU_DEP_2)
	s_cmp_lg_u32 s8, 0
	s_waitcnt vmcnt(0)
	v_div_scale_f32 v4, null, v2, v2, v3
	v_div_scale_f32 v7, vcc_lo, v3, v2, v3
	v_rcp_f32_e32 v5, v4
	s_waitcnt_depctr 0xfff
	v_fma_f32 v6, -v4, v5, 1.0
	s_delay_alu instid0(VALU_DEP_1) | instskip(NEXT) | instid1(VALU_DEP_1)
	v_fmac_f32_e32 v5, v6, v5
	v_mul_f32_e32 v6, v7, v5
	s_delay_alu instid0(VALU_DEP_1) | instskip(NEXT) | instid1(VALU_DEP_1)
	v_fma_f32 v8, -v4, v6, v7
	v_fmac_f32_e32 v6, v8, v5
	s_delay_alu instid0(VALU_DEP_1) | instskip(NEXT) | instid1(VALU_DEP_1)
	v_fma_f32 v4, -v4, v6, v7
	v_div_fmas_f32 v4, v4, v5, v6
	s_delay_alu instid0(VALU_DEP_1)
	v_div_fixup_f32 v3, v4, v2, v3
	global_store_b32 v[0:1], v3, off
	v_add_co_u32 v0, vcc_lo, v0, 4
	v_add_co_ci_u32_e32 v1, vcc_lo, 0, v1, vcc_lo
	s_cbranch_scc1 .LBB259_28
.LBB259_29:
	s_nop 0
	s_sendmsg sendmsg(MSG_DEALLOC_VGPRS)
	s_endpgm
	.section	.rodata,"a",@progbits
	.p2align	6, 0x0
	.amdhsa_kernel _ZN4vllm3moe10topkGatingILi8ELi32ELi4ELi16ELi64Ei6__halfLNS0_11ScoringFuncE1EEEvPKT5_PKbPfiPT4_PiiiibPKf
		.amdhsa_group_segment_fixed_size 0
		.amdhsa_private_segment_fixed_size 0
		.amdhsa_kernarg_size 72
		.amdhsa_user_sgpr_count 15
		.amdhsa_user_sgpr_dispatch_ptr 0
		.amdhsa_user_sgpr_queue_ptr 0
		.amdhsa_user_sgpr_kernarg_segment_ptr 1
		.amdhsa_user_sgpr_dispatch_id 0
		.amdhsa_user_sgpr_private_segment_size 0
		.amdhsa_wavefront_size32 1
		.amdhsa_uses_dynamic_stack 0
		.amdhsa_enable_private_segment 0
		.amdhsa_system_sgpr_workgroup_id_x 1
		.amdhsa_system_sgpr_workgroup_id_y 0
		.amdhsa_system_sgpr_workgroup_id_z 0
		.amdhsa_system_sgpr_workgroup_info 0
		.amdhsa_system_vgpr_workitem_id 1
		.amdhsa_next_free_vgpr 47
		.amdhsa_next_free_sgpr 20
		.amdhsa_reserve_vcc 1
		.amdhsa_float_round_mode_32 0
		.amdhsa_float_round_mode_16_64 0
		.amdhsa_float_denorm_mode_32 3
		.amdhsa_float_denorm_mode_16_64 3
		.amdhsa_dx10_clamp 1
		.amdhsa_ieee_mode 1
		.amdhsa_fp16_overflow 0
		.amdhsa_workgroup_processor_mode 1
		.amdhsa_memory_ordered 1
		.amdhsa_forward_progress 0
		.amdhsa_shared_vgpr_count 0
		.amdhsa_exception_fp_ieee_invalid_op 0
		.amdhsa_exception_fp_denorm_src 0
		.amdhsa_exception_fp_ieee_div_zero 0
		.amdhsa_exception_fp_ieee_overflow 0
		.amdhsa_exception_fp_ieee_underflow 0
		.amdhsa_exception_fp_ieee_inexact 0
		.amdhsa_exception_int_div_zero 0
	.end_amdhsa_kernel
	.section	.text._ZN4vllm3moe10topkGatingILi8ELi32ELi4ELi16ELi64Ei6__halfLNS0_11ScoringFuncE1EEEvPKT5_PKbPfiPT4_PiiiibPKf,"axG",@progbits,_ZN4vllm3moe10topkGatingILi8ELi32ELi4ELi16ELi64Ei6__halfLNS0_11ScoringFuncE1EEEvPKT5_PKbPfiPT4_PiiiibPKf,comdat
.Lfunc_end259:
	.size	_ZN4vllm3moe10topkGatingILi8ELi32ELi4ELi16ELi64Ei6__halfLNS0_11ScoringFuncE1EEEvPKT5_PKbPfiPT4_PiiiibPKf, .Lfunc_end259-_ZN4vllm3moe10topkGatingILi8ELi32ELi4ELi16ELi64Ei6__halfLNS0_11ScoringFuncE1EEEvPKT5_PKbPfiPT4_PiiiibPKf
                                        ; -- End function
	.section	.AMDGPU.csdata,"",@progbits
; Kernel info:
; codeLenInByte = 2728
; NumSgprs: 22
; NumVgprs: 47
; ScratchSize: 0
; MemoryBound: 0
; FloatMode: 240
; IeeeMode: 1
; LDSByteSize: 0 bytes/workgroup (compile time only)
; SGPRBlocks: 2
; VGPRBlocks: 5
; NumSGPRsForWavesPerEU: 22
; NumVGPRsForWavesPerEU: 47
; Occupancy: 16
; WaveLimiterHint : 0
; COMPUTE_PGM_RSRC2:SCRATCH_EN: 0
; COMPUTE_PGM_RSRC2:USER_SGPR: 15
; COMPUTE_PGM_RSRC2:TRAP_HANDLER: 0
; COMPUTE_PGM_RSRC2:TGID_X_EN: 1
; COMPUTE_PGM_RSRC2:TGID_Y_EN: 0
; COMPUTE_PGM_RSRC2:TGID_Z_EN: 0
; COMPUTE_PGM_RSRC2:TIDIG_COMP_CNT: 1
	.section	.text._ZN4vllm3moe10topkGatingILi8ELi32ELi4ELi16ELi32Ei6__halfLNS0_11ScoringFuncE1EEEvPKT5_PKbPfiPT4_PiiiibPKf,"axG",@progbits,_ZN4vllm3moe10topkGatingILi8ELi32ELi4ELi16ELi32Ei6__halfLNS0_11ScoringFuncE1EEEvPKT5_PKbPfiPT4_PiiiibPKf,comdat
	.protected	_ZN4vllm3moe10topkGatingILi8ELi32ELi4ELi16ELi32Ei6__halfLNS0_11ScoringFuncE1EEEvPKT5_PKbPfiPT4_PiiiibPKf ; -- Begin function _ZN4vllm3moe10topkGatingILi8ELi32ELi4ELi16ELi32Ei6__halfLNS0_11ScoringFuncE1EEEvPKT5_PKbPfiPT4_PiiiibPKf
	.globl	_ZN4vllm3moe10topkGatingILi8ELi32ELi4ELi16ELi32Ei6__halfLNS0_11ScoringFuncE1EEEvPKT5_PKbPfiPT4_PiiiibPKf
	.p2align	8
	.type	_ZN4vllm3moe10topkGatingILi8ELi32ELi4ELi16ELi32Ei6__halfLNS0_11ScoringFuncE1EEEvPKT5_PKbPfiPT4_PiiiibPKf,@function
_ZN4vllm3moe10topkGatingILi8ELi32ELi4ELi16ELi32Ei6__halfLNS0_11ScoringFuncE1EEEvPKT5_PKbPfiPT4_PiiiibPKf: ; @_ZN4vllm3moe10topkGatingILi8ELi32ELi4ELi16ELi32Ei6__halfLNS0_11ScoringFuncE1EEEvPKT5_PKbPfiPT4_PiiiibPKf
; %bb.0:
	s_load_b32 s18, s[0:1], 0x18
	v_bfe_u32 v1, v0, 10, 10
	v_and_b32_e32 v0, 0x3ff, v0
	s_lshl_b32 s2, s15, 5
	s_delay_alu instid0(VALU_DEP_2) | instskip(NEXT) | instid1(VALU_DEP_2)
	v_lshlrev_b32_e32 v1, 3, v1
	v_lshrrev_b32_e32 v2, 2, v0
	s_delay_alu instid0(VALU_DEP_1) | instskip(SKIP_2) | instid1(VALU_DEP_1)
	v_add3_u32 v16, s2, v1, v2
	s_mov_b32 s2, exec_lo
	s_waitcnt lgkmcnt(0)
	v_cmpx_gt_i32_e64 s18, v16
	s_cbranch_execz .LBB260_29
; %bb.1:
	s_clause 0x1
	s_load_b128 s[4:7], s[0:1], 0x0
	s_load_b64 s[16:17], s[0:1], 0x10
	s_mov_b32 s9, -1
	s_mov_b32 s19, -1
	s_waitcnt lgkmcnt(0)
	s_cmp_eq_u64 s[6:7], 0
	s_cbranch_scc1 .LBB260_3
; %bb.2:
	v_ashrrev_i32_e32 v2, 31, v16
	v_add_co_u32 v1, vcc_lo, s6, v16
	s_delay_alu instid0(VALU_DEP_2) | instskip(SKIP_3) | instid1(VALU_DEP_1)
	v_add_co_ci_u32_e32 v2, vcc_lo, s7, v2, vcc_lo
	global_load_u8 v1, v[1:2], off
	s_waitcnt vmcnt(0)
	v_and_b32_e32 v1, 1, v1
	v_cmp_eq_u32_e32 vcc_lo, 1, v1
	s_xor_b32 s2, vcc_lo, -1
	s_delay_alu instid0(SALU_CYCLE_1)
	s_or_not1_b32 s19, s2, exec_lo
.LBB260_3:
	v_lshlrev_b32_e32 v1, 5, v16
	v_and_b32_e32 v17, 3, v0
	s_load_b64 s[10:11], s[0:1], 0x40
	s_delay_alu instid0(VALU_DEP_2) | instskip(NEXT) | instid1(VALU_DEP_1)
	v_ashrrev_i32_e32 v2, 31, v1
	v_lshlrev_b64 v[0:1], 1, v[1:2]
	s_delay_alu instid0(VALU_DEP_3) | instskip(NEXT) | instid1(VALU_DEP_2)
	v_lshlrev_b32_e32 v2, 4, v17
	v_add_co_u32 v0, vcc_lo, s4, v0
	s_delay_alu instid0(VALU_DEP_3) | instskip(NEXT) | instid1(VALU_DEP_2)
	v_add_co_ci_u32_e32 v1, vcc_lo, s5, v1, vcc_lo
	v_add_co_u32 v0, vcc_lo, v0, v2
	s_delay_alu instid0(VALU_DEP_2)
	v_add_co_ci_u32_e32 v1, vcc_lo, 0, v1, vcc_lo
	s_waitcnt lgkmcnt(0)
	s_cmp_eq_u64 s[10:11], 0
	global_load_b128 v[0:3], v[0:1], off
	s_waitcnt vmcnt(0)
	v_cvt_f32_f16_e32 v4, v0
	v_lshrrev_b32_e32 v0, 16, v0
	v_cvt_f32_f16_e32 v5, v1
	v_lshrrev_b32_e32 v1, 16, v1
	;; [unrolled: 2-line block ×4, first 2 shown]
	v_dual_mul_f32 v4, 0xbfb8aa3b, v4 :: v_dual_mul_f32 v5, 0xbfb8aa3b, v5
	v_cvt_f32_f16_e32 v0, v0
	v_cvt_f32_f16_e32 v1, v1
	;; [unrolled: 1-line block ×4, first 2 shown]
	v_dual_mul_f32 v6, 0xbfb8aa3b, v6 :: v_dual_mul_f32 v7, 0xbfb8aa3b, v7
	v_exp_f32_e32 v4, v4
	v_dual_mul_f32 v0, 0xbfb8aa3b, v0 :: v_dual_mul_f32 v1, 0xbfb8aa3b, v1
	v_exp_f32_e32 v5, v5
	s_delay_alu instid0(VALU_DEP_2)
	v_exp_f32_e32 v6, v6
	v_mul_f32_e32 v2, 0xbfb8aa3b, v2
	v_exp_f32_e32 v7, v7
	v_dual_mul_f32 v3, 0xbfb8aa3b, v3 :: v_dual_lshlrev_b32 v18, 3, v17
	v_exp_f32_e32 v0, v0
	v_exp_f32_e32 v1, v1
	;; [unrolled: 1-line block ×3, first 2 shown]
	s_delay_alu instid0(VALU_DEP_1) | instskip(SKIP_2) | instid1(VALU_DEP_2)
	v_exp_f32_e32 v3, v3
	v_dual_add_f32 v4, 1.0, v4 :: v_dual_add_f32 v5, 1.0, v5
	v_dual_add_f32 v6, 1.0, v6 :: v_dual_add_f32 v7, 1.0, v7
	v_div_scale_f32 v8, null, v4, v4, 1.0
	s_delay_alu instid0(TRANS32_DEP_3) | instskip(NEXT) | instid1(VALU_DEP_4)
	v_dual_add_f32 v0, 1.0, v0 :: v_dual_add_f32 v1, 1.0, v1
	v_div_scale_f32 v10, null, v5, v5, 1.0
	s_delay_alu instid0(VALU_DEP_4) | instskip(NEXT) | instid1(TRANS32_DEP_1)
	v_div_scale_f32 v12, null, v6, v6, 1.0
	v_dual_add_f32 v14, 1.0, v2 :: v_dual_add_f32 v19, 1.0, v3
	v_div_scale_f32 v2, null, v7, v7, 1.0
	v_rcp_f32_e32 v3, v8
	v_div_scale_f32 v20, null, v0, v0, 1.0
	v_rcp_f32_e32 v22, v10
	v_div_scale_f32 v23, null, v1, v1, 1.0
	v_rcp_f32_e32 v25, v12
	v_rcp_f32_e32 v28, v2
	v_div_scale_f32 v29, null, v19, v19, 1.0
	v_rcp_f32_e32 v30, v20
	v_div_scale_f32 v26, null, v14, v14, 1.0
	v_rcp_f32_e32 v32, v23
	v_fma_f32 v34, -v8, v3, 1.0
	v_rcp_f32_e32 v35, v29
	v_div_scale_f32 v9, vcc_lo, 1.0, v4, 1.0
	v_rcp_f32_e32 v33, v26
	v_fma_f32 v36, -v10, v22, 1.0
	v_fma_f32 v37, -v12, v25, 1.0
	;; [unrolled: 1-line block ×3, first 2 shown]
	v_fmac_f32_e32 v3, v34, v3
	v_fma_f32 v34, -v20, v30, 1.0
	v_fmac_f32_e32 v22, v36, v22
	v_div_scale_f32 v11, s2, 1.0, v5, 1.0
	v_fma_f32 v36, -v23, v32, 1.0
	v_dual_fmac_f32 v25, v37, v25 :: v_dual_fmac_f32 v28, v38, v28
	v_fma_f32 v38, -v29, v35, 1.0
	v_dual_mul_f32 v39, v9, v3 :: v_dual_fmac_f32 v30, v34, v30
	v_div_scale_f32 v21, s5, 1.0, v0, 1.0
	v_div_scale_f32 v24, s6, 1.0, v1, 1.0
	v_fma_f32 v37, -v26, v33, 1.0
	v_mul_f32_e32 v34, v11, v22
	v_dual_fmac_f32 v32, v36, v32 :: v_dual_fmac_f32 v35, v38, v35
	v_fma_f32 v38, -v8, v39, v9
	v_mul_f32_e32 v40, v21, v30
	v_div_scale_f32 v13, s3, 1.0, v6, 1.0
	v_div_scale_f32 v15, s4, 1.0, v7, 1.0
	s_delay_alu instid0(VALU_DEP_4)
	v_fmac_f32_e32 v39, v38, v3
	v_fmac_f32_e32 v33, v37, v33
	v_fma_f32 v41, -v10, v34, v11
	v_mul_f32_e32 v42, v24, v32
	v_fma_f32 v38, -v20, v40, v21
	v_div_scale_f32 v27, s7, 1.0, v14, 1.0
	v_dual_mul_f32 v36, v13, v25 :: v_dual_mul_f32 v37, v15, v28
	v_fmac_f32_e32 v34, v41, v22
	v_fma_f32 v41, -v23, v42, v24
	v_fma_f32 v8, -v8, v39, v9
	v_fmac_f32_e32 v40, v38, v30
	v_fma_f32 v43, -v12, v36, v13
	v_fma_f32 v45, -v2, v37, v15
	v_mul_f32_e32 v44, v27, v33
	v_fmac_f32_e32 v42, v41, v32
	v_div_fmas_f32 v3, v8, v3, v39
	v_fma_f32 v8, -v20, v40, v21
	v_fmac_f32_e32 v37, v45, v28
	v_fma_f32 v9, -v10, v34, v11
	v_fmac_f32_e32 v36, v43, v25
	v_fma_f32 v43, -v26, v44, v27
	s_mov_b32 vcc_lo, s5
	v_fma_f32 v11, -v23, v42, v24
	v_div_fixup_f32 v3, v3, v4, 1.0
	v_div_fmas_f32 v4, v8, v30, v40
	s_mov_b32 vcc_lo, s2
	v_fmac_f32_e32 v44, v43, v33
	v_div_fmas_f32 v8, v9, v22, v34
	s_mov_b32 vcc_lo, s6
	v_fma_f32 v10, -v12, v36, v13
	v_div_fmas_f32 v9, v11, v32, v42
	v_cmp_class_f32_e64 vcc_lo, v3, 0x1f8
	v_fma_f32 v12, -v26, v44, v27
	v_div_fixup_f32 v4, v4, v0, 1.0
	v_div_scale_f32 v31, s8, 1.0, v19, 1.0
	v_cndmask_b32_e32 v0, 0, v3, vcc_lo
	s_mov_b32 vcc_lo, s3
	v_fma_f32 v2, -v2, v37, v15
	v_div_fmas_f32 v3, v10, v25, v36
	s_mov_b32 vcc_lo, s7
	v_div_fixup_f32 v5, v8, v5, 1.0
	v_div_fmas_f32 v8, v12, v33, v44
	s_mov_b32 vcc_lo, s4
	v_div_fixup_f32 v9, v9, v1, 1.0
	v_div_fmas_f32 v10, v2, v28, v37
	v_cmp_class_f32_e64 vcc_lo, v4, 0x1f8
	v_mul_f32_e32 v46, v31, v35
	s_delay_alu instid0(VALU_DEP_3) | instskip(SKIP_1) | instid1(VALU_DEP_3)
	v_div_fixup_f32 v7, v10, v7, 1.0
	v_cndmask_b32_e32 v1, 0, v4, vcc_lo
	v_fma_f32 v45, -v29, v46, v31
	s_mov_b32 vcc_lo, s8
	v_div_fixup_f32 v4, v3, v6, 1.0
	s_delay_alu instid0(VALU_DEP_2) | instskip(NEXT) | instid1(VALU_DEP_1)
	v_fmac_f32_e32 v46, v45, v35
	v_fma_f32 v13, -v29, v46, v31
	s_delay_alu instid0(VALU_DEP_1)
	v_div_fmas_f32 v6, v13, v35, v46
	v_cmp_class_f32_e64 vcc_lo, v5, 0x1f8
	v_cndmask_b32_e32 v2, 0, v5, vcc_lo
	v_cmp_class_f32_e64 vcc_lo, v9, 0x1f8
	v_div_fixup_f32 v5, v8, v14, 1.0
	v_div_fixup_f32 v8, v6, v19, 1.0
	v_cndmask_b32_e32 v3, 0, v9, vcc_lo
	v_cmp_class_f32_e64 vcc_lo, v4, 0x1f8
	v_cndmask_b32_e32 v4, 0, v4, vcc_lo
	v_cmp_class_f32_e64 vcc_lo, v5, 0x1f8
	;; [unrolled: 2-line block ×4, first 2 shown]
	v_cndmask_b32_e32 v7, 0, v8, vcc_lo
	s_cbranch_scc1 .LBB260_23
; %bb.4:
	v_lshlrev_b32_e32 v12, 2, v18
	s_clause 0x1
	global_load_b128 v[8:11], v12, s[10:11]
	global_load_b128 v[12:15], v12, s[10:11] offset:16
	s_waitcnt vmcnt(1)
	v_dual_add_f32 v9, v9, v1 :: v_dual_add_f32 v8, v8, v0
	v_dual_add_f32 v11, v11, v3 :: v_dual_add_f32 v10, v10, v2
	s_waitcnt vmcnt(0)
	v_dual_add_f32 v13, v13, v5 :: v_dual_add_f32 v12, v12, v4
	v_dual_add_f32 v15, v15, v7 :: v_dual_add_f32 v14, v14, v6
	s_cbranch_execnz .LBB260_6
.LBB260_5:
	v_dual_mov_b32 v15, v7 :: v_dual_mov_b32 v14, v6
	v_dual_mov_b32 v13, v5 :: v_dual_mov_b32 v12, v4
	;; [unrolled: 1-line block ×4, first 2 shown]
.LBB260_6:
	s_load_b128 s[8:11], s[0:1], 0x30
	v_cmp_eq_u32_e64 s2, 0, v17
	s_mov_b32 s6, 0
	s_waitcnt lgkmcnt(0)
	s_bitcmp1_b32 s11, 0
	s_cselect_b32 vcc_lo, -1, 0
	s_cmp_gt_i32 s8, 0
	s_cselect_b32 s5, -1, 0
	s_cmp_lt_i32 s8, 1
	s_cbranch_scc1 .LBB260_24
; %bb.7:
	v_mbcnt_lo_u32_b32 v19, -1, 0
	s_load_b128 s[12:15], s[0:1], 0x20
	s_delay_alu instid0(VALU_DEP_1) | instskip(SKIP_2) | instid1(VALU_DEP_3)
	v_dual_mov_b32 v23, v16 :: v_dual_and_b32 v20, 28, v19
	v_xor_b32_e32 v21, 2, v19
	v_xor_b32_e32 v22, 1, v19
	v_add_nc_u32_e32 v20, 4, v20
	s_delay_alu instid0(VALU_DEP_1) | instskip(NEXT) | instid1(VALU_DEP_1)
	v_cmp_lt_i32_e64 s0, v21, v20
	v_cndmask_b32_e64 v21, v19, v21, s0
	s_delay_alu instid0(VALU_DEP_4) | instskip(SKIP_1) | instid1(VALU_DEP_3)
	v_cmp_lt_i32_e64 s0, v22, v20
	v_mul_lo_u32 v20, v16, s8
	v_lshlrev_b32_e32 v21, 2, v21
	s_delay_alu instid0(VALU_DEP_3) | instskip(NEXT) | instid1(VALU_DEP_1)
	v_cndmask_b32_e64 v22, v19, v22, s0
	v_dual_mov_b32 v19, 0 :: v_dual_lshlrev_b32 v22, 2, v22
	s_branch .LBB260_10
.LBB260_8:                              ;   in Loop: Header=BB260_10 Depth=1
	s_or_b32 exec_lo, exec_lo, s1
.LBB260_9:                              ;   in Loop: Header=BB260_10 Depth=1
	v_add_nc_u32_e32 v23, s18, v23
	s_cmp_eq_u32 s8, s6
	s_cbranch_scc1 .LBB260_25
.LBB260_10:                             ; =>This Inner Loop Header: Depth=1
	v_cmp_gt_f32_e64 s0, v9, v8
	s_delay_alu instid0(VALU_DEP_1) | instskip(SKIP_2) | instid1(VALU_DEP_3)
	v_cndmask_b32_e64 v25, v8, v9, s0
	v_cndmask_b32_e64 v24, 0, 1, s0
	;; [unrolled: 1-line block ×3, first 2 shown]
	v_cmp_gt_f32_e64 s1, v10, v25
	s_delay_alu instid0(VALU_DEP_1) | instskip(NEXT) | instid1(VALU_DEP_4)
	v_cndmask_b32_e64 v25, v25, v10, s1
	v_cndmask_b32_e64 v24, v24, 2, s1
	s_delay_alu instid0(VALU_DEP_4) | instskip(NEXT) | instid1(VALU_DEP_3)
	v_cndmask_b32_e64 v26, v26, v2, s1
	v_cmp_gt_f32_e64 s3, v11, v25
	s_delay_alu instid0(VALU_DEP_1) | instskip(NEXT) | instid1(VALU_DEP_4)
	v_cndmask_b32_e64 v25, v25, v11, s3
	v_cndmask_b32_e64 v24, v24, 3, s3
	s_delay_alu instid0(VALU_DEP_4) | instskip(NEXT) | instid1(VALU_DEP_3)
	v_cndmask_b32_e64 v26, v26, v3, s3
	v_cmp_gt_f32_e64 s4, v12, v25
	s_delay_alu instid0(VALU_DEP_1) | instskip(NEXT) | instid1(VALU_DEP_4)
	v_cndmask_b32_e64 v25, v25, v12, s4
	v_cndmask_b32_e64 v24, v24, 4, s4
	s_delay_alu instid0(VALU_DEP_4) | instskip(SKIP_1) | instid1(VALU_DEP_3)
	v_cndmask_b32_e64 v26, v26, v4, s4
	s_mov_b32 s4, exec_lo
	v_cmp_gt_f32_e64 s0, v13, v25
	s_delay_alu instid0(VALU_DEP_1) | instskip(SKIP_2) | instid1(VALU_DEP_3)
	v_cndmask_b32_e64 v25, v25, v13, s0
	v_cndmask_b32_e64 v24, v24, 5, s0
	v_cndmask_b32_e64 v26, v26, v5, s0
	v_cmp_gt_f32_e64 s1, v14, v25
	s_delay_alu instid0(VALU_DEP_1) | instskip(NEXT) | instid1(VALU_DEP_4)
	v_cndmask_b32_e64 v25, v25, v14, s1
	v_cndmask_b32_e64 v24, v24, 6, s1
	s_waitcnt lgkmcnt(0)
	v_cndmask_b32_e64 v27, v26, v6, s1
	s_delay_alu instid0(VALU_DEP_3) | instskip(NEXT) | instid1(VALU_DEP_1)
	v_cmp_gt_f32_e64 s0, v15, v25
	v_cndmask_b32_e64 v24, v24, 7, s0
	v_cndmask_b32_e64 v26, v25, v15, s0
	s_delay_alu instid0(VALU_DEP_4) | instskip(NEXT) | instid1(VALU_DEP_3)
	v_cndmask_b32_e64 v25, v27, v7, s0
	v_or_b32_e32 v24, v18, v24
	ds_bpermute_b32 v27, v21, v26
	ds_bpermute_b32 v29, v21, v25
	ds_bpermute_b32 v28, v21, v24
	s_waitcnt lgkmcnt(0)
	v_cmp_lt_f32_e64 s3, v26, v27
	v_cmpx_nlt_f32_e32 v26, v27
; %bb.11:                               ;   in Loop: Header=BB260_10 Depth=1
	v_cmp_eq_f32_e64 s0, v26, v27
	v_cmp_lt_i32_e64 s1, v28, v24
	s_delay_alu instid0(VALU_DEP_1) | instskip(SKIP_2) | instid1(SALU_CYCLE_1)
	s_and_b32 s0, s0, s1
	s_and_not1_b32 s1, s3, exec_lo
	s_and_b32 s0, s0, exec_lo
	s_or_b32 s3, s1, s0
; %bb.12:                               ;   in Loop: Header=BB260_10 Depth=1
	s_or_b32 exec_lo, exec_lo, s4
	s_and_saveexec_b32 s0, s3
; %bb.13:                               ;   in Loop: Header=BB260_10 Depth=1
	v_dual_mov_b32 v25, v29 :: v_dual_mov_b32 v26, v27
	v_mov_b32_e32 v24, v28
; %bb.14:                               ;   in Loop: Header=BB260_10 Depth=1
	s_or_b32 exec_lo, exec_lo, s0
	ds_bpermute_b32 v29, v22, v26
	ds_bpermute_b32 v27, v22, v25
	;; [unrolled: 1-line block ×3, first 2 shown]
	s_mov_b32 s4, exec_lo
	s_waitcnt lgkmcnt(2)
	v_cmp_lt_f32_e64 s3, v26, v29
	v_cmpx_nlt_f32_e32 v26, v29
	s_cbranch_execnz .LBB260_18
; %bb.15:                               ;   in Loop: Header=BB260_10 Depth=1
	s_or_b32 exec_lo, exec_lo, s4
	s_delay_alu instid0(VALU_DEP_2)
	s_and_saveexec_b32 s0, s3
	s_cbranch_execnz .LBB260_19
.LBB260_16:                             ;   in Loop: Header=BB260_10 Depth=1
	s_or_b32 exec_lo, exec_lo, s0
	s_and_saveexec_b32 s3, s2
	s_cbranch_execnz .LBB260_20
.LBB260_17:                             ;   in Loop: Header=BB260_10 Depth=1
	s_or_b32 exec_lo, exec_lo, s3
	s_add_i32 s6, s6, 1
	s_delay_alu instid0(SALU_CYCLE_1)
	s_cmp_ge_i32 s6, s8
	s_cbranch_scc1 .LBB260_9
	s_branch .LBB260_21
.LBB260_18:                             ;   in Loop: Header=BB260_10 Depth=1
	v_cmp_eq_f32_e64 s0, v26, v29
	s_waitcnt lgkmcnt(0)
	v_cmp_lt_i32_e64 s1, v28, v24
	s_delay_alu instid0(VALU_DEP_1) | instskip(SKIP_2) | instid1(SALU_CYCLE_1)
	s_and_b32 s0, s0, s1
	s_and_not1_b32 s1, s3, exec_lo
	s_and_b32 s0, s0, exec_lo
	s_or_b32 s3, s1, s0
	s_or_b32 exec_lo, exec_lo, s4
	s_and_saveexec_b32 s0, s3
	s_cbranch_execz .LBB260_16
.LBB260_19:                             ;   in Loop: Header=BB260_10 Depth=1
	s_waitcnt lgkmcnt(0)
	v_dual_mov_b32 v24, v28 :: v_dual_mov_b32 v25, v27
	s_or_b32 exec_lo, exec_lo, s0
	s_and_saveexec_b32 s3, s2
	s_cbranch_execz .LBB260_17
.LBB260_20:                             ;   in Loop: Header=BB260_10 Depth=1
	s_delay_alu instid0(VALU_DEP_1)
	v_dual_add_f32 v33, v19, v25 :: v_dual_add_nc_u32 v26, s6, v20
	v_cmp_le_i32_e64 s0, s9, v24
	v_cmp_gt_i32_e64 s1, s10, v24
	s_waitcnt lgkmcnt(0)
	v_subrev_nc_u32_e32 v28, s9, v24
	v_ashrrev_i32_e32 v27, 31, v26
	v_cndmask_b32_e32 v19, v19, v33, vcc_lo
	s_and_b32 s0, s0, s1
	s_delay_alu instid0(SALU_CYCLE_1) | instskip(NEXT) | instid1(VALU_DEP_2)
	s_and_b32 s0, s19, s0
	v_lshlrev_b64 v[26:27], 2, v[26:27]
	v_cndmask_b32_e64 v32, 32, v28, s0
	s_delay_alu instid0(VALU_DEP_2) | instskip(NEXT) | instid1(VALU_DEP_1)
	v_add_co_u32 v28, s0, s16, v26
	v_add_co_ci_u32_e64 v29, s0, s17, v27, s0
	v_add_co_u32 v30, s0, s12, v26
	s_delay_alu instid0(VALU_DEP_1) | instskip(SKIP_1) | instid1(VALU_DEP_1)
	v_add_co_ci_u32_e64 v31, s0, s13, v27, s0
	v_add_co_u32 v26, s0, s14, v26
	v_add_co_ci_u32_e64 v27, s0, s15, v27, s0
	global_store_b32 v[28:29], v25, off
	global_store_b32 v[30:31], v32, off
	;; [unrolled: 1-line block ×3, first 2 shown]
	s_or_b32 exec_lo, exec_lo, s3
	s_add_i32 s6, s6, 1
	s_delay_alu instid0(SALU_CYCLE_1)
	s_cmp_ge_i32 s6, s8
	s_cbranch_scc1 .LBB260_9
.LBB260_21:                             ;   in Loop: Header=BB260_10 Depth=1
	v_ashrrev_i32_e32 v26, 31, v24
	s_mov_b32 s1, exec_lo
	s_delay_alu instid0(VALU_DEP_1) | instskip(NEXT) | instid1(VALU_DEP_1)
	v_lshrrev_b32_e32 v25, 29, v26
	v_add_nc_u32_e32 v25, v24, v25
	s_delay_alu instid0(VALU_DEP_1) | instskip(SKIP_1) | instid1(VALU_DEP_1)
	v_ashrrev_i32_e32 v25, 3, v25
	s_waitcnt lgkmcnt(1)
	v_lshrrev_b32_e32 v27, 30, v25
	s_delay_alu instid0(VALU_DEP_1) | instskip(NEXT) | instid1(VALU_DEP_1)
	v_add_nc_u32_e32 v27, v25, v27
	v_and_b32_e32 v27, -4, v27
	s_delay_alu instid0(VALU_DEP_1) | instskip(NEXT) | instid1(VALU_DEP_1)
	v_sub_nc_u32_e32 v27, v25, v27
	v_cmpx_eq_u32_e64 v17, v27
	s_cbranch_execz .LBB260_8
; %bb.22:                               ;   in Loop: Header=BB260_10 Depth=1
	v_lshrrev_b32_e32 v26, 27, v26
	v_lshlrev_b32_e32 v25, 3, v25
	s_delay_alu instid0(VALU_DEP_2) | instskip(NEXT) | instid1(VALU_DEP_2)
	v_add_nc_u32_e32 v26, v24, v26
	v_sub_nc_u32_e32 v24, v24, v25
	s_delay_alu instid0(VALU_DEP_2) | instskip(NEXT) | instid1(VALU_DEP_1)
	v_ashrrev_i32_e32 v25, 5, v26
	v_lshl_add_u32 v24, v25, 3, v24
	s_delay_alu instid0(VALU_DEP_1) | instskip(NEXT) | instid1(VALU_DEP_1)
	v_cmp_ne_u32_e64 s0, 7, v24
	v_cndmask_b32_e64 v15, 0xc61c4000, v15, s0
	v_cmp_ne_u32_e64 s0, 6, v24
	s_delay_alu instid0(VALU_DEP_1) | instskip(SKIP_1) | instid1(VALU_DEP_1)
	v_cndmask_b32_e64 v14, 0xc61c4000, v14, s0
	v_cmp_ne_u32_e64 s0, 5, v24
	v_cndmask_b32_e64 v13, 0xc61c4000, v13, s0
	v_cmp_ne_u32_e64 s0, 4, v24
	s_delay_alu instid0(VALU_DEP_1) | instskip(SKIP_1) | instid1(VALU_DEP_1)
	v_cndmask_b32_e64 v12, 0xc61c4000, v12, s0
	;; [unrolled: 5-line block ×3, first 2 shown]
	v_cmp_ne_u32_e64 s0, 1, v24
	v_cndmask_b32_e64 v9, 0xc61c4000, v9, s0
	v_cmp_ne_u32_e64 s0, 0, v24
	s_delay_alu instid0(VALU_DEP_1)
	v_cndmask_b32_e64 v8, 0xc61c4000, v8, s0
	s_branch .LBB260_8
.LBB260_23:
                                        ; implicit-def: $vgpr8_vgpr9_vgpr10_vgpr11_vgpr12_vgpr13_vgpr14_vgpr15
	s_and_not1_b32 vcc_lo, exec_lo, s9
	s_cbranch_vccz .LBB260_5
	s_branch .LBB260_6
.LBB260_24:
	v_mov_b32_e32 v19, 0
.LBB260_25:
	v_cmp_eq_u32_e64 s0, 0, v17
	s_delay_alu instid0(VALU_DEP_1) | instskip(NEXT) | instid1(SALU_CYCLE_1)
	s_and_b32 s0, s0, vcc_lo
	s_and_b32 exec_lo, exec_lo, s0
	s_cbranch_execz .LBB260_29
; %bb.26:
	s_and_not1_b32 vcc_lo, exec_lo, s5
	s_cbranch_vccnz .LBB260_29
; %bb.27:
	v_mul_lo_u32 v0, v16, s8
	v_cmp_lt_f32_e32 vcc_lo, 0, v19
	v_cndmask_b32_e32 v2, 1.0, v19, vcc_lo
	s_delay_alu instid0(VALU_DEP_3) | instskip(NEXT) | instid1(VALU_DEP_1)
	v_ashrrev_i32_e32 v1, 31, v0
	v_lshlrev_b64 v[0:1], 2, v[0:1]
	s_delay_alu instid0(VALU_DEP_1) | instskip(NEXT) | instid1(VALU_DEP_2)
	v_add_co_u32 v0, vcc_lo, s16, v0
	v_add_co_ci_u32_e32 v1, vcc_lo, s17, v1, vcc_lo
	.p2align	6
.LBB260_28:                             ; =>This Inner Loop Header: Depth=1
	global_load_b32 v3, v[0:1], off
	s_add_i32 s8, s8, -1
	s_delay_alu instid0(SALU_CYCLE_1) | instskip(SKIP_3) | instid1(VALU_DEP_2)
	s_cmp_lg_u32 s8, 0
	s_waitcnt vmcnt(0)
	v_div_scale_f32 v4, null, v2, v2, v3
	v_div_scale_f32 v7, vcc_lo, v3, v2, v3
	v_rcp_f32_e32 v5, v4
	s_waitcnt_depctr 0xfff
	v_fma_f32 v6, -v4, v5, 1.0
	s_delay_alu instid0(VALU_DEP_1) | instskip(NEXT) | instid1(VALU_DEP_1)
	v_fmac_f32_e32 v5, v6, v5
	v_mul_f32_e32 v6, v7, v5
	s_delay_alu instid0(VALU_DEP_1) | instskip(NEXT) | instid1(VALU_DEP_1)
	v_fma_f32 v8, -v4, v6, v7
	v_fmac_f32_e32 v6, v8, v5
	s_delay_alu instid0(VALU_DEP_1) | instskip(NEXT) | instid1(VALU_DEP_1)
	v_fma_f32 v4, -v4, v6, v7
	v_div_fmas_f32 v4, v4, v5, v6
	s_delay_alu instid0(VALU_DEP_1)
	v_div_fixup_f32 v3, v4, v2, v3
	global_store_b32 v[0:1], v3, off
	v_add_co_u32 v0, vcc_lo, v0, 4
	v_add_co_ci_u32_e32 v1, vcc_lo, 0, v1, vcc_lo
	s_cbranch_scc1 .LBB260_28
.LBB260_29:
	s_nop 0
	s_sendmsg sendmsg(MSG_DEALLOC_VGPRS)
	s_endpgm
	.section	.rodata,"a",@progbits
	.p2align	6, 0x0
	.amdhsa_kernel _ZN4vllm3moe10topkGatingILi8ELi32ELi4ELi16ELi32Ei6__halfLNS0_11ScoringFuncE1EEEvPKT5_PKbPfiPT4_PiiiibPKf
		.amdhsa_group_segment_fixed_size 0
		.amdhsa_private_segment_fixed_size 0
		.amdhsa_kernarg_size 72
		.amdhsa_user_sgpr_count 15
		.amdhsa_user_sgpr_dispatch_ptr 0
		.amdhsa_user_sgpr_queue_ptr 0
		.amdhsa_user_sgpr_kernarg_segment_ptr 1
		.amdhsa_user_sgpr_dispatch_id 0
		.amdhsa_user_sgpr_private_segment_size 0
		.amdhsa_wavefront_size32 1
		.amdhsa_uses_dynamic_stack 0
		.amdhsa_enable_private_segment 0
		.amdhsa_system_sgpr_workgroup_id_x 1
		.amdhsa_system_sgpr_workgroup_id_y 0
		.amdhsa_system_sgpr_workgroup_id_z 0
		.amdhsa_system_sgpr_workgroup_info 0
		.amdhsa_system_vgpr_workitem_id 1
		.amdhsa_next_free_vgpr 47
		.amdhsa_next_free_sgpr 20
		.amdhsa_reserve_vcc 1
		.amdhsa_float_round_mode_32 0
		.amdhsa_float_round_mode_16_64 0
		.amdhsa_float_denorm_mode_32 3
		.amdhsa_float_denorm_mode_16_64 3
		.amdhsa_dx10_clamp 1
		.amdhsa_ieee_mode 1
		.amdhsa_fp16_overflow 0
		.amdhsa_workgroup_processor_mode 1
		.amdhsa_memory_ordered 1
		.amdhsa_forward_progress 0
		.amdhsa_shared_vgpr_count 0
		.amdhsa_exception_fp_ieee_invalid_op 0
		.amdhsa_exception_fp_denorm_src 0
		.amdhsa_exception_fp_ieee_div_zero 0
		.amdhsa_exception_fp_ieee_overflow 0
		.amdhsa_exception_fp_ieee_underflow 0
		.amdhsa_exception_fp_ieee_inexact 0
		.amdhsa_exception_int_div_zero 0
	.end_amdhsa_kernel
	.section	.text._ZN4vllm3moe10topkGatingILi8ELi32ELi4ELi16ELi32Ei6__halfLNS0_11ScoringFuncE1EEEvPKT5_PKbPfiPT4_PiiiibPKf,"axG",@progbits,_ZN4vllm3moe10topkGatingILi8ELi32ELi4ELi16ELi32Ei6__halfLNS0_11ScoringFuncE1EEEvPKT5_PKbPfiPT4_PiiiibPKf,comdat
.Lfunc_end260:
	.size	_ZN4vllm3moe10topkGatingILi8ELi32ELi4ELi16ELi32Ei6__halfLNS0_11ScoringFuncE1EEEvPKT5_PKbPfiPT4_PiiiibPKf, .Lfunc_end260-_ZN4vllm3moe10topkGatingILi8ELi32ELi4ELi16ELi32Ei6__halfLNS0_11ScoringFuncE1EEEvPKT5_PKbPfiPT4_PiiiibPKf
                                        ; -- End function
	.section	.AMDGPU.csdata,"",@progbits
; Kernel info:
; codeLenInByte = 2728
; NumSgprs: 22
; NumVgprs: 47
; ScratchSize: 0
; MemoryBound: 0
; FloatMode: 240
; IeeeMode: 1
; LDSByteSize: 0 bytes/workgroup (compile time only)
; SGPRBlocks: 2
; VGPRBlocks: 5
; NumSGPRsForWavesPerEU: 22
; NumVGPRsForWavesPerEU: 47
; Occupancy: 16
; WaveLimiterHint : 0
; COMPUTE_PGM_RSRC2:SCRATCH_EN: 0
; COMPUTE_PGM_RSRC2:USER_SGPR: 15
; COMPUTE_PGM_RSRC2:TRAP_HANDLER: 0
; COMPUTE_PGM_RSRC2:TGID_X_EN: 1
; COMPUTE_PGM_RSRC2:TGID_Y_EN: 0
; COMPUTE_PGM_RSRC2:TGID_Z_EN: 0
; COMPUTE_PGM_RSRC2:TIDIG_COMP_CNT: 1
	.section	.text._ZN4vllm3moe10topkGatingILi8ELi64ELi4ELi16ELi64Ei6__halfLNS0_11ScoringFuncE1EEEvPKT5_PKbPfiPT4_PiiiibPKf,"axG",@progbits,_ZN4vllm3moe10topkGatingILi8ELi64ELi4ELi16ELi64Ei6__halfLNS0_11ScoringFuncE1EEEvPKT5_PKbPfiPT4_PiiiibPKf,comdat
	.protected	_ZN4vllm3moe10topkGatingILi8ELi64ELi4ELi16ELi64Ei6__halfLNS0_11ScoringFuncE1EEEvPKT5_PKbPfiPT4_PiiiibPKf ; -- Begin function _ZN4vllm3moe10topkGatingILi8ELi64ELi4ELi16ELi64Ei6__halfLNS0_11ScoringFuncE1EEEvPKT5_PKbPfiPT4_PiiiibPKf
	.globl	_ZN4vllm3moe10topkGatingILi8ELi64ELi4ELi16ELi64Ei6__halfLNS0_11ScoringFuncE1EEEvPKT5_PKbPfiPT4_PiiiibPKf
	.p2align	8
	.type	_ZN4vllm3moe10topkGatingILi8ELi64ELi4ELi16ELi64Ei6__halfLNS0_11ScoringFuncE1EEEvPKT5_PKbPfiPT4_PiiiibPKf,@function
_ZN4vllm3moe10topkGatingILi8ELi64ELi4ELi16ELi64Ei6__halfLNS0_11ScoringFuncE1EEEvPKT5_PKbPfiPT4_PiiiibPKf: ; @_ZN4vllm3moe10topkGatingILi8ELi64ELi4ELi16ELi64Ei6__halfLNS0_11ScoringFuncE1EEEvPKT5_PKbPfiPT4_PiiiibPKf
; %bb.0:
	s_load_b32 s18, s[0:1], 0x18
	v_bfe_u32 v1, v0, 10, 10
	v_and_b32_e32 v0, 0x3ff, v0
	s_lshl_b32 s2, s15, 5
	s_delay_alu instid0(VALU_DEP_2) | instskip(NEXT) | instid1(VALU_DEP_2)
	v_lshlrev_b32_e32 v1, 3, v1
	v_lshrrev_b32_e32 v2, 3, v0
	s_delay_alu instid0(VALU_DEP_1) | instskip(SKIP_2) | instid1(VALU_DEP_1)
	v_add3_u32 v16, s2, v1, v2
	s_mov_b32 s2, exec_lo
	s_waitcnt lgkmcnt(0)
	v_cmpx_gt_i32_e64 s18, v16
	s_cbranch_execz .LBB261_33
; %bb.1:
	s_clause 0x1
	s_load_b128 s[4:7], s[0:1], 0x0
	s_load_b64 s[16:17], s[0:1], 0x10
	s_mov_b32 s9, -1
	s_mov_b32 s19, -1
	s_waitcnt lgkmcnt(0)
	s_cmp_eq_u64 s[6:7], 0
	s_cbranch_scc1 .LBB261_3
; %bb.2:
	v_ashrrev_i32_e32 v2, 31, v16
	v_add_co_u32 v1, vcc_lo, s6, v16
	s_delay_alu instid0(VALU_DEP_2) | instskip(SKIP_3) | instid1(VALU_DEP_1)
	v_add_co_ci_u32_e32 v2, vcc_lo, s7, v2, vcc_lo
	global_load_u8 v1, v[1:2], off
	s_waitcnt vmcnt(0)
	v_and_b32_e32 v1, 1, v1
	v_cmp_eq_u32_e32 vcc_lo, 1, v1
	s_xor_b32 s2, vcc_lo, -1
	s_delay_alu instid0(SALU_CYCLE_1)
	s_or_not1_b32 s19, s2, exec_lo
.LBB261_3:
	v_lshlrev_b32_e32 v1, 6, v16
	v_and_b32_e32 v17, 7, v0
	s_load_b64 s[10:11], s[0:1], 0x40
	s_delay_alu instid0(VALU_DEP_2) | instskip(NEXT) | instid1(VALU_DEP_1)
	v_ashrrev_i32_e32 v2, 31, v1
	v_lshlrev_b64 v[0:1], 1, v[1:2]
	s_delay_alu instid0(VALU_DEP_3) | instskip(NEXT) | instid1(VALU_DEP_2)
	v_lshlrev_b32_e32 v2, 4, v17
	v_add_co_u32 v0, vcc_lo, s4, v0
	s_delay_alu instid0(VALU_DEP_3) | instskip(NEXT) | instid1(VALU_DEP_2)
	v_add_co_ci_u32_e32 v1, vcc_lo, s5, v1, vcc_lo
	v_add_co_u32 v0, vcc_lo, v0, v2
	s_delay_alu instid0(VALU_DEP_2)
	v_add_co_ci_u32_e32 v1, vcc_lo, 0, v1, vcc_lo
	s_waitcnt lgkmcnt(0)
	s_cmp_eq_u64 s[10:11], 0
	global_load_b128 v[0:3], v[0:1], off
	s_waitcnt vmcnt(0)
	v_cvt_f32_f16_e32 v4, v0
	v_lshrrev_b32_e32 v0, 16, v0
	v_cvt_f32_f16_e32 v5, v1
	v_lshrrev_b32_e32 v1, 16, v1
	;; [unrolled: 2-line block ×4, first 2 shown]
	v_dual_mul_f32 v4, 0xbfb8aa3b, v4 :: v_dual_mul_f32 v5, 0xbfb8aa3b, v5
	v_cvt_f32_f16_e32 v0, v0
	v_cvt_f32_f16_e32 v1, v1
	;; [unrolled: 1-line block ×4, first 2 shown]
	v_dual_mul_f32 v6, 0xbfb8aa3b, v6 :: v_dual_mul_f32 v7, 0xbfb8aa3b, v7
	v_exp_f32_e32 v4, v4
	v_dual_mul_f32 v0, 0xbfb8aa3b, v0 :: v_dual_mul_f32 v1, 0xbfb8aa3b, v1
	v_exp_f32_e32 v5, v5
	s_delay_alu instid0(VALU_DEP_2)
	v_exp_f32_e32 v6, v6
	v_mul_f32_e32 v2, 0xbfb8aa3b, v2
	v_exp_f32_e32 v7, v7
	v_dual_mul_f32 v3, 0xbfb8aa3b, v3 :: v_dual_lshlrev_b32 v18, 3, v17
	v_exp_f32_e32 v0, v0
	v_exp_f32_e32 v1, v1
	;; [unrolled: 1-line block ×3, first 2 shown]
	s_delay_alu instid0(VALU_DEP_1) | instskip(SKIP_2) | instid1(VALU_DEP_2)
	v_exp_f32_e32 v3, v3
	v_dual_add_f32 v4, 1.0, v4 :: v_dual_add_f32 v5, 1.0, v5
	v_dual_add_f32 v6, 1.0, v6 :: v_dual_add_f32 v7, 1.0, v7
	v_div_scale_f32 v8, null, v4, v4, 1.0
	s_delay_alu instid0(TRANS32_DEP_3) | instskip(NEXT) | instid1(VALU_DEP_4)
	v_dual_add_f32 v0, 1.0, v0 :: v_dual_add_f32 v1, 1.0, v1
	v_div_scale_f32 v10, null, v5, v5, 1.0
	s_delay_alu instid0(VALU_DEP_4) | instskip(NEXT) | instid1(TRANS32_DEP_1)
	v_div_scale_f32 v12, null, v6, v6, 1.0
	v_dual_add_f32 v14, 1.0, v2 :: v_dual_add_f32 v19, 1.0, v3
	v_div_scale_f32 v2, null, v7, v7, 1.0
	v_rcp_f32_e32 v3, v8
	v_div_scale_f32 v20, null, v0, v0, 1.0
	v_rcp_f32_e32 v22, v10
	;; [unrolled: 2-line block ×3, first 2 shown]
	v_rcp_f32_e32 v28, v2
	v_div_scale_f32 v29, null, v19, v19, 1.0
	v_rcp_f32_e32 v30, v20
	v_div_scale_f32 v26, null, v14, v14, 1.0
	v_rcp_f32_e32 v32, v23
	v_fma_f32 v34, -v8, v3, 1.0
	v_rcp_f32_e32 v35, v29
	v_div_scale_f32 v9, vcc_lo, 1.0, v4, 1.0
	v_rcp_f32_e32 v33, v26
	v_fma_f32 v36, -v10, v22, 1.0
	v_fma_f32 v37, -v12, v25, 1.0
	;; [unrolled: 1-line block ×3, first 2 shown]
	v_fmac_f32_e32 v3, v34, v3
	v_fma_f32 v34, -v20, v30, 1.0
	v_fmac_f32_e32 v22, v36, v22
	v_div_scale_f32 v11, s2, 1.0, v5, 1.0
	v_fma_f32 v36, -v23, v32, 1.0
	v_dual_fmac_f32 v25, v37, v25 :: v_dual_fmac_f32 v28, v38, v28
	v_fma_f32 v38, -v29, v35, 1.0
	v_dual_mul_f32 v39, v9, v3 :: v_dual_fmac_f32 v30, v34, v30
	v_div_scale_f32 v21, s5, 1.0, v0, 1.0
	v_div_scale_f32 v24, s6, 1.0, v1, 1.0
	v_fma_f32 v37, -v26, v33, 1.0
	v_mul_f32_e32 v34, v11, v22
	v_dual_fmac_f32 v32, v36, v32 :: v_dual_fmac_f32 v35, v38, v35
	v_fma_f32 v38, -v8, v39, v9
	v_mul_f32_e32 v40, v21, v30
	v_div_scale_f32 v13, s3, 1.0, v6, 1.0
	v_div_scale_f32 v15, s4, 1.0, v7, 1.0
	s_delay_alu instid0(VALU_DEP_4)
	v_fmac_f32_e32 v39, v38, v3
	v_fmac_f32_e32 v33, v37, v33
	v_fma_f32 v41, -v10, v34, v11
	v_mul_f32_e32 v42, v24, v32
	v_fma_f32 v38, -v20, v40, v21
	v_div_scale_f32 v27, s7, 1.0, v14, 1.0
	v_dual_mul_f32 v36, v13, v25 :: v_dual_mul_f32 v37, v15, v28
	v_fmac_f32_e32 v34, v41, v22
	v_fma_f32 v41, -v23, v42, v24
	v_fma_f32 v8, -v8, v39, v9
	v_fmac_f32_e32 v40, v38, v30
	v_fma_f32 v43, -v12, v36, v13
	v_fma_f32 v45, -v2, v37, v15
	v_mul_f32_e32 v44, v27, v33
	v_fmac_f32_e32 v42, v41, v32
	v_div_fmas_f32 v3, v8, v3, v39
	v_fma_f32 v8, -v20, v40, v21
	v_fmac_f32_e32 v37, v45, v28
	v_fma_f32 v9, -v10, v34, v11
	v_fmac_f32_e32 v36, v43, v25
	v_fma_f32 v43, -v26, v44, v27
	s_mov_b32 vcc_lo, s5
	v_fma_f32 v11, -v23, v42, v24
	v_div_fixup_f32 v3, v3, v4, 1.0
	v_div_fmas_f32 v4, v8, v30, v40
	s_mov_b32 vcc_lo, s2
	v_fmac_f32_e32 v44, v43, v33
	v_div_fmas_f32 v8, v9, v22, v34
	s_mov_b32 vcc_lo, s6
	v_fma_f32 v10, -v12, v36, v13
	v_div_fmas_f32 v9, v11, v32, v42
	v_cmp_class_f32_e64 vcc_lo, v3, 0x1f8
	v_fma_f32 v12, -v26, v44, v27
	v_div_fixup_f32 v4, v4, v0, 1.0
	v_div_scale_f32 v31, s8, 1.0, v19, 1.0
	v_cndmask_b32_e32 v0, 0, v3, vcc_lo
	s_mov_b32 vcc_lo, s3
	v_fma_f32 v2, -v2, v37, v15
	v_div_fmas_f32 v3, v10, v25, v36
	s_mov_b32 vcc_lo, s7
	v_div_fixup_f32 v5, v8, v5, 1.0
	v_div_fmas_f32 v8, v12, v33, v44
	s_mov_b32 vcc_lo, s4
	v_div_fixup_f32 v9, v9, v1, 1.0
	v_div_fmas_f32 v10, v2, v28, v37
	v_cmp_class_f32_e64 vcc_lo, v4, 0x1f8
	v_mul_f32_e32 v46, v31, v35
	s_delay_alu instid0(VALU_DEP_3) | instskip(SKIP_1) | instid1(VALU_DEP_3)
	v_div_fixup_f32 v7, v10, v7, 1.0
	v_cndmask_b32_e32 v1, 0, v4, vcc_lo
	v_fma_f32 v45, -v29, v46, v31
	s_mov_b32 vcc_lo, s8
	v_div_fixup_f32 v4, v3, v6, 1.0
	s_delay_alu instid0(VALU_DEP_2) | instskip(NEXT) | instid1(VALU_DEP_1)
	v_fmac_f32_e32 v46, v45, v35
	v_fma_f32 v13, -v29, v46, v31
	s_delay_alu instid0(VALU_DEP_1)
	v_div_fmas_f32 v6, v13, v35, v46
	v_cmp_class_f32_e64 vcc_lo, v5, 0x1f8
	v_cndmask_b32_e32 v2, 0, v5, vcc_lo
	v_cmp_class_f32_e64 vcc_lo, v9, 0x1f8
	v_div_fixup_f32 v5, v8, v14, 1.0
	v_div_fixup_f32 v8, v6, v19, 1.0
	v_cndmask_b32_e32 v3, 0, v9, vcc_lo
	v_cmp_class_f32_e64 vcc_lo, v4, 0x1f8
	v_cndmask_b32_e32 v4, 0, v4, vcc_lo
	v_cmp_class_f32_e64 vcc_lo, v5, 0x1f8
	;; [unrolled: 2-line block ×4, first 2 shown]
	v_cndmask_b32_e32 v7, 0, v8, vcc_lo
	s_cbranch_scc1 .LBB261_27
; %bb.4:
	v_lshlrev_b32_e32 v12, 2, v18
	s_clause 0x1
	global_load_b128 v[8:11], v12, s[10:11]
	global_load_b128 v[12:15], v12, s[10:11] offset:16
	s_waitcnt vmcnt(1)
	v_dual_add_f32 v9, v9, v1 :: v_dual_add_f32 v8, v8, v0
	v_dual_add_f32 v11, v11, v3 :: v_dual_add_f32 v10, v10, v2
	s_waitcnt vmcnt(0)
	v_dual_add_f32 v13, v13, v5 :: v_dual_add_f32 v12, v12, v4
	v_dual_add_f32 v15, v15, v7 :: v_dual_add_f32 v14, v14, v6
	s_cbranch_execnz .LBB261_6
.LBB261_5:
	v_dual_mov_b32 v15, v7 :: v_dual_mov_b32 v14, v6
	v_dual_mov_b32 v13, v5 :: v_dual_mov_b32 v12, v4
	;; [unrolled: 1-line block ×4, first 2 shown]
.LBB261_6:
	s_load_b128 s[8:11], s[0:1], 0x30
	v_cmp_eq_u32_e64 s2, 0, v17
	s_mov_b32 s6, 0
	s_waitcnt lgkmcnt(0)
	s_bitcmp1_b32 s11, 0
	s_cselect_b32 vcc_lo, -1, 0
	s_cmp_gt_i32 s8, 0
	s_cselect_b32 s5, -1, 0
	s_cmp_lt_i32 s8, 1
	s_cbranch_scc1 .LBB261_28
; %bb.7:
	v_mbcnt_lo_u32_b32 v19, -1, 0
	s_load_b128 s[12:15], s[0:1], 0x20
	v_mov_b32_e32 v24, v16
	s_delay_alu instid0(VALU_DEP_2) | instskip(SKIP_3) | instid1(VALU_DEP_4)
	v_and_b32_e32 v20, 24, v19
	v_xor_b32_e32 v21, 4, v19
	v_xor_b32_e32 v22, 2, v19
	;; [unrolled: 1-line block ×3, first 2 shown]
	v_add_nc_u32_e32 v20, 8, v20
	s_delay_alu instid0(VALU_DEP_1) | instskip(NEXT) | instid1(VALU_DEP_1)
	v_cmp_lt_i32_e64 s0, v21, v20
	v_cndmask_b32_e64 v21, v19, v21, s0
	v_cmp_lt_i32_e64 s0, v22, v20
	s_delay_alu instid0(VALU_DEP_2) | instskip(NEXT) | instid1(VALU_DEP_2)
	v_lshlrev_b32_e32 v21, 2, v21
	v_cndmask_b32_e64 v22, v19, v22, s0
	v_cmp_lt_i32_e64 s0, v23, v20
	v_mul_lo_u32 v20, v16, s8
	s_delay_alu instid0(VALU_DEP_3) | instskip(NEXT) | instid1(VALU_DEP_3)
	v_lshlrev_b32_e32 v22, 2, v22
	v_cndmask_b32_e64 v23, v19, v23, s0
	v_mov_b32_e32 v19, 0
	s_delay_alu instid0(VALU_DEP_2)
	v_lshlrev_b32_e32 v23, 2, v23
	s_branch .LBB261_10
.LBB261_8:                              ;   in Loop: Header=BB261_10 Depth=1
	s_or_b32 exec_lo, exec_lo, s1
.LBB261_9:                              ;   in Loop: Header=BB261_10 Depth=1
	v_add_nc_u32_e32 v24, s18, v24
	s_cmp_eq_u32 s8, s6
	s_cbranch_scc1 .LBB261_29
.LBB261_10:                             ; =>This Inner Loop Header: Depth=1
	v_cmp_gt_f32_e64 s0, v9, v8
	s_delay_alu instid0(VALU_DEP_1) | instskip(SKIP_2) | instid1(VALU_DEP_3)
	v_cndmask_b32_e64 v26, v8, v9, s0
	v_cndmask_b32_e64 v25, 0, 1, s0
	;; [unrolled: 1-line block ×3, first 2 shown]
	v_cmp_gt_f32_e64 s1, v10, v26
	s_delay_alu instid0(VALU_DEP_1) | instskip(NEXT) | instid1(VALU_DEP_4)
	v_cndmask_b32_e64 v26, v26, v10, s1
	v_cndmask_b32_e64 v25, v25, 2, s1
	s_delay_alu instid0(VALU_DEP_4) | instskip(NEXT) | instid1(VALU_DEP_3)
	v_cndmask_b32_e64 v27, v27, v2, s1
	v_cmp_gt_f32_e64 s3, v11, v26
	s_delay_alu instid0(VALU_DEP_1) | instskip(NEXT) | instid1(VALU_DEP_4)
	v_cndmask_b32_e64 v26, v26, v11, s3
	v_cndmask_b32_e64 v25, v25, 3, s3
	s_delay_alu instid0(VALU_DEP_4) | instskip(NEXT) | instid1(VALU_DEP_3)
	v_cndmask_b32_e64 v27, v27, v3, s3
	v_cmp_gt_f32_e64 s4, v12, v26
	s_delay_alu instid0(VALU_DEP_1) | instskip(NEXT) | instid1(VALU_DEP_4)
	v_cndmask_b32_e64 v26, v26, v12, s4
	v_cndmask_b32_e64 v25, v25, 4, s4
	s_delay_alu instid0(VALU_DEP_4) | instskip(SKIP_1) | instid1(VALU_DEP_3)
	v_cndmask_b32_e64 v27, v27, v4, s4
	s_mov_b32 s4, exec_lo
	v_cmp_gt_f32_e64 s0, v13, v26
	s_delay_alu instid0(VALU_DEP_1) | instskip(SKIP_2) | instid1(VALU_DEP_3)
	v_cndmask_b32_e64 v26, v26, v13, s0
	v_cndmask_b32_e64 v25, v25, 5, s0
	;; [unrolled: 1-line block ×3, first 2 shown]
	v_cmp_gt_f32_e64 s1, v14, v26
	s_delay_alu instid0(VALU_DEP_1) | instskip(NEXT) | instid1(VALU_DEP_4)
	v_cndmask_b32_e64 v26, v26, v14, s1
	v_cndmask_b32_e64 v25, v25, 6, s1
	s_waitcnt lgkmcnt(0)
	v_cndmask_b32_e64 v28, v27, v6, s1
	s_delay_alu instid0(VALU_DEP_3) | instskip(NEXT) | instid1(VALU_DEP_1)
	v_cmp_gt_f32_e64 s0, v15, v26
	v_cndmask_b32_e64 v25, v25, 7, s0
	v_cndmask_b32_e64 v27, v26, v15, s0
	s_delay_alu instid0(VALU_DEP_4) | instskip(NEXT) | instid1(VALU_DEP_3)
	v_cndmask_b32_e64 v26, v28, v7, s0
	v_or_b32_e32 v25, v18, v25
	ds_bpermute_b32 v28, v21, v27
	ds_bpermute_b32 v30, v21, v26
	;; [unrolled: 1-line block ×3, first 2 shown]
	s_waitcnt lgkmcnt(0)
	v_cmp_lt_f32_e64 s3, v27, v28
	v_cmpx_nlt_f32_e32 v27, v28
; %bb.11:                               ;   in Loop: Header=BB261_10 Depth=1
	v_cmp_eq_f32_e64 s0, v27, v28
	v_cmp_lt_i32_e64 s1, v29, v25
	s_delay_alu instid0(VALU_DEP_1) | instskip(SKIP_2) | instid1(SALU_CYCLE_1)
	s_and_b32 s0, s0, s1
	s_and_not1_b32 s1, s3, exec_lo
	s_and_b32 s0, s0, exec_lo
	s_or_b32 s3, s1, s0
; %bb.12:                               ;   in Loop: Header=BB261_10 Depth=1
	s_or_b32 exec_lo, exec_lo, s4
	s_and_saveexec_b32 s0, s3
; %bb.13:                               ;   in Loop: Header=BB261_10 Depth=1
	v_dual_mov_b32 v26, v30 :: v_dual_mov_b32 v27, v28
	v_mov_b32_e32 v25, v29
; %bb.14:                               ;   in Loop: Header=BB261_10 Depth=1
	s_or_b32 exec_lo, exec_lo, s0
	ds_bpermute_b32 v28, v22, v27
	ds_bpermute_b32 v30, v22, v26
	;; [unrolled: 1-line block ×3, first 2 shown]
	s_mov_b32 s4, exec_lo
	s_waitcnt lgkmcnt(2)
	v_cmp_lt_f32_e64 s3, v27, v28
	v_cmpx_nlt_f32_e32 v27, v28
	s_cbranch_execz .LBB261_16
; %bb.15:                               ;   in Loop: Header=BB261_10 Depth=1
	v_cmp_eq_f32_e64 s0, v27, v28
	s_waitcnt lgkmcnt(0)
	v_cmp_lt_i32_e64 s1, v29, v25
	s_delay_alu instid0(VALU_DEP_1) | instskip(SKIP_2) | instid1(SALU_CYCLE_1)
	s_and_b32 s0, s0, s1
	s_and_not1_b32 s1, s3, exec_lo
	s_and_b32 s0, s0, exec_lo
	s_or_b32 s3, s1, s0
.LBB261_16:                             ;   in Loop: Header=BB261_10 Depth=1
	s_or_b32 exec_lo, exec_lo, s4
	s_delay_alu instid0(VALU_DEP_2)
	s_and_saveexec_b32 s0, s3
	s_cbranch_execz .LBB261_18
; %bb.17:                               ;   in Loop: Header=BB261_10 Depth=1
	s_waitcnt lgkmcnt(1)
	v_dual_mov_b32 v26, v30 :: v_dual_mov_b32 v27, v28
	s_waitcnt lgkmcnt(0)
	v_mov_b32_e32 v25, v29
.LBB261_18:                             ;   in Loop: Header=BB261_10 Depth=1
	s_or_b32 exec_lo, exec_lo, s0
	s_waitcnt lgkmcnt(1)
	ds_bpermute_b32 v30, v23, v27
	ds_bpermute_b32 v28, v23, v26
	s_waitcnt lgkmcnt(2)
	ds_bpermute_b32 v29, v23, v25
	s_mov_b32 s4, exec_lo
	s_waitcnt lgkmcnt(2)
	v_cmp_lt_f32_e64 s3, v27, v30
	v_cmpx_nlt_f32_e32 v27, v30
	s_cbranch_execnz .LBB261_22
; %bb.19:                               ;   in Loop: Header=BB261_10 Depth=1
	s_or_b32 exec_lo, exec_lo, s4
	s_delay_alu instid0(VALU_DEP_2)
	s_and_saveexec_b32 s0, s3
	s_cbranch_execnz .LBB261_23
.LBB261_20:                             ;   in Loop: Header=BB261_10 Depth=1
	s_or_b32 exec_lo, exec_lo, s0
	s_and_saveexec_b32 s3, s2
	s_cbranch_execnz .LBB261_24
.LBB261_21:                             ;   in Loop: Header=BB261_10 Depth=1
	s_or_b32 exec_lo, exec_lo, s3
	s_add_i32 s6, s6, 1
	s_delay_alu instid0(SALU_CYCLE_1)
	s_cmp_ge_i32 s6, s8
	s_cbranch_scc1 .LBB261_9
	s_branch .LBB261_25
.LBB261_22:                             ;   in Loop: Header=BB261_10 Depth=1
	v_cmp_eq_f32_e64 s0, v27, v30
	s_waitcnt lgkmcnt(0)
	v_cmp_lt_i32_e64 s1, v29, v25
	s_delay_alu instid0(VALU_DEP_1) | instskip(SKIP_2) | instid1(SALU_CYCLE_1)
	s_and_b32 s0, s0, s1
	s_and_not1_b32 s1, s3, exec_lo
	s_and_b32 s0, s0, exec_lo
	s_or_b32 s3, s1, s0
	s_or_b32 exec_lo, exec_lo, s4
	s_and_saveexec_b32 s0, s3
	s_cbranch_execz .LBB261_20
.LBB261_23:                             ;   in Loop: Header=BB261_10 Depth=1
	s_waitcnt lgkmcnt(0)
	v_dual_mov_b32 v25, v29 :: v_dual_mov_b32 v26, v28
	s_or_b32 exec_lo, exec_lo, s0
	s_and_saveexec_b32 s3, s2
	s_cbranch_execz .LBB261_21
.LBB261_24:                             ;   in Loop: Header=BB261_10 Depth=1
	s_delay_alu instid0(VALU_DEP_1)
	v_dual_add_f32 v34, v19, v26 :: v_dual_add_nc_u32 v27, s6, v20
	v_cmp_le_i32_e64 s0, s9, v25
	v_cmp_gt_i32_e64 s1, s10, v25
	s_waitcnt lgkmcnt(0)
	v_subrev_nc_u32_e32 v29, s9, v25
	v_ashrrev_i32_e32 v28, 31, v27
	v_cndmask_b32_e32 v19, v19, v34, vcc_lo
	s_and_b32 s0, s0, s1
	s_delay_alu instid0(SALU_CYCLE_1) | instskip(NEXT) | instid1(VALU_DEP_2)
	s_and_b32 s0, s19, s0
	v_lshlrev_b64 v[27:28], 2, v[27:28]
	v_cndmask_b32_e64 v33, 64, v29, s0
	s_delay_alu instid0(VALU_DEP_2) | instskip(NEXT) | instid1(VALU_DEP_1)
	v_add_co_u32 v29, s0, s16, v27
	v_add_co_ci_u32_e64 v30, s0, s17, v28, s0
	v_add_co_u32 v31, s0, s12, v27
	s_delay_alu instid0(VALU_DEP_1) | instskip(SKIP_1) | instid1(VALU_DEP_1)
	v_add_co_ci_u32_e64 v32, s0, s13, v28, s0
	v_add_co_u32 v27, s0, s14, v27
	v_add_co_ci_u32_e64 v28, s0, s15, v28, s0
	global_store_b32 v[29:30], v26, off
	global_store_b32 v[31:32], v33, off
	;; [unrolled: 1-line block ×3, first 2 shown]
	s_or_b32 exec_lo, exec_lo, s3
	s_add_i32 s6, s6, 1
	s_delay_alu instid0(SALU_CYCLE_1)
	s_cmp_ge_i32 s6, s8
	s_cbranch_scc1 .LBB261_9
.LBB261_25:                             ;   in Loop: Header=BB261_10 Depth=1
	v_ashrrev_i32_e32 v27, 31, v25
	s_mov_b32 s1, exec_lo
	s_delay_alu instid0(VALU_DEP_1) | instskip(NEXT) | instid1(VALU_DEP_1)
	v_lshrrev_b32_e32 v26, 29, v27
	v_add_nc_u32_e32 v26, v25, v26
	s_delay_alu instid0(VALU_DEP_1) | instskip(SKIP_1) | instid1(VALU_DEP_1)
	v_ashrrev_i32_e32 v26, 3, v26
	s_waitcnt lgkmcnt(1)
	v_lshrrev_b32_e32 v28, 29, v26
	s_delay_alu instid0(VALU_DEP_1) | instskip(NEXT) | instid1(VALU_DEP_1)
	v_add_nc_u32_e32 v28, v26, v28
	v_and_b32_e32 v28, -8, v28
	s_delay_alu instid0(VALU_DEP_1) | instskip(NEXT) | instid1(VALU_DEP_1)
	v_sub_nc_u32_e32 v28, v26, v28
	v_cmpx_eq_u32_e64 v17, v28
	s_cbranch_execz .LBB261_8
; %bb.26:                               ;   in Loop: Header=BB261_10 Depth=1
	v_lshrrev_b32_e32 v27, 26, v27
	v_lshlrev_b32_e32 v26, 3, v26
	s_delay_alu instid0(VALU_DEP_2) | instskip(NEXT) | instid1(VALU_DEP_2)
	v_add_nc_u32_e32 v27, v25, v27
	v_sub_nc_u32_e32 v25, v25, v26
	s_delay_alu instid0(VALU_DEP_2) | instskip(NEXT) | instid1(VALU_DEP_1)
	v_ashrrev_i32_e32 v26, 6, v27
	v_lshl_add_u32 v25, v26, 3, v25
	s_delay_alu instid0(VALU_DEP_1) | instskip(NEXT) | instid1(VALU_DEP_1)
	v_cmp_ne_u32_e64 s0, 7, v25
	v_cndmask_b32_e64 v15, 0xc61c4000, v15, s0
	v_cmp_ne_u32_e64 s0, 6, v25
	s_delay_alu instid0(VALU_DEP_1) | instskip(SKIP_1) | instid1(VALU_DEP_1)
	v_cndmask_b32_e64 v14, 0xc61c4000, v14, s0
	v_cmp_ne_u32_e64 s0, 5, v25
	v_cndmask_b32_e64 v13, 0xc61c4000, v13, s0
	v_cmp_ne_u32_e64 s0, 4, v25
	s_delay_alu instid0(VALU_DEP_1) | instskip(SKIP_1) | instid1(VALU_DEP_1)
	v_cndmask_b32_e64 v12, 0xc61c4000, v12, s0
	;; [unrolled: 5-line block ×3, first 2 shown]
	v_cmp_ne_u32_e64 s0, 1, v25
	v_cndmask_b32_e64 v9, 0xc61c4000, v9, s0
	v_cmp_ne_u32_e64 s0, 0, v25
	s_delay_alu instid0(VALU_DEP_1)
	v_cndmask_b32_e64 v8, 0xc61c4000, v8, s0
	s_branch .LBB261_8
.LBB261_27:
                                        ; implicit-def: $vgpr8_vgpr9_vgpr10_vgpr11_vgpr12_vgpr13_vgpr14_vgpr15
	s_and_not1_b32 vcc_lo, exec_lo, s9
	s_cbranch_vccz .LBB261_5
	s_branch .LBB261_6
.LBB261_28:
	v_mov_b32_e32 v19, 0
.LBB261_29:
	v_cmp_eq_u32_e64 s0, 0, v17
	s_delay_alu instid0(VALU_DEP_1) | instskip(NEXT) | instid1(SALU_CYCLE_1)
	s_and_b32 s0, s0, vcc_lo
	s_and_b32 exec_lo, exec_lo, s0
	s_cbranch_execz .LBB261_33
; %bb.30:
	s_and_not1_b32 vcc_lo, exec_lo, s5
	s_cbranch_vccnz .LBB261_33
; %bb.31:
	v_mul_lo_u32 v0, v16, s8
	v_cmp_lt_f32_e32 vcc_lo, 0, v19
	v_cndmask_b32_e32 v2, 1.0, v19, vcc_lo
	s_delay_alu instid0(VALU_DEP_3) | instskip(NEXT) | instid1(VALU_DEP_1)
	v_ashrrev_i32_e32 v1, 31, v0
	v_lshlrev_b64 v[0:1], 2, v[0:1]
	s_delay_alu instid0(VALU_DEP_1) | instskip(NEXT) | instid1(VALU_DEP_2)
	v_add_co_u32 v0, vcc_lo, s16, v0
	v_add_co_ci_u32_e32 v1, vcc_lo, s17, v1, vcc_lo
	.p2align	6
.LBB261_32:                             ; =>This Inner Loop Header: Depth=1
	global_load_b32 v3, v[0:1], off
	s_add_i32 s8, s8, -1
	s_delay_alu instid0(SALU_CYCLE_1) | instskip(SKIP_3) | instid1(VALU_DEP_2)
	s_cmp_lg_u32 s8, 0
	s_waitcnt vmcnt(0)
	v_div_scale_f32 v4, null, v2, v2, v3
	v_div_scale_f32 v7, vcc_lo, v3, v2, v3
	v_rcp_f32_e32 v5, v4
	s_waitcnt_depctr 0xfff
	v_fma_f32 v6, -v4, v5, 1.0
	s_delay_alu instid0(VALU_DEP_1) | instskip(NEXT) | instid1(VALU_DEP_1)
	v_fmac_f32_e32 v5, v6, v5
	v_mul_f32_e32 v6, v7, v5
	s_delay_alu instid0(VALU_DEP_1) | instskip(NEXT) | instid1(VALU_DEP_1)
	v_fma_f32 v8, -v4, v6, v7
	v_fmac_f32_e32 v6, v8, v5
	s_delay_alu instid0(VALU_DEP_1) | instskip(NEXT) | instid1(VALU_DEP_1)
	v_fma_f32 v4, -v4, v6, v7
	v_div_fmas_f32 v4, v4, v5, v6
	s_delay_alu instid0(VALU_DEP_1)
	v_div_fixup_f32 v3, v4, v2, v3
	global_store_b32 v[0:1], v3, off
	v_add_co_u32 v0, vcc_lo, v0, 4
	v_add_co_ci_u32_e32 v1, vcc_lo, 0, v1, vcc_lo
	s_cbranch_scc1 .LBB261_32
.LBB261_33:
	s_nop 0
	s_sendmsg sendmsg(MSG_DEALLOC_VGPRS)
	s_endpgm
	.section	.rodata,"a",@progbits
	.p2align	6, 0x0
	.amdhsa_kernel _ZN4vllm3moe10topkGatingILi8ELi64ELi4ELi16ELi64Ei6__halfLNS0_11ScoringFuncE1EEEvPKT5_PKbPfiPT4_PiiiibPKf
		.amdhsa_group_segment_fixed_size 0
		.amdhsa_private_segment_fixed_size 0
		.amdhsa_kernarg_size 72
		.amdhsa_user_sgpr_count 15
		.amdhsa_user_sgpr_dispatch_ptr 0
		.amdhsa_user_sgpr_queue_ptr 0
		.amdhsa_user_sgpr_kernarg_segment_ptr 1
		.amdhsa_user_sgpr_dispatch_id 0
		.amdhsa_user_sgpr_private_segment_size 0
		.amdhsa_wavefront_size32 1
		.amdhsa_uses_dynamic_stack 0
		.amdhsa_enable_private_segment 0
		.amdhsa_system_sgpr_workgroup_id_x 1
		.amdhsa_system_sgpr_workgroup_id_y 0
		.amdhsa_system_sgpr_workgroup_id_z 0
		.amdhsa_system_sgpr_workgroup_info 0
		.amdhsa_system_vgpr_workitem_id 1
		.amdhsa_next_free_vgpr 47
		.amdhsa_next_free_sgpr 20
		.amdhsa_reserve_vcc 1
		.amdhsa_float_round_mode_32 0
		.amdhsa_float_round_mode_16_64 0
		.amdhsa_float_denorm_mode_32 3
		.amdhsa_float_denorm_mode_16_64 3
		.amdhsa_dx10_clamp 1
		.amdhsa_ieee_mode 1
		.amdhsa_fp16_overflow 0
		.amdhsa_workgroup_processor_mode 1
		.amdhsa_memory_ordered 1
		.amdhsa_forward_progress 0
		.amdhsa_shared_vgpr_count 0
		.amdhsa_exception_fp_ieee_invalid_op 0
		.amdhsa_exception_fp_denorm_src 0
		.amdhsa_exception_fp_ieee_div_zero 0
		.amdhsa_exception_fp_ieee_overflow 0
		.amdhsa_exception_fp_ieee_underflow 0
		.amdhsa_exception_fp_ieee_inexact 0
		.amdhsa_exception_int_div_zero 0
	.end_amdhsa_kernel
	.section	.text._ZN4vllm3moe10topkGatingILi8ELi64ELi4ELi16ELi64Ei6__halfLNS0_11ScoringFuncE1EEEvPKT5_PKbPfiPT4_PiiiibPKf,"axG",@progbits,_ZN4vllm3moe10topkGatingILi8ELi64ELi4ELi16ELi64Ei6__halfLNS0_11ScoringFuncE1EEEvPKT5_PKbPfiPT4_PiiiibPKf,comdat
.Lfunc_end261:
	.size	_ZN4vllm3moe10topkGatingILi8ELi64ELi4ELi16ELi64Ei6__halfLNS0_11ScoringFuncE1EEEvPKT5_PKbPfiPT4_PiiiibPKf, .Lfunc_end261-_ZN4vllm3moe10topkGatingILi8ELi64ELi4ELi16ELi64Ei6__halfLNS0_11ScoringFuncE1EEEvPKT5_PKbPfiPT4_PiiiibPKf
                                        ; -- End function
	.section	.AMDGPU.csdata,"",@progbits
; Kernel info:
; codeLenInByte = 2892
; NumSgprs: 22
; NumVgprs: 47
; ScratchSize: 0
; MemoryBound: 0
; FloatMode: 240
; IeeeMode: 1
; LDSByteSize: 0 bytes/workgroup (compile time only)
; SGPRBlocks: 2
; VGPRBlocks: 5
; NumSGPRsForWavesPerEU: 22
; NumVGPRsForWavesPerEU: 47
; Occupancy: 16
; WaveLimiterHint : 0
; COMPUTE_PGM_RSRC2:SCRATCH_EN: 0
; COMPUTE_PGM_RSRC2:USER_SGPR: 15
; COMPUTE_PGM_RSRC2:TRAP_HANDLER: 0
; COMPUTE_PGM_RSRC2:TGID_X_EN: 1
; COMPUTE_PGM_RSRC2:TGID_Y_EN: 0
; COMPUTE_PGM_RSRC2:TGID_Z_EN: 0
; COMPUTE_PGM_RSRC2:TIDIG_COMP_CNT: 1
	.section	.text._ZN4vllm3moe10topkGatingILi8ELi64ELi4ELi16ELi32Ei6__halfLNS0_11ScoringFuncE1EEEvPKT5_PKbPfiPT4_PiiiibPKf,"axG",@progbits,_ZN4vllm3moe10topkGatingILi8ELi64ELi4ELi16ELi32Ei6__halfLNS0_11ScoringFuncE1EEEvPKT5_PKbPfiPT4_PiiiibPKf,comdat
	.protected	_ZN4vllm3moe10topkGatingILi8ELi64ELi4ELi16ELi32Ei6__halfLNS0_11ScoringFuncE1EEEvPKT5_PKbPfiPT4_PiiiibPKf ; -- Begin function _ZN4vllm3moe10topkGatingILi8ELi64ELi4ELi16ELi32Ei6__halfLNS0_11ScoringFuncE1EEEvPKT5_PKbPfiPT4_PiiiibPKf
	.globl	_ZN4vllm3moe10topkGatingILi8ELi64ELi4ELi16ELi32Ei6__halfLNS0_11ScoringFuncE1EEEvPKT5_PKbPfiPT4_PiiiibPKf
	.p2align	8
	.type	_ZN4vllm3moe10topkGatingILi8ELi64ELi4ELi16ELi32Ei6__halfLNS0_11ScoringFuncE1EEEvPKT5_PKbPfiPT4_PiiiibPKf,@function
_ZN4vllm3moe10topkGatingILi8ELi64ELi4ELi16ELi32Ei6__halfLNS0_11ScoringFuncE1EEEvPKT5_PKbPfiPT4_PiiiibPKf: ; @_ZN4vllm3moe10topkGatingILi8ELi64ELi4ELi16ELi32Ei6__halfLNS0_11ScoringFuncE1EEEvPKT5_PKbPfiPT4_PiiiibPKf
; %bb.0:
	s_load_b32 s18, s[0:1], 0x18
	v_bfe_u32 v1, v0, 10, 10
	v_and_b32_e32 v0, 0x3ff, v0
	s_lshl_b32 s2, s15, 4
	s_delay_alu instid0(VALU_DEP_2) | instskip(NEXT) | instid1(VALU_DEP_2)
	v_lshlrev_b32_e32 v1, 2, v1
	v_lshrrev_b32_e32 v2, 3, v0
	s_delay_alu instid0(VALU_DEP_1) | instskip(SKIP_2) | instid1(VALU_DEP_1)
	v_add3_u32 v16, s2, v1, v2
	s_mov_b32 s2, exec_lo
	s_waitcnt lgkmcnt(0)
	v_cmpx_gt_i32_e64 s18, v16
	s_cbranch_execz .LBB262_33
; %bb.1:
	s_clause 0x1
	s_load_b128 s[4:7], s[0:1], 0x0
	s_load_b64 s[16:17], s[0:1], 0x10
	s_mov_b32 s9, -1
	s_mov_b32 s19, -1
	s_waitcnt lgkmcnt(0)
	s_cmp_eq_u64 s[6:7], 0
	s_cbranch_scc1 .LBB262_3
; %bb.2:
	v_ashrrev_i32_e32 v2, 31, v16
	v_add_co_u32 v1, vcc_lo, s6, v16
	s_delay_alu instid0(VALU_DEP_2) | instskip(SKIP_3) | instid1(VALU_DEP_1)
	v_add_co_ci_u32_e32 v2, vcc_lo, s7, v2, vcc_lo
	global_load_u8 v1, v[1:2], off
	s_waitcnt vmcnt(0)
	v_and_b32_e32 v1, 1, v1
	v_cmp_eq_u32_e32 vcc_lo, 1, v1
	s_xor_b32 s2, vcc_lo, -1
	s_delay_alu instid0(SALU_CYCLE_1)
	s_or_not1_b32 s19, s2, exec_lo
.LBB262_3:
	v_lshlrev_b32_e32 v1, 6, v16
	v_and_b32_e32 v17, 7, v0
	s_load_b64 s[10:11], s[0:1], 0x40
	s_delay_alu instid0(VALU_DEP_2) | instskip(NEXT) | instid1(VALU_DEP_1)
	v_ashrrev_i32_e32 v2, 31, v1
	v_lshlrev_b64 v[0:1], 1, v[1:2]
	s_delay_alu instid0(VALU_DEP_3) | instskip(NEXT) | instid1(VALU_DEP_2)
	v_lshlrev_b32_e32 v2, 4, v17
	v_add_co_u32 v0, vcc_lo, s4, v0
	s_delay_alu instid0(VALU_DEP_3) | instskip(NEXT) | instid1(VALU_DEP_2)
	v_add_co_ci_u32_e32 v1, vcc_lo, s5, v1, vcc_lo
	v_add_co_u32 v0, vcc_lo, v0, v2
	s_delay_alu instid0(VALU_DEP_2)
	v_add_co_ci_u32_e32 v1, vcc_lo, 0, v1, vcc_lo
	s_waitcnt lgkmcnt(0)
	s_cmp_eq_u64 s[10:11], 0
	global_load_b128 v[0:3], v[0:1], off
	s_waitcnt vmcnt(0)
	v_cvt_f32_f16_e32 v4, v0
	v_lshrrev_b32_e32 v0, 16, v0
	v_cvt_f32_f16_e32 v5, v1
	v_lshrrev_b32_e32 v1, 16, v1
	;; [unrolled: 2-line block ×4, first 2 shown]
	v_dual_mul_f32 v4, 0xbfb8aa3b, v4 :: v_dual_mul_f32 v5, 0xbfb8aa3b, v5
	v_cvt_f32_f16_e32 v0, v0
	v_cvt_f32_f16_e32 v1, v1
	;; [unrolled: 1-line block ×4, first 2 shown]
	v_dual_mul_f32 v6, 0xbfb8aa3b, v6 :: v_dual_mul_f32 v7, 0xbfb8aa3b, v7
	v_exp_f32_e32 v4, v4
	v_dual_mul_f32 v0, 0xbfb8aa3b, v0 :: v_dual_mul_f32 v1, 0xbfb8aa3b, v1
	v_exp_f32_e32 v5, v5
	s_delay_alu instid0(VALU_DEP_2)
	v_exp_f32_e32 v6, v6
	v_mul_f32_e32 v2, 0xbfb8aa3b, v2
	v_exp_f32_e32 v7, v7
	v_dual_mul_f32 v3, 0xbfb8aa3b, v3 :: v_dual_lshlrev_b32 v18, 3, v17
	v_exp_f32_e32 v0, v0
	v_exp_f32_e32 v1, v1
	;; [unrolled: 1-line block ×3, first 2 shown]
	s_delay_alu instid0(VALU_DEP_1) | instskip(SKIP_2) | instid1(VALU_DEP_2)
	v_exp_f32_e32 v3, v3
	v_dual_add_f32 v4, 1.0, v4 :: v_dual_add_f32 v5, 1.0, v5
	v_dual_add_f32 v6, 1.0, v6 :: v_dual_add_f32 v7, 1.0, v7
	v_div_scale_f32 v8, null, v4, v4, 1.0
	s_delay_alu instid0(TRANS32_DEP_3) | instskip(NEXT) | instid1(VALU_DEP_4)
	v_dual_add_f32 v0, 1.0, v0 :: v_dual_add_f32 v1, 1.0, v1
	v_div_scale_f32 v10, null, v5, v5, 1.0
	s_delay_alu instid0(VALU_DEP_4) | instskip(NEXT) | instid1(TRANS32_DEP_1)
	v_div_scale_f32 v12, null, v6, v6, 1.0
	v_dual_add_f32 v14, 1.0, v2 :: v_dual_add_f32 v19, 1.0, v3
	v_div_scale_f32 v2, null, v7, v7, 1.0
	v_rcp_f32_e32 v3, v8
	v_div_scale_f32 v20, null, v0, v0, 1.0
	v_rcp_f32_e32 v22, v10
	;; [unrolled: 2-line block ×3, first 2 shown]
	v_rcp_f32_e32 v28, v2
	v_div_scale_f32 v29, null, v19, v19, 1.0
	v_rcp_f32_e32 v30, v20
	v_div_scale_f32 v26, null, v14, v14, 1.0
	v_rcp_f32_e32 v32, v23
	v_fma_f32 v34, -v8, v3, 1.0
	v_rcp_f32_e32 v35, v29
	v_div_scale_f32 v9, vcc_lo, 1.0, v4, 1.0
	v_rcp_f32_e32 v33, v26
	v_fma_f32 v36, -v10, v22, 1.0
	v_fma_f32 v37, -v12, v25, 1.0
	;; [unrolled: 1-line block ×3, first 2 shown]
	v_fmac_f32_e32 v3, v34, v3
	v_fma_f32 v34, -v20, v30, 1.0
	v_fmac_f32_e32 v22, v36, v22
	v_div_scale_f32 v11, s2, 1.0, v5, 1.0
	v_fma_f32 v36, -v23, v32, 1.0
	v_dual_fmac_f32 v25, v37, v25 :: v_dual_fmac_f32 v28, v38, v28
	v_fma_f32 v38, -v29, v35, 1.0
	v_dual_mul_f32 v39, v9, v3 :: v_dual_fmac_f32 v30, v34, v30
	v_div_scale_f32 v21, s5, 1.0, v0, 1.0
	v_div_scale_f32 v24, s6, 1.0, v1, 1.0
	v_fma_f32 v37, -v26, v33, 1.0
	v_mul_f32_e32 v34, v11, v22
	v_dual_fmac_f32 v32, v36, v32 :: v_dual_fmac_f32 v35, v38, v35
	v_fma_f32 v38, -v8, v39, v9
	v_mul_f32_e32 v40, v21, v30
	v_div_scale_f32 v13, s3, 1.0, v6, 1.0
	v_div_scale_f32 v15, s4, 1.0, v7, 1.0
	s_delay_alu instid0(VALU_DEP_4)
	v_fmac_f32_e32 v39, v38, v3
	v_fmac_f32_e32 v33, v37, v33
	v_fma_f32 v41, -v10, v34, v11
	v_mul_f32_e32 v42, v24, v32
	v_fma_f32 v38, -v20, v40, v21
	v_div_scale_f32 v27, s7, 1.0, v14, 1.0
	v_dual_mul_f32 v36, v13, v25 :: v_dual_mul_f32 v37, v15, v28
	v_fmac_f32_e32 v34, v41, v22
	v_fma_f32 v41, -v23, v42, v24
	v_fma_f32 v8, -v8, v39, v9
	v_fmac_f32_e32 v40, v38, v30
	v_fma_f32 v43, -v12, v36, v13
	v_fma_f32 v45, -v2, v37, v15
	v_mul_f32_e32 v44, v27, v33
	v_fmac_f32_e32 v42, v41, v32
	v_div_fmas_f32 v3, v8, v3, v39
	v_fma_f32 v8, -v20, v40, v21
	v_fmac_f32_e32 v37, v45, v28
	v_fma_f32 v9, -v10, v34, v11
	v_fmac_f32_e32 v36, v43, v25
	v_fma_f32 v43, -v26, v44, v27
	s_mov_b32 vcc_lo, s5
	v_fma_f32 v11, -v23, v42, v24
	v_div_fixup_f32 v3, v3, v4, 1.0
	v_div_fmas_f32 v4, v8, v30, v40
	s_mov_b32 vcc_lo, s2
	v_fmac_f32_e32 v44, v43, v33
	v_div_fmas_f32 v8, v9, v22, v34
	s_mov_b32 vcc_lo, s6
	v_fma_f32 v10, -v12, v36, v13
	v_div_fmas_f32 v9, v11, v32, v42
	v_cmp_class_f32_e64 vcc_lo, v3, 0x1f8
	v_fma_f32 v12, -v26, v44, v27
	v_div_fixup_f32 v4, v4, v0, 1.0
	v_div_scale_f32 v31, s8, 1.0, v19, 1.0
	v_cndmask_b32_e32 v0, 0, v3, vcc_lo
	s_mov_b32 vcc_lo, s3
	v_fma_f32 v2, -v2, v37, v15
	v_div_fmas_f32 v3, v10, v25, v36
	s_mov_b32 vcc_lo, s7
	v_div_fixup_f32 v5, v8, v5, 1.0
	v_div_fmas_f32 v8, v12, v33, v44
	s_mov_b32 vcc_lo, s4
	v_div_fixup_f32 v9, v9, v1, 1.0
	v_div_fmas_f32 v10, v2, v28, v37
	v_cmp_class_f32_e64 vcc_lo, v4, 0x1f8
	v_mul_f32_e32 v46, v31, v35
	s_delay_alu instid0(VALU_DEP_3) | instskip(SKIP_1) | instid1(VALU_DEP_3)
	v_div_fixup_f32 v7, v10, v7, 1.0
	v_cndmask_b32_e32 v1, 0, v4, vcc_lo
	v_fma_f32 v45, -v29, v46, v31
	s_mov_b32 vcc_lo, s8
	v_div_fixup_f32 v4, v3, v6, 1.0
	s_delay_alu instid0(VALU_DEP_2) | instskip(NEXT) | instid1(VALU_DEP_1)
	v_fmac_f32_e32 v46, v45, v35
	v_fma_f32 v13, -v29, v46, v31
	s_delay_alu instid0(VALU_DEP_1)
	v_div_fmas_f32 v6, v13, v35, v46
	v_cmp_class_f32_e64 vcc_lo, v5, 0x1f8
	v_cndmask_b32_e32 v2, 0, v5, vcc_lo
	v_cmp_class_f32_e64 vcc_lo, v9, 0x1f8
	v_div_fixup_f32 v5, v8, v14, 1.0
	v_div_fixup_f32 v8, v6, v19, 1.0
	v_cndmask_b32_e32 v3, 0, v9, vcc_lo
	v_cmp_class_f32_e64 vcc_lo, v4, 0x1f8
	v_cndmask_b32_e32 v4, 0, v4, vcc_lo
	v_cmp_class_f32_e64 vcc_lo, v5, 0x1f8
	;; [unrolled: 2-line block ×4, first 2 shown]
	v_cndmask_b32_e32 v7, 0, v8, vcc_lo
	s_cbranch_scc1 .LBB262_27
; %bb.4:
	v_lshlrev_b32_e32 v12, 2, v18
	s_clause 0x1
	global_load_b128 v[8:11], v12, s[10:11]
	global_load_b128 v[12:15], v12, s[10:11] offset:16
	s_waitcnt vmcnt(1)
	v_dual_add_f32 v9, v9, v1 :: v_dual_add_f32 v8, v8, v0
	v_dual_add_f32 v11, v11, v3 :: v_dual_add_f32 v10, v10, v2
	s_waitcnt vmcnt(0)
	v_dual_add_f32 v13, v13, v5 :: v_dual_add_f32 v12, v12, v4
	v_dual_add_f32 v15, v15, v7 :: v_dual_add_f32 v14, v14, v6
	s_cbranch_execnz .LBB262_6
.LBB262_5:
	v_dual_mov_b32 v15, v7 :: v_dual_mov_b32 v14, v6
	v_dual_mov_b32 v13, v5 :: v_dual_mov_b32 v12, v4
	;; [unrolled: 1-line block ×4, first 2 shown]
.LBB262_6:
	s_load_b128 s[8:11], s[0:1], 0x30
	v_cmp_eq_u32_e64 s2, 0, v17
	s_mov_b32 s6, 0
	s_waitcnt lgkmcnt(0)
	s_bitcmp1_b32 s11, 0
	s_cselect_b32 vcc_lo, -1, 0
	s_cmp_gt_i32 s8, 0
	s_cselect_b32 s5, -1, 0
	s_cmp_lt_i32 s8, 1
	s_cbranch_scc1 .LBB262_28
; %bb.7:
	v_mbcnt_lo_u32_b32 v19, -1, 0
	s_load_b128 s[12:15], s[0:1], 0x20
	v_mov_b32_e32 v24, v16
	s_delay_alu instid0(VALU_DEP_2) | instskip(SKIP_3) | instid1(VALU_DEP_4)
	v_and_b32_e32 v20, 24, v19
	v_xor_b32_e32 v21, 4, v19
	v_xor_b32_e32 v22, 2, v19
	;; [unrolled: 1-line block ×3, first 2 shown]
	v_add_nc_u32_e32 v20, 8, v20
	s_delay_alu instid0(VALU_DEP_1) | instskip(NEXT) | instid1(VALU_DEP_1)
	v_cmp_lt_i32_e64 s0, v21, v20
	v_cndmask_b32_e64 v21, v19, v21, s0
	v_cmp_lt_i32_e64 s0, v22, v20
	s_delay_alu instid0(VALU_DEP_2) | instskip(NEXT) | instid1(VALU_DEP_2)
	v_lshlrev_b32_e32 v21, 2, v21
	v_cndmask_b32_e64 v22, v19, v22, s0
	v_cmp_lt_i32_e64 s0, v23, v20
	v_mul_lo_u32 v20, v16, s8
	s_delay_alu instid0(VALU_DEP_3) | instskip(NEXT) | instid1(VALU_DEP_3)
	v_lshlrev_b32_e32 v22, 2, v22
	v_cndmask_b32_e64 v23, v19, v23, s0
	v_mov_b32_e32 v19, 0
	s_delay_alu instid0(VALU_DEP_2)
	v_lshlrev_b32_e32 v23, 2, v23
	s_branch .LBB262_10
.LBB262_8:                              ;   in Loop: Header=BB262_10 Depth=1
	s_or_b32 exec_lo, exec_lo, s1
.LBB262_9:                              ;   in Loop: Header=BB262_10 Depth=1
	v_add_nc_u32_e32 v24, s18, v24
	s_cmp_eq_u32 s8, s6
	s_cbranch_scc1 .LBB262_29
.LBB262_10:                             ; =>This Inner Loop Header: Depth=1
	v_cmp_gt_f32_e64 s0, v9, v8
	s_delay_alu instid0(VALU_DEP_1) | instskip(SKIP_2) | instid1(VALU_DEP_3)
	v_cndmask_b32_e64 v26, v8, v9, s0
	v_cndmask_b32_e64 v25, 0, 1, s0
	;; [unrolled: 1-line block ×3, first 2 shown]
	v_cmp_gt_f32_e64 s1, v10, v26
	s_delay_alu instid0(VALU_DEP_1) | instskip(NEXT) | instid1(VALU_DEP_4)
	v_cndmask_b32_e64 v26, v26, v10, s1
	v_cndmask_b32_e64 v25, v25, 2, s1
	s_delay_alu instid0(VALU_DEP_4) | instskip(NEXT) | instid1(VALU_DEP_3)
	v_cndmask_b32_e64 v27, v27, v2, s1
	v_cmp_gt_f32_e64 s3, v11, v26
	s_delay_alu instid0(VALU_DEP_1) | instskip(NEXT) | instid1(VALU_DEP_4)
	v_cndmask_b32_e64 v26, v26, v11, s3
	v_cndmask_b32_e64 v25, v25, 3, s3
	s_delay_alu instid0(VALU_DEP_4) | instskip(NEXT) | instid1(VALU_DEP_3)
	v_cndmask_b32_e64 v27, v27, v3, s3
	v_cmp_gt_f32_e64 s4, v12, v26
	s_delay_alu instid0(VALU_DEP_1) | instskip(NEXT) | instid1(VALU_DEP_4)
	v_cndmask_b32_e64 v26, v26, v12, s4
	v_cndmask_b32_e64 v25, v25, 4, s4
	s_delay_alu instid0(VALU_DEP_4) | instskip(SKIP_1) | instid1(VALU_DEP_3)
	v_cndmask_b32_e64 v27, v27, v4, s4
	s_mov_b32 s4, exec_lo
	v_cmp_gt_f32_e64 s0, v13, v26
	s_delay_alu instid0(VALU_DEP_1) | instskip(SKIP_2) | instid1(VALU_DEP_3)
	v_cndmask_b32_e64 v26, v26, v13, s0
	v_cndmask_b32_e64 v25, v25, 5, s0
	;; [unrolled: 1-line block ×3, first 2 shown]
	v_cmp_gt_f32_e64 s1, v14, v26
	s_delay_alu instid0(VALU_DEP_1) | instskip(NEXT) | instid1(VALU_DEP_4)
	v_cndmask_b32_e64 v26, v26, v14, s1
	v_cndmask_b32_e64 v25, v25, 6, s1
	s_waitcnt lgkmcnt(0)
	v_cndmask_b32_e64 v28, v27, v6, s1
	s_delay_alu instid0(VALU_DEP_3) | instskip(NEXT) | instid1(VALU_DEP_1)
	v_cmp_gt_f32_e64 s0, v15, v26
	v_cndmask_b32_e64 v25, v25, 7, s0
	v_cndmask_b32_e64 v27, v26, v15, s0
	s_delay_alu instid0(VALU_DEP_4) | instskip(NEXT) | instid1(VALU_DEP_3)
	v_cndmask_b32_e64 v26, v28, v7, s0
	v_or_b32_e32 v25, v18, v25
	ds_bpermute_b32 v28, v21, v27
	ds_bpermute_b32 v30, v21, v26
	;; [unrolled: 1-line block ×3, first 2 shown]
	s_waitcnt lgkmcnt(0)
	v_cmp_lt_f32_e64 s3, v27, v28
	v_cmpx_nlt_f32_e32 v27, v28
; %bb.11:                               ;   in Loop: Header=BB262_10 Depth=1
	v_cmp_eq_f32_e64 s0, v27, v28
	v_cmp_lt_i32_e64 s1, v29, v25
	s_delay_alu instid0(VALU_DEP_1) | instskip(SKIP_2) | instid1(SALU_CYCLE_1)
	s_and_b32 s0, s0, s1
	s_and_not1_b32 s1, s3, exec_lo
	s_and_b32 s0, s0, exec_lo
	s_or_b32 s3, s1, s0
; %bb.12:                               ;   in Loop: Header=BB262_10 Depth=1
	s_or_b32 exec_lo, exec_lo, s4
	s_and_saveexec_b32 s0, s3
; %bb.13:                               ;   in Loop: Header=BB262_10 Depth=1
	v_dual_mov_b32 v26, v30 :: v_dual_mov_b32 v27, v28
	v_mov_b32_e32 v25, v29
; %bb.14:                               ;   in Loop: Header=BB262_10 Depth=1
	s_or_b32 exec_lo, exec_lo, s0
	ds_bpermute_b32 v28, v22, v27
	ds_bpermute_b32 v30, v22, v26
	;; [unrolled: 1-line block ×3, first 2 shown]
	s_mov_b32 s4, exec_lo
	s_waitcnt lgkmcnt(2)
	v_cmp_lt_f32_e64 s3, v27, v28
	v_cmpx_nlt_f32_e32 v27, v28
	s_cbranch_execz .LBB262_16
; %bb.15:                               ;   in Loop: Header=BB262_10 Depth=1
	v_cmp_eq_f32_e64 s0, v27, v28
	s_waitcnt lgkmcnt(0)
	v_cmp_lt_i32_e64 s1, v29, v25
	s_delay_alu instid0(VALU_DEP_1) | instskip(SKIP_2) | instid1(SALU_CYCLE_1)
	s_and_b32 s0, s0, s1
	s_and_not1_b32 s1, s3, exec_lo
	s_and_b32 s0, s0, exec_lo
	s_or_b32 s3, s1, s0
.LBB262_16:                             ;   in Loop: Header=BB262_10 Depth=1
	s_or_b32 exec_lo, exec_lo, s4
	s_delay_alu instid0(VALU_DEP_2)
	s_and_saveexec_b32 s0, s3
	s_cbranch_execz .LBB262_18
; %bb.17:                               ;   in Loop: Header=BB262_10 Depth=1
	s_waitcnt lgkmcnt(1)
	v_dual_mov_b32 v26, v30 :: v_dual_mov_b32 v27, v28
	s_waitcnt lgkmcnt(0)
	v_mov_b32_e32 v25, v29
.LBB262_18:                             ;   in Loop: Header=BB262_10 Depth=1
	s_or_b32 exec_lo, exec_lo, s0
	s_waitcnt lgkmcnt(1)
	ds_bpermute_b32 v30, v23, v27
	ds_bpermute_b32 v28, v23, v26
	s_waitcnt lgkmcnt(2)
	ds_bpermute_b32 v29, v23, v25
	s_mov_b32 s4, exec_lo
	s_waitcnt lgkmcnt(2)
	v_cmp_lt_f32_e64 s3, v27, v30
	v_cmpx_nlt_f32_e32 v27, v30
	s_cbranch_execnz .LBB262_22
; %bb.19:                               ;   in Loop: Header=BB262_10 Depth=1
	s_or_b32 exec_lo, exec_lo, s4
	s_delay_alu instid0(VALU_DEP_2)
	s_and_saveexec_b32 s0, s3
	s_cbranch_execnz .LBB262_23
.LBB262_20:                             ;   in Loop: Header=BB262_10 Depth=1
	s_or_b32 exec_lo, exec_lo, s0
	s_and_saveexec_b32 s3, s2
	s_cbranch_execnz .LBB262_24
.LBB262_21:                             ;   in Loop: Header=BB262_10 Depth=1
	s_or_b32 exec_lo, exec_lo, s3
	s_add_i32 s6, s6, 1
	s_delay_alu instid0(SALU_CYCLE_1)
	s_cmp_ge_i32 s6, s8
	s_cbranch_scc1 .LBB262_9
	s_branch .LBB262_25
.LBB262_22:                             ;   in Loop: Header=BB262_10 Depth=1
	v_cmp_eq_f32_e64 s0, v27, v30
	s_waitcnt lgkmcnt(0)
	v_cmp_lt_i32_e64 s1, v29, v25
	s_delay_alu instid0(VALU_DEP_1) | instskip(SKIP_2) | instid1(SALU_CYCLE_1)
	s_and_b32 s0, s0, s1
	s_and_not1_b32 s1, s3, exec_lo
	s_and_b32 s0, s0, exec_lo
	s_or_b32 s3, s1, s0
	s_or_b32 exec_lo, exec_lo, s4
	s_and_saveexec_b32 s0, s3
	s_cbranch_execz .LBB262_20
.LBB262_23:                             ;   in Loop: Header=BB262_10 Depth=1
	s_waitcnt lgkmcnt(0)
	v_dual_mov_b32 v25, v29 :: v_dual_mov_b32 v26, v28
	s_or_b32 exec_lo, exec_lo, s0
	s_and_saveexec_b32 s3, s2
	s_cbranch_execz .LBB262_21
.LBB262_24:                             ;   in Loop: Header=BB262_10 Depth=1
	s_delay_alu instid0(VALU_DEP_1)
	v_dual_add_f32 v34, v19, v26 :: v_dual_add_nc_u32 v27, s6, v20
	v_cmp_le_i32_e64 s0, s9, v25
	v_cmp_gt_i32_e64 s1, s10, v25
	s_waitcnt lgkmcnt(0)
	v_subrev_nc_u32_e32 v29, s9, v25
	v_ashrrev_i32_e32 v28, 31, v27
	v_cndmask_b32_e32 v19, v19, v34, vcc_lo
	s_and_b32 s0, s0, s1
	s_delay_alu instid0(SALU_CYCLE_1) | instskip(NEXT) | instid1(VALU_DEP_2)
	s_and_b32 s0, s19, s0
	v_lshlrev_b64 v[27:28], 2, v[27:28]
	v_cndmask_b32_e64 v33, 64, v29, s0
	s_delay_alu instid0(VALU_DEP_2) | instskip(NEXT) | instid1(VALU_DEP_1)
	v_add_co_u32 v29, s0, s16, v27
	v_add_co_ci_u32_e64 v30, s0, s17, v28, s0
	v_add_co_u32 v31, s0, s12, v27
	s_delay_alu instid0(VALU_DEP_1) | instskip(SKIP_1) | instid1(VALU_DEP_1)
	v_add_co_ci_u32_e64 v32, s0, s13, v28, s0
	v_add_co_u32 v27, s0, s14, v27
	v_add_co_ci_u32_e64 v28, s0, s15, v28, s0
	global_store_b32 v[29:30], v26, off
	global_store_b32 v[31:32], v33, off
	;; [unrolled: 1-line block ×3, first 2 shown]
	s_or_b32 exec_lo, exec_lo, s3
	s_add_i32 s6, s6, 1
	s_delay_alu instid0(SALU_CYCLE_1)
	s_cmp_ge_i32 s6, s8
	s_cbranch_scc1 .LBB262_9
.LBB262_25:                             ;   in Loop: Header=BB262_10 Depth=1
	v_ashrrev_i32_e32 v27, 31, v25
	s_mov_b32 s1, exec_lo
	s_delay_alu instid0(VALU_DEP_1) | instskip(NEXT) | instid1(VALU_DEP_1)
	v_lshrrev_b32_e32 v26, 29, v27
	v_add_nc_u32_e32 v26, v25, v26
	s_delay_alu instid0(VALU_DEP_1) | instskip(SKIP_1) | instid1(VALU_DEP_1)
	v_ashrrev_i32_e32 v26, 3, v26
	s_waitcnt lgkmcnt(1)
	v_lshrrev_b32_e32 v28, 29, v26
	s_delay_alu instid0(VALU_DEP_1) | instskip(NEXT) | instid1(VALU_DEP_1)
	v_add_nc_u32_e32 v28, v26, v28
	v_and_b32_e32 v28, -8, v28
	s_delay_alu instid0(VALU_DEP_1) | instskip(NEXT) | instid1(VALU_DEP_1)
	v_sub_nc_u32_e32 v28, v26, v28
	v_cmpx_eq_u32_e64 v17, v28
	s_cbranch_execz .LBB262_8
; %bb.26:                               ;   in Loop: Header=BB262_10 Depth=1
	v_lshrrev_b32_e32 v27, 26, v27
	v_lshlrev_b32_e32 v26, 3, v26
	s_delay_alu instid0(VALU_DEP_2) | instskip(NEXT) | instid1(VALU_DEP_2)
	v_add_nc_u32_e32 v27, v25, v27
	v_sub_nc_u32_e32 v25, v25, v26
	s_delay_alu instid0(VALU_DEP_2) | instskip(NEXT) | instid1(VALU_DEP_1)
	v_ashrrev_i32_e32 v26, 6, v27
	v_lshl_add_u32 v25, v26, 3, v25
	s_delay_alu instid0(VALU_DEP_1) | instskip(NEXT) | instid1(VALU_DEP_1)
	v_cmp_ne_u32_e64 s0, 7, v25
	v_cndmask_b32_e64 v15, 0xc61c4000, v15, s0
	v_cmp_ne_u32_e64 s0, 6, v25
	s_delay_alu instid0(VALU_DEP_1) | instskip(SKIP_1) | instid1(VALU_DEP_1)
	v_cndmask_b32_e64 v14, 0xc61c4000, v14, s0
	v_cmp_ne_u32_e64 s0, 5, v25
	v_cndmask_b32_e64 v13, 0xc61c4000, v13, s0
	v_cmp_ne_u32_e64 s0, 4, v25
	s_delay_alu instid0(VALU_DEP_1) | instskip(SKIP_1) | instid1(VALU_DEP_1)
	v_cndmask_b32_e64 v12, 0xc61c4000, v12, s0
	;; [unrolled: 5-line block ×3, first 2 shown]
	v_cmp_ne_u32_e64 s0, 1, v25
	v_cndmask_b32_e64 v9, 0xc61c4000, v9, s0
	v_cmp_ne_u32_e64 s0, 0, v25
	s_delay_alu instid0(VALU_DEP_1)
	v_cndmask_b32_e64 v8, 0xc61c4000, v8, s0
	s_branch .LBB262_8
.LBB262_27:
                                        ; implicit-def: $vgpr8_vgpr9_vgpr10_vgpr11_vgpr12_vgpr13_vgpr14_vgpr15
	s_and_not1_b32 vcc_lo, exec_lo, s9
	s_cbranch_vccz .LBB262_5
	s_branch .LBB262_6
.LBB262_28:
	v_mov_b32_e32 v19, 0
.LBB262_29:
	v_cmp_eq_u32_e64 s0, 0, v17
	s_delay_alu instid0(VALU_DEP_1) | instskip(NEXT) | instid1(SALU_CYCLE_1)
	s_and_b32 s0, s0, vcc_lo
	s_and_b32 exec_lo, exec_lo, s0
	s_cbranch_execz .LBB262_33
; %bb.30:
	s_and_not1_b32 vcc_lo, exec_lo, s5
	s_cbranch_vccnz .LBB262_33
; %bb.31:
	v_mul_lo_u32 v0, v16, s8
	v_cmp_lt_f32_e32 vcc_lo, 0, v19
	v_cndmask_b32_e32 v2, 1.0, v19, vcc_lo
	s_delay_alu instid0(VALU_DEP_3) | instskip(NEXT) | instid1(VALU_DEP_1)
	v_ashrrev_i32_e32 v1, 31, v0
	v_lshlrev_b64 v[0:1], 2, v[0:1]
	s_delay_alu instid0(VALU_DEP_1) | instskip(NEXT) | instid1(VALU_DEP_2)
	v_add_co_u32 v0, vcc_lo, s16, v0
	v_add_co_ci_u32_e32 v1, vcc_lo, s17, v1, vcc_lo
	.p2align	6
.LBB262_32:                             ; =>This Inner Loop Header: Depth=1
	global_load_b32 v3, v[0:1], off
	s_add_i32 s8, s8, -1
	s_delay_alu instid0(SALU_CYCLE_1) | instskip(SKIP_3) | instid1(VALU_DEP_2)
	s_cmp_lg_u32 s8, 0
	s_waitcnt vmcnt(0)
	v_div_scale_f32 v4, null, v2, v2, v3
	v_div_scale_f32 v7, vcc_lo, v3, v2, v3
	v_rcp_f32_e32 v5, v4
	s_waitcnt_depctr 0xfff
	v_fma_f32 v6, -v4, v5, 1.0
	s_delay_alu instid0(VALU_DEP_1) | instskip(NEXT) | instid1(VALU_DEP_1)
	v_fmac_f32_e32 v5, v6, v5
	v_mul_f32_e32 v6, v7, v5
	s_delay_alu instid0(VALU_DEP_1) | instskip(NEXT) | instid1(VALU_DEP_1)
	v_fma_f32 v8, -v4, v6, v7
	v_fmac_f32_e32 v6, v8, v5
	s_delay_alu instid0(VALU_DEP_1) | instskip(NEXT) | instid1(VALU_DEP_1)
	v_fma_f32 v4, -v4, v6, v7
	v_div_fmas_f32 v4, v4, v5, v6
	s_delay_alu instid0(VALU_DEP_1)
	v_div_fixup_f32 v3, v4, v2, v3
	global_store_b32 v[0:1], v3, off
	v_add_co_u32 v0, vcc_lo, v0, 4
	v_add_co_ci_u32_e32 v1, vcc_lo, 0, v1, vcc_lo
	s_cbranch_scc1 .LBB262_32
.LBB262_33:
	s_nop 0
	s_sendmsg sendmsg(MSG_DEALLOC_VGPRS)
	s_endpgm
	.section	.rodata,"a",@progbits
	.p2align	6, 0x0
	.amdhsa_kernel _ZN4vllm3moe10topkGatingILi8ELi64ELi4ELi16ELi32Ei6__halfLNS0_11ScoringFuncE1EEEvPKT5_PKbPfiPT4_PiiiibPKf
		.amdhsa_group_segment_fixed_size 0
		.amdhsa_private_segment_fixed_size 0
		.amdhsa_kernarg_size 72
		.amdhsa_user_sgpr_count 15
		.amdhsa_user_sgpr_dispatch_ptr 0
		.amdhsa_user_sgpr_queue_ptr 0
		.amdhsa_user_sgpr_kernarg_segment_ptr 1
		.amdhsa_user_sgpr_dispatch_id 0
		.amdhsa_user_sgpr_private_segment_size 0
		.amdhsa_wavefront_size32 1
		.amdhsa_uses_dynamic_stack 0
		.amdhsa_enable_private_segment 0
		.amdhsa_system_sgpr_workgroup_id_x 1
		.amdhsa_system_sgpr_workgroup_id_y 0
		.amdhsa_system_sgpr_workgroup_id_z 0
		.amdhsa_system_sgpr_workgroup_info 0
		.amdhsa_system_vgpr_workitem_id 1
		.amdhsa_next_free_vgpr 47
		.amdhsa_next_free_sgpr 20
		.amdhsa_reserve_vcc 1
		.amdhsa_float_round_mode_32 0
		.amdhsa_float_round_mode_16_64 0
		.amdhsa_float_denorm_mode_32 3
		.amdhsa_float_denorm_mode_16_64 3
		.amdhsa_dx10_clamp 1
		.amdhsa_ieee_mode 1
		.amdhsa_fp16_overflow 0
		.amdhsa_workgroup_processor_mode 1
		.amdhsa_memory_ordered 1
		.amdhsa_forward_progress 0
		.amdhsa_shared_vgpr_count 0
		.amdhsa_exception_fp_ieee_invalid_op 0
		.amdhsa_exception_fp_denorm_src 0
		.amdhsa_exception_fp_ieee_div_zero 0
		.amdhsa_exception_fp_ieee_overflow 0
		.amdhsa_exception_fp_ieee_underflow 0
		.amdhsa_exception_fp_ieee_inexact 0
		.amdhsa_exception_int_div_zero 0
	.end_amdhsa_kernel
	.section	.text._ZN4vllm3moe10topkGatingILi8ELi64ELi4ELi16ELi32Ei6__halfLNS0_11ScoringFuncE1EEEvPKT5_PKbPfiPT4_PiiiibPKf,"axG",@progbits,_ZN4vllm3moe10topkGatingILi8ELi64ELi4ELi16ELi32Ei6__halfLNS0_11ScoringFuncE1EEEvPKT5_PKbPfiPT4_PiiiibPKf,comdat
.Lfunc_end262:
	.size	_ZN4vllm3moe10topkGatingILi8ELi64ELi4ELi16ELi32Ei6__halfLNS0_11ScoringFuncE1EEEvPKT5_PKbPfiPT4_PiiiibPKf, .Lfunc_end262-_ZN4vllm3moe10topkGatingILi8ELi64ELi4ELi16ELi32Ei6__halfLNS0_11ScoringFuncE1EEEvPKT5_PKbPfiPT4_PiiiibPKf
                                        ; -- End function
	.section	.AMDGPU.csdata,"",@progbits
; Kernel info:
; codeLenInByte = 2892
; NumSgprs: 22
; NumVgprs: 47
; ScratchSize: 0
; MemoryBound: 0
; FloatMode: 240
; IeeeMode: 1
; LDSByteSize: 0 bytes/workgroup (compile time only)
; SGPRBlocks: 2
; VGPRBlocks: 5
; NumSGPRsForWavesPerEU: 22
; NumVGPRsForWavesPerEU: 47
; Occupancy: 16
; WaveLimiterHint : 0
; COMPUTE_PGM_RSRC2:SCRATCH_EN: 0
; COMPUTE_PGM_RSRC2:USER_SGPR: 15
; COMPUTE_PGM_RSRC2:TRAP_HANDLER: 0
; COMPUTE_PGM_RSRC2:TGID_X_EN: 1
; COMPUTE_PGM_RSRC2:TGID_Y_EN: 0
; COMPUTE_PGM_RSRC2:TGID_Z_EN: 0
; COMPUTE_PGM_RSRC2:TIDIG_COMP_CNT: 1
	.section	.text._ZN4vllm3moe10topkGatingILi8ELi128ELi4ELi16ELi64Ei6__halfLNS0_11ScoringFuncE1EEEvPKT5_PKbPfiPT4_PiiiibPKf,"axG",@progbits,_ZN4vllm3moe10topkGatingILi8ELi128ELi4ELi16ELi64Ei6__halfLNS0_11ScoringFuncE1EEEvPKT5_PKbPfiPT4_PiiiibPKf,comdat
	.protected	_ZN4vllm3moe10topkGatingILi8ELi128ELi4ELi16ELi64Ei6__halfLNS0_11ScoringFuncE1EEEvPKT5_PKbPfiPT4_PiiiibPKf ; -- Begin function _ZN4vllm3moe10topkGatingILi8ELi128ELi4ELi16ELi64Ei6__halfLNS0_11ScoringFuncE1EEEvPKT5_PKbPfiPT4_PiiiibPKf
	.globl	_ZN4vllm3moe10topkGatingILi8ELi128ELi4ELi16ELi64Ei6__halfLNS0_11ScoringFuncE1EEEvPKT5_PKbPfiPT4_PiiiibPKf
	.p2align	8
	.type	_ZN4vllm3moe10topkGatingILi8ELi128ELi4ELi16ELi64Ei6__halfLNS0_11ScoringFuncE1EEEvPKT5_PKbPfiPT4_PiiiibPKf,@function
_ZN4vllm3moe10topkGatingILi8ELi128ELi4ELi16ELi64Ei6__halfLNS0_11ScoringFuncE1EEEvPKT5_PKbPfiPT4_PiiiibPKf: ; @_ZN4vllm3moe10topkGatingILi8ELi128ELi4ELi16ELi64Ei6__halfLNS0_11ScoringFuncE1EEEvPKT5_PKbPfiPT4_PiiiibPKf
; %bb.0:
	s_load_b32 s18, s[0:1], 0x18
	v_bfe_u32 v1, v0, 10, 10
	v_and_b32_e32 v0, 0x3ff, v0
	s_lshl_b32 s2, s15, 4
	s_delay_alu instid0(VALU_DEP_2) | instskip(NEXT) | instid1(VALU_DEP_2)
	v_lshlrev_b32_e32 v1, 2, v1
	v_lshrrev_b32_e32 v2, 4, v0
	s_delay_alu instid0(VALU_DEP_1) | instskip(SKIP_2) | instid1(VALU_DEP_1)
	v_add3_u32 v16, s2, v1, v2
	s_mov_b32 s2, exec_lo
	s_waitcnt lgkmcnt(0)
	v_cmpx_gt_i32_e64 s18, v16
	s_cbranch_execz .LBB263_37
; %bb.1:
	s_clause 0x1
	s_load_b128 s[4:7], s[0:1], 0x0
	s_load_b64 s[16:17], s[0:1], 0x10
	s_mov_b32 s9, -1
	s_mov_b32 s19, -1
	s_waitcnt lgkmcnt(0)
	s_cmp_eq_u64 s[6:7], 0
	s_cbranch_scc1 .LBB263_3
; %bb.2:
	v_ashrrev_i32_e32 v2, 31, v16
	v_add_co_u32 v1, vcc_lo, s6, v16
	s_delay_alu instid0(VALU_DEP_2) | instskip(SKIP_3) | instid1(VALU_DEP_1)
	v_add_co_ci_u32_e32 v2, vcc_lo, s7, v2, vcc_lo
	global_load_u8 v1, v[1:2], off
	s_waitcnt vmcnt(0)
	v_and_b32_e32 v1, 1, v1
	v_cmp_eq_u32_e32 vcc_lo, 1, v1
	s_xor_b32 s2, vcc_lo, -1
	s_delay_alu instid0(SALU_CYCLE_1)
	s_or_not1_b32 s19, s2, exec_lo
.LBB263_3:
	v_lshlrev_b32_e32 v1, 7, v16
	v_and_b32_e32 v17, 15, v0
	s_load_b64 s[10:11], s[0:1], 0x40
	s_delay_alu instid0(VALU_DEP_2) | instskip(NEXT) | instid1(VALU_DEP_1)
	v_ashrrev_i32_e32 v2, 31, v1
	v_lshlrev_b64 v[0:1], 1, v[1:2]
	s_delay_alu instid0(VALU_DEP_3) | instskip(NEXT) | instid1(VALU_DEP_2)
	v_lshlrev_b32_e32 v2, 4, v17
	v_add_co_u32 v0, vcc_lo, s4, v0
	s_delay_alu instid0(VALU_DEP_3) | instskip(NEXT) | instid1(VALU_DEP_2)
	v_add_co_ci_u32_e32 v1, vcc_lo, s5, v1, vcc_lo
	v_add_co_u32 v0, vcc_lo, v0, v2
	s_delay_alu instid0(VALU_DEP_2)
	v_add_co_ci_u32_e32 v1, vcc_lo, 0, v1, vcc_lo
	s_waitcnt lgkmcnt(0)
	s_cmp_eq_u64 s[10:11], 0
	global_load_b128 v[0:3], v[0:1], off
	s_waitcnt vmcnt(0)
	v_cvt_f32_f16_e32 v4, v0
	v_lshrrev_b32_e32 v0, 16, v0
	v_cvt_f32_f16_e32 v5, v1
	v_lshrrev_b32_e32 v1, 16, v1
	;; [unrolled: 2-line block ×4, first 2 shown]
	v_dual_mul_f32 v4, 0xbfb8aa3b, v4 :: v_dual_mul_f32 v5, 0xbfb8aa3b, v5
	v_cvt_f32_f16_e32 v0, v0
	v_cvt_f32_f16_e32 v1, v1
	v_cvt_f32_f16_e32 v2, v2
	v_cvt_f32_f16_e32 v3, v3
	v_dual_mul_f32 v6, 0xbfb8aa3b, v6 :: v_dual_mul_f32 v7, 0xbfb8aa3b, v7
	v_exp_f32_e32 v4, v4
	v_dual_mul_f32 v0, 0xbfb8aa3b, v0 :: v_dual_mul_f32 v1, 0xbfb8aa3b, v1
	v_exp_f32_e32 v5, v5
	s_delay_alu instid0(VALU_DEP_2)
	v_exp_f32_e32 v6, v6
	v_mul_f32_e32 v2, 0xbfb8aa3b, v2
	v_exp_f32_e32 v7, v7
	v_dual_mul_f32 v3, 0xbfb8aa3b, v3 :: v_dual_lshlrev_b32 v18, 3, v17
	v_exp_f32_e32 v0, v0
	v_exp_f32_e32 v1, v1
	;; [unrolled: 1-line block ×3, first 2 shown]
	s_delay_alu instid0(VALU_DEP_1) | instskip(SKIP_2) | instid1(VALU_DEP_2)
	v_exp_f32_e32 v3, v3
	v_dual_add_f32 v4, 1.0, v4 :: v_dual_add_f32 v5, 1.0, v5
	v_dual_add_f32 v6, 1.0, v6 :: v_dual_add_f32 v7, 1.0, v7
	v_div_scale_f32 v8, null, v4, v4, 1.0
	s_delay_alu instid0(TRANS32_DEP_3) | instskip(NEXT) | instid1(VALU_DEP_4)
	v_dual_add_f32 v0, 1.0, v0 :: v_dual_add_f32 v1, 1.0, v1
	v_div_scale_f32 v10, null, v5, v5, 1.0
	s_delay_alu instid0(VALU_DEP_4) | instskip(NEXT) | instid1(TRANS32_DEP_1)
	v_div_scale_f32 v12, null, v6, v6, 1.0
	v_dual_add_f32 v14, 1.0, v2 :: v_dual_add_f32 v19, 1.0, v3
	v_div_scale_f32 v2, null, v7, v7, 1.0
	v_rcp_f32_e32 v3, v8
	v_div_scale_f32 v20, null, v0, v0, 1.0
	v_rcp_f32_e32 v22, v10
	;; [unrolled: 2-line block ×3, first 2 shown]
	v_rcp_f32_e32 v28, v2
	v_div_scale_f32 v29, null, v19, v19, 1.0
	v_rcp_f32_e32 v30, v20
	v_div_scale_f32 v26, null, v14, v14, 1.0
	v_rcp_f32_e32 v32, v23
	v_fma_f32 v34, -v8, v3, 1.0
	v_rcp_f32_e32 v35, v29
	v_div_scale_f32 v9, vcc_lo, 1.0, v4, 1.0
	v_rcp_f32_e32 v33, v26
	v_fma_f32 v36, -v10, v22, 1.0
	v_fma_f32 v37, -v12, v25, 1.0
	;; [unrolled: 1-line block ×3, first 2 shown]
	v_fmac_f32_e32 v3, v34, v3
	v_fma_f32 v34, -v20, v30, 1.0
	v_fmac_f32_e32 v22, v36, v22
	v_div_scale_f32 v11, s2, 1.0, v5, 1.0
	v_fma_f32 v36, -v23, v32, 1.0
	v_dual_fmac_f32 v25, v37, v25 :: v_dual_fmac_f32 v28, v38, v28
	v_fma_f32 v38, -v29, v35, 1.0
	v_dual_mul_f32 v39, v9, v3 :: v_dual_fmac_f32 v30, v34, v30
	v_div_scale_f32 v21, s5, 1.0, v0, 1.0
	v_div_scale_f32 v24, s6, 1.0, v1, 1.0
	v_fma_f32 v37, -v26, v33, 1.0
	v_mul_f32_e32 v34, v11, v22
	v_dual_fmac_f32 v32, v36, v32 :: v_dual_fmac_f32 v35, v38, v35
	v_fma_f32 v38, -v8, v39, v9
	v_mul_f32_e32 v40, v21, v30
	v_div_scale_f32 v13, s3, 1.0, v6, 1.0
	v_div_scale_f32 v15, s4, 1.0, v7, 1.0
	s_delay_alu instid0(VALU_DEP_4)
	v_fmac_f32_e32 v39, v38, v3
	v_fmac_f32_e32 v33, v37, v33
	v_fma_f32 v41, -v10, v34, v11
	v_mul_f32_e32 v42, v24, v32
	v_fma_f32 v38, -v20, v40, v21
	v_div_scale_f32 v27, s7, 1.0, v14, 1.0
	v_dual_mul_f32 v36, v13, v25 :: v_dual_mul_f32 v37, v15, v28
	v_fmac_f32_e32 v34, v41, v22
	v_fma_f32 v41, -v23, v42, v24
	v_fma_f32 v8, -v8, v39, v9
	v_fmac_f32_e32 v40, v38, v30
	v_fma_f32 v43, -v12, v36, v13
	v_fma_f32 v45, -v2, v37, v15
	v_mul_f32_e32 v44, v27, v33
	v_fmac_f32_e32 v42, v41, v32
	v_div_fmas_f32 v3, v8, v3, v39
	v_fma_f32 v8, -v20, v40, v21
	v_fmac_f32_e32 v37, v45, v28
	v_fma_f32 v9, -v10, v34, v11
	v_fmac_f32_e32 v36, v43, v25
	v_fma_f32 v43, -v26, v44, v27
	s_mov_b32 vcc_lo, s5
	v_fma_f32 v11, -v23, v42, v24
	v_div_fixup_f32 v3, v3, v4, 1.0
	v_div_fmas_f32 v4, v8, v30, v40
	s_mov_b32 vcc_lo, s2
	v_fmac_f32_e32 v44, v43, v33
	v_div_fmas_f32 v8, v9, v22, v34
	s_mov_b32 vcc_lo, s6
	v_fma_f32 v10, -v12, v36, v13
	v_div_fmas_f32 v9, v11, v32, v42
	v_cmp_class_f32_e64 vcc_lo, v3, 0x1f8
	v_fma_f32 v12, -v26, v44, v27
	v_div_fixup_f32 v4, v4, v0, 1.0
	v_div_scale_f32 v31, s8, 1.0, v19, 1.0
	v_cndmask_b32_e32 v0, 0, v3, vcc_lo
	s_mov_b32 vcc_lo, s3
	v_fma_f32 v2, -v2, v37, v15
	v_div_fmas_f32 v3, v10, v25, v36
	s_mov_b32 vcc_lo, s7
	v_div_fixup_f32 v5, v8, v5, 1.0
	v_div_fmas_f32 v8, v12, v33, v44
	s_mov_b32 vcc_lo, s4
	v_div_fixup_f32 v9, v9, v1, 1.0
	v_div_fmas_f32 v10, v2, v28, v37
	v_cmp_class_f32_e64 vcc_lo, v4, 0x1f8
	v_mul_f32_e32 v46, v31, v35
	s_delay_alu instid0(VALU_DEP_3) | instskip(SKIP_1) | instid1(VALU_DEP_3)
	v_div_fixup_f32 v7, v10, v7, 1.0
	v_cndmask_b32_e32 v1, 0, v4, vcc_lo
	v_fma_f32 v45, -v29, v46, v31
	s_mov_b32 vcc_lo, s8
	v_div_fixup_f32 v4, v3, v6, 1.0
	s_delay_alu instid0(VALU_DEP_2) | instskip(NEXT) | instid1(VALU_DEP_1)
	v_fmac_f32_e32 v46, v45, v35
	v_fma_f32 v13, -v29, v46, v31
	s_delay_alu instid0(VALU_DEP_1)
	v_div_fmas_f32 v6, v13, v35, v46
	v_cmp_class_f32_e64 vcc_lo, v5, 0x1f8
	v_cndmask_b32_e32 v2, 0, v5, vcc_lo
	v_cmp_class_f32_e64 vcc_lo, v9, 0x1f8
	v_div_fixup_f32 v5, v8, v14, 1.0
	v_div_fixup_f32 v8, v6, v19, 1.0
	v_cndmask_b32_e32 v3, 0, v9, vcc_lo
	v_cmp_class_f32_e64 vcc_lo, v4, 0x1f8
	v_cndmask_b32_e32 v4, 0, v4, vcc_lo
	v_cmp_class_f32_e64 vcc_lo, v5, 0x1f8
	;; [unrolled: 2-line block ×4, first 2 shown]
	v_cndmask_b32_e32 v7, 0, v8, vcc_lo
	s_cbranch_scc1 .LBB263_31
; %bb.4:
	v_lshlrev_b32_e32 v12, 2, v18
	s_clause 0x1
	global_load_b128 v[8:11], v12, s[10:11]
	global_load_b128 v[12:15], v12, s[10:11] offset:16
	s_waitcnt vmcnt(1)
	v_dual_add_f32 v9, v9, v1 :: v_dual_add_f32 v8, v8, v0
	v_dual_add_f32 v11, v11, v3 :: v_dual_add_f32 v10, v10, v2
	s_waitcnt vmcnt(0)
	v_dual_add_f32 v13, v13, v5 :: v_dual_add_f32 v12, v12, v4
	v_dual_add_f32 v15, v15, v7 :: v_dual_add_f32 v14, v14, v6
	s_cbranch_execnz .LBB263_6
.LBB263_5:
	v_dual_mov_b32 v15, v7 :: v_dual_mov_b32 v14, v6
	v_dual_mov_b32 v13, v5 :: v_dual_mov_b32 v12, v4
	;; [unrolled: 1-line block ×4, first 2 shown]
.LBB263_6:
	s_load_b128 s[8:11], s[0:1], 0x30
	v_cmp_eq_u32_e64 s2, 0, v17
	s_mov_b32 s6, 0
	s_waitcnt lgkmcnt(0)
	s_bitcmp1_b32 s11, 0
	s_cselect_b32 vcc_lo, -1, 0
	s_cmp_gt_i32 s8, 0
	s_cselect_b32 s5, -1, 0
	s_cmp_lt_i32 s8, 1
	s_cbranch_scc1 .LBB263_32
; %bb.7:
	v_mbcnt_lo_u32_b32 v19, -1, 0
	s_load_b128 s[12:15], s[0:1], 0x20
	s_delay_alu instid0(VALU_DEP_1)
	v_dual_mov_b32 v25, v16 :: v_dual_and_b32 v20, 16, v19
	v_xor_b32_e32 v21, 8, v19
	v_xor_b32_e32 v22, 4, v19
	;; [unrolled: 1-line block ×4, first 2 shown]
	v_add_nc_u32_e32 v20, 16, v20
	s_delay_alu instid0(VALU_DEP_1) | instskip(NEXT) | instid1(VALU_DEP_1)
	v_cmp_lt_i32_e64 s0, v21, v20
	v_cndmask_b32_e64 v21, v19, v21, s0
	v_cmp_lt_i32_e64 s0, v22, v20
	s_delay_alu instid0(VALU_DEP_2) | instskip(NEXT) | instid1(VALU_DEP_2)
	v_lshlrev_b32_e32 v21, 2, v21
	v_cndmask_b32_e64 v22, v19, v22, s0
	v_cmp_lt_i32_e64 s0, v23, v20
	s_delay_alu instid0(VALU_DEP_2) | instskip(NEXT) | instid1(VALU_DEP_2)
	v_lshlrev_b32_e32 v22, 2, v22
	v_cndmask_b32_e64 v23, v19, v23, s0
	v_cmp_lt_i32_e64 s0, v24, v20
	v_mul_lo_u32 v20, v16, s8
	s_delay_alu instid0(VALU_DEP_3) | instskip(NEXT) | instid1(VALU_DEP_3)
	v_lshlrev_b32_e32 v23, 2, v23
	v_cndmask_b32_e64 v19, v19, v24, s0
	s_delay_alu instid0(VALU_DEP_1)
	v_dual_mov_b32 v19, 0 :: v_dual_lshlrev_b32 v24, 2, v19
	s_branch .LBB263_10
.LBB263_8:                              ;   in Loop: Header=BB263_10 Depth=1
	s_or_b32 exec_lo, exec_lo, s1
.LBB263_9:                              ;   in Loop: Header=BB263_10 Depth=1
	v_add_nc_u32_e32 v25, s18, v25
	s_cmp_eq_u32 s8, s6
	s_cbranch_scc1 .LBB263_33
.LBB263_10:                             ; =>This Inner Loop Header: Depth=1
	v_cmp_gt_f32_e64 s0, v9, v8
	s_delay_alu instid0(VALU_DEP_1) | instskip(SKIP_2) | instid1(VALU_DEP_3)
	v_cndmask_b32_e64 v27, v8, v9, s0
	v_cndmask_b32_e64 v26, 0, 1, s0
	;; [unrolled: 1-line block ×3, first 2 shown]
	v_cmp_gt_f32_e64 s1, v10, v27
	s_delay_alu instid0(VALU_DEP_1) | instskip(NEXT) | instid1(VALU_DEP_4)
	v_cndmask_b32_e64 v27, v27, v10, s1
	v_cndmask_b32_e64 v26, v26, 2, s1
	s_delay_alu instid0(VALU_DEP_4) | instskip(NEXT) | instid1(VALU_DEP_3)
	v_cndmask_b32_e64 v28, v28, v2, s1
	v_cmp_gt_f32_e64 s3, v11, v27
	s_delay_alu instid0(VALU_DEP_1) | instskip(NEXT) | instid1(VALU_DEP_4)
	v_cndmask_b32_e64 v27, v27, v11, s3
	v_cndmask_b32_e64 v26, v26, 3, s3
	s_delay_alu instid0(VALU_DEP_4) | instskip(NEXT) | instid1(VALU_DEP_3)
	v_cndmask_b32_e64 v28, v28, v3, s3
	v_cmp_gt_f32_e64 s4, v12, v27
	s_delay_alu instid0(VALU_DEP_1) | instskip(NEXT) | instid1(VALU_DEP_4)
	v_cndmask_b32_e64 v27, v27, v12, s4
	v_cndmask_b32_e64 v26, v26, 4, s4
	s_delay_alu instid0(VALU_DEP_4) | instskip(SKIP_1) | instid1(VALU_DEP_3)
	v_cndmask_b32_e64 v28, v28, v4, s4
	s_mov_b32 s4, exec_lo
	v_cmp_gt_f32_e64 s0, v13, v27
	s_delay_alu instid0(VALU_DEP_1) | instskip(SKIP_2) | instid1(VALU_DEP_3)
	v_cndmask_b32_e64 v27, v27, v13, s0
	v_cndmask_b32_e64 v26, v26, 5, s0
	;; [unrolled: 1-line block ×3, first 2 shown]
	v_cmp_gt_f32_e64 s1, v14, v27
	s_delay_alu instid0(VALU_DEP_1) | instskip(NEXT) | instid1(VALU_DEP_4)
	v_cndmask_b32_e64 v27, v27, v14, s1
	v_cndmask_b32_e64 v26, v26, 6, s1
	s_waitcnt lgkmcnt(0)
	v_cndmask_b32_e64 v29, v28, v6, s1
	s_delay_alu instid0(VALU_DEP_3) | instskip(NEXT) | instid1(VALU_DEP_1)
	v_cmp_gt_f32_e64 s0, v15, v27
	v_cndmask_b32_e64 v26, v26, 7, s0
	v_cndmask_b32_e64 v28, v27, v15, s0
	s_delay_alu instid0(VALU_DEP_4) | instskip(NEXT) | instid1(VALU_DEP_3)
	v_cndmask_b32_e64 v27, v29, v7, s0
	v_or_b32_e32 v26, v18, v26
	ds_bpermute_b32 v29, v21, v28
	ds_bpermute_b32 v31, v21, v27
	;; [unrolled: 1-line block ×3, first 2 shown]
	s_waitcnt lgkmcnt(0)
	v_cmp_lt_f32_e64 s3, v28, v29
	v_cmpx_nlt_f32_e32 v28, v29
; %bb.11:                               ;   in Loop: Header=BB263_10 Depth=1
	v_cmp_eq_f32_e64 s0, v28, v29
	v_cmp_lt_i32_e64 s1, v30, v26
	s_delay_alu instid0(VALU_DEP_1) | instskip(SKIP_2) | instid1(SALU_CYCLE_1)
	s_and_b32 s0, s0, s1
	s_and_not1_b32 s1, s3, exec_lo
	s_and_b32 s0, s0, exec_lo
	s_or_b32 s3, s1, s0
; %bb.12:                               ;   in Loop: Header=BB263_10 Depth=1
	s_or_b32 exec_lo, exec_lo, s4
	s_and_saveexec_b32 s0, s3
; %bb.13:                               ;   in Loop: Header=BB263_10 Depth=1
	v_dual_mov_b32 v27, v31 :: v_dual_mov_b32 v28, v29
	v_mov_b32_e32 v26, v30
; %bb.14:                               ;   in Loop: Header=BB263_10 Depth=1
	s_or_b32 exec_lo, exec_lo, s0
	ds_bpermute_b32 v29, v22, v28
	ds_bpermute_b32 v31, v22, v27
	;; [unrolled: 1-line block ×3, first 2 shown]
	s_mov_b32 s4, exec_lo
	s_waitcnt lgkmcnt(2)
	v_cmp_lt_f32_e64 s3, v28, v29
	v_cmpx_nlt_f32_e32 v28, v29
	s_cbranch_execz .LBB263_16
; %bb.15:                               ;   in Loop: Header=BB263_10 Depth=1
	v_cmp_eq_f32_e64 s0, v28, v29
	s_waitcnt lgkmcnt(0)
	v_cmp_lt_i32_e64 s1, v30, v26
	s_delay_alu instid0(VALU_DEP_1) | instskip(SKIP_2) | instid1(SALU_CYCLE_1)
	s_and_b32 s0, s0, s1
	s_and_not1_b32 s1, s3, exec_lo
	s_and_b32 s0, s0, exec_lo
	s_or_b32 s3, s1, s0
.LBB263_16:                             ;   in Loop: Header=BB263_10 Depth=1
	s_or_b32 exec_lo, exec_lo, s4
	s_delay_alu instid0(VALU_DEP_2)
	s_and_saveexec_b32 s0, s3
	s_cbranch_execz .LBB263_18
; %bb.17:                               ;   in Loop: Header=BB263_10 Depth=1
	s_waitcnt lgkmcnt(1)
	v_dual_mov_b32 v27, v31 :: v_dual_mov_b32 v28, v29
	s_waitcnt lgkmcnt(0)
	v_mov_b32_e32 v26, v30
.LBB263_18:                             ;   in Loop: Header=BB263_10 Depth=1
	s_or_b32 exec_lo, exec_lo, s0
	ds_bpermute_b32 v29, v23, v28
	s_waitcnt lgkmcnt(2)
	ds_bpermute_b32 v31, v23, v27
	s_waitcnt lgkmcnt(2)
	ds_bpermute_b32 v30, v23, v26
	s_mov_b32 s4, exec_lo
	s_waitcnt lgkmcnt(2)
	v_cmp_lt_f32_e64 s3, v28, v29
	v_cmpx_nlt_f32_e32 v28, v29
	s_cbranch_execz .LBB263_20
; %bb.19:                               ;   in Loop: Header=BB263_10 Depth=1
	v_cmp_eq_f32_e64 s0, v28, v29
	s_waitcnt lgkmcnt(0)
	v_cmp_lt_i32_e64 s1, v30, v26
	s_delay_alu instid0(VALU_DEP_1) | instskip(SKIP_2) | instid1(SALU_CYCLE_1)
	s_and_b32 s0, s0, s1
	s_and_not1_b32 s1, s3, exec_lo
	s_and_b32 s0, s0, exec_lo
	s_or_b32 s3, s1, s0
.LBB263_20:                             ;   in Loop: Header=BB263_10 Depth=1
	s_or_b32 exec_lo, exec_lo, s4
	s_delay_alu instid0(VALU_DEP_2)
	s_and_saveexec_b32 s0, s3
	s_cbranch_execz .LBB263_22
; %bb.21:                               ;   in Loop: Header=BB263_10 Depth=1
	s_waitcnt lgkmcnt(1)
	v_dual_mov_b32 v27, v31 :: v_dual_mov_b32 v28, v29
	s_waitcnt lgkmcnt(0)
	v_mov_b32_e32 v26, v30
.LBB263_22:                             ;   in Loop: Header=BB263_10 Depth=1
	s_or_b32 exec_lo, exec_lo, s0
	s_waitcnt lgkmcnt(1)
	ds_bpermute_b32 v31, v24, v28
	ds_bpermute_b32 v29, v24, v27
	s_waitcnt lgkmcnt(2)
	ds_bpermute_b32 v30, v24, v26
	s_mov_b32 s4, exec_lo
	s_waitcnt lgkmcnt(2)
	v_cmp_lt_f32_e64 s3, v28, v31
	v_cmpx_nlt_f32_e32 v28, v31
	s_cbranch_execnz .LBB263_26
; %bb.23:                               ;   in Loop: Header=BB263_10 Depth=1
	s_or_b32 exec_lo, exec_lo, s4
	s_delay_alu instid0(VALU_DEP_2)
	s_and_saveexec_b32 s0, s3
	s_cbranch_execnz .LBB263_27
.LBB263_24:                             ;   in Loop: Header=BB263_10 Depth=1
	s_or_b32 exec_lo, exec_lo, s0
	s_and_saveexec_b32 s3, s2
	s_cbranch_execnz .LBB263_28
.LBB263_25:                             ;   in Loop: Header=BB263_10 Depth=1
	s_or_b32 exec_lo, exec_lo, s3
	s_add_i32 s6, s6, 1
	s_delay_alu instid0(SALU_CYCLE_1)
	s_cmp_ge_i32 s6, s8
	s_cbranch_scc1 .LBB263_9
	s_branch .LBB263_29
.LBB263_26:                             ;   in Loop: Header=BB263_10 Depth=1
	v_cmp_eq_f32_e64 s0, v28, v31
	s_waitcnt lgkmcnt(0)
	v_cmp_lt_i32_e64 s1, v30, v26
	s_delay_alu instid0(VALU_DEP_1) | instskip(SKIP_2) | instid1(SALU_CYCLE_1)
	s_and_b32 s0, s0, s1
	s_and_not1_b32 s1, s3, exec_lo
	s_and_b32 s0, s0, exec_lo
	s_or_b32 s3, s1, s0
	s_or_b32 exec_lo, exec_lo, s4
	s_and_saveexec_b32 s0, s3
	s_cbranch_execz .LBB263_24
.LBB263_27:                             ;   in Loop: Header=BB263_10 Depth=1
	s_waitcnt lgkmcnt(0)
	v_dual_mov_b32 v26, v30 :: v_dual_mov_b32 v27, v29
	s_or_b32 exec_lo, exec_lo, s0
	s_and_saveexec_b32 s3, s2
	s_cbranch_execz .LBB263_25
.LBB263_28:                             ;   in Loop: Header=BB263_10 Depth=1
	s_delay_alu instid0(VALU_DEP_1)
	v_dual_add_f32 v35, v19, v27 :: v_dual_add_nc_u32 v28, s6, v20
	v_cmp_le_i32_e64 s0, s9, v26
	v_cmp_gt_i32_e64 s1, s10, v26
	s_waitcnt lgkmcnt(0)
	v_subrev_nc_u32_e32 v30, s9, v26
	v_ashrrev_i32_e32 v29, 31, v28
	v_cndmask_b32_e32 v19, v19, v35, vcc_lo
	s_and_b32 s0, s0, s1
	s_delay_alu instid0(SALU_CYCLE_1) | instskip(NEXT) | instid1(VALU_DEP_2)
	s_and_b32 s0, s19, s0
	v_lshlrev_b64 v[28:29], 2, v[28:29]
	v_cndmask_b32_e64 v34, 0x80, v30, s0
	s_delay_alu instid0(VALU_DEP_2) | instskip(NEXT) | instid1(VALU_DEP_1)
	v_add_co_u32 v30, s0, s16, v28
	v_add_co_ci_u32_e64 v31, s0, s17, v29, s0
	v_add_co_u32 v32, s0, s12, v28
	s_delay_alu instid0(VALU_DEP_1) | instskip(SKIP_1) | instid1(VALU_DEP_1)
	v_add_co_ci_u32_e64 v33, s0, s13, v29, s0
	v_add_co_u32 v28, s0, s14, v28
	v_add_co_ci_u32_e64 v29, s0, s15, v29, s0
	global_store_b32 v[30:31], v27, off
	global_store_b32 v[32:33], v34, off
	;; [unrolled: 1-line block ×3, first 2 shown]
	s_or_b32 exec_lo, exec_lo, s3
	s_add_i32 s6, s6, 1
	s_delay_alu instid0(SALU_CYCLE_1)
	s_cmp_ge_i32 s6, s8
	s_cbranch_scc1 .LBB263_9
.LBB263_29:                             ;   in Loop: Header=BB263_10 Depth=1
	v_ashrrev_i32_e32 v28, 31, v26
	s_mov_b32 s1, exec_lo
	s_delay_alu instid0(VALU_DEP_1) | instskip(NEXT) | instid1(VALU_DEP_1)
	v_lshrrev_b32_e32 v27, 29, v28
	v_add_nc_u32_e32 v27, v26, v27
	s_delay_alu instid0(VALU_DEP_1) | instskip(SKIP_1) | instid1(VALU_DEP_1)
	v_ashrrev_i32_e32 v27, 3, v27
	s_waitcnt lgkmcnt(1)
	v_lshrrev_b32_e32 v29, 28, v27
	s_delay_alu instid0(VALU_DEP_1) | instskip(NEXT) | instid1(VALU_DEP_1)
	v_add_nc_u32_e32 v29, v27, v29
	v_and_b32_e32 v29, -16, v29
	s_delay_alu instid0(VALU_DEP_1) | instskip(NEXT) | instid1(VALU_DEP_1)
	v_sub_nc_u32_e32 v29, v27, v29
	v_cmpx_eq_u32_e64 v17, v29
	s_cbranch_execz .LBB263_8
; %bb.30:                               ;   in Loop: Header=BB263_10 Depth=1
	v_lshrrev_b32_e32 v28, 25, v28
	v_lshlrev_b32_e32 v27, 3, v27
	s_delay_alu instid0(VALU_DEP_2) | instskip(NEXT) | instid1(VALU_DEP_2)
	v_add_nc_u32_e32 v28, v26, v28
	v_sub_nc_u32_e32 v26, v26, v27
	s_delay_alu instid0(VALU_DEP_2) | instskip(NEXT) | instid1(VALU_DEP_1)
	v_ashrrev_i32_e32 v27, 7, v28
	v_lshl_add_u32 v26, v27, 3, v26
	s_delay_alu instid0(VALU_DEP_1) | instskip(NEXT) | instid1(VALU_DEP_1)
	v_cmp_ne_u32_e64 s0, 7, v26
	v_cndmask_b32_e64 v15, 0xc61c4000, v15, s0
	v_cmp_ne_u32_e64 s0, 6, v26
	s_delay_alu instid0(VALU_DEP_1) | instskip(SKIP_1) | instid1(VALU_DEP_1)
	v_cndmask_b32_e64 v14, 0xc61c4000, v14, s0
	v_cmp_ne_u32_e64 s0, 5, v26
	v_cndmask_b32_e64 v13, 0xc61c4000, v13, s0
	v_cmp_ne_u32_e64 s0, 4, v26
	s_delay_alu instid0(VALU_DEP_1) | instskip(SKIP_1) | instid1(VALU_DEP_1)
	v_cndmask_b32_e64 v12, 0xc61c4000, v12, s0
	;; [unrolled: 5-line block ×3, first 2 shown]
	v_cmp_ne_u32_e64 s0, 1, v26
	v_cndmask_b32_e64 v9, 0xc61c4000, v9, s0
	v_cmp_ne_u32_e64 s0, 0, v26
	s_delay_alu instid0(VALU_DEP_1)
	v_cndmask_b32_e64 v8, 0xc61c4000, v8, s0
	s_branch .LBB263_8
.LBB263_31:
                                        ; implicit-def: $vgpr8_vgpr9_vgpr10_vgpr11_vgpr12_vgpr13_vgpr14_vgpr15
	s_and_not1_b32 vcc_lo, exec_lo, s9
	s_cbranch_vccz .LBB263_5
	s_branch .LBB263_6
.LBB263_32:
	v_mov_b32_e32 v19, 0
.LBB263_33:
	v_cmp_eq_u32_e64 s0, 0, v17
	s_delay_alu instid0(VALU_DEP_1) | instskip(NEXT) | instid1(SALU_CYCLE_1)
	s_and_b32 s0, s0, vcc_lo
	s_and_b32 exec_lo, exec_lo, s0
	s_cbranch_execz .LBB263_37
; %bb.34:
	s_and_not1_b32 vcc_lo, exec_lo, s5
	s_cbranch_vccnz .LBB263_37
; %bb.35:
	v_mul_lo_u32 v0, v16, s8
	v_cmp_lt_f32_e32 vcc_lo, 0, v19
	v_cndmask_b32_e32 v2, 1.0, v19, vcc_lo
	s_delay_alu instid0(VALU_DEP_3) | instskip(NEXT) | instid1(VALU_DEP_1)
	v_ashrrev_i32_e32 v1, 31, v0
	v_lshlrev_b64 v[0:1], 2, v[0:1]
	s_delay_alu instid0(VALU_DEP_1) | instskip(NEXT) | instid1(VALU_DEP_2)
	v_add_co_u32 v0, vcc_lo, s16, v0
	v_add_co_ci_u32_e32 v1, vcc_lo, s17, v1, vcc_lo
	.p2align	6
.LBB263_36:                             ; =>This Inner Loop Header: Depth=1
	global_load_b32 v3, v[0:1], off
	s_add_i32 s8, s8, -1
	s_delay_alu instid0(SALU_CYCLE_1) | instskip(SKIP_3) | instid1(VALU_DEP_2)
	s_cmp_lg_u32 s8, 0
	s_waitcnt vmcnt(0)
	v_div_scale_f32 v4, null, v2, v2, v3
	v_div_scale_f32 v7, vcc_lo, v3, v2, v3
	v_rcp_f32_e32 v5, v4
	s_waitcnt_depctr 0xfff
	v_fma_f32 v6, -v4, v5, 1.0
	s_delay_alu instid0(VALU_DEP_1) | instskip(NEXT) | instid1(VALU_DEP_1)
	v_fmac_f32_e32 v5, v6, v5
	v_mul_f32_e32 v6, v7, v5
	s_delay_alu instid0(VALU_DEP_1) | instskip(NEXT) | instid1(VALU_DEP_1)
	v_fma_f32 v8, -v4, v6, v7
	v_fmac_f32_e32 v6, v8, v5
	s_delay_alu instid0(VALU_DEP_1) | instskip(NEXT) | instid1(VALU_DEP_1)
	v_fma_f32 v4, -v4, v6, v7
	v_div_fmas_f32 v4, v4, v5, v6
	s_delay_alu instid0(VALU_DEP_1)
	v_div_fixup_f32 v3, v4, v2, v3
	global_store_b32 v[0:1], v3, off
	v_add_co_u32 v0, vcc_lo, v0, 4
	v_add_co_ci_u32_e32 v1, vcc_lo, 0, v1, vcc_lo
	s_cbranch_scc1 .LBB263_36
.LBB263_37:
	s_nop 0
	s_sendmsg sendmsg(MSG_DEALLOC_VGPRS)
	s_endpgm
	.section	.rodata,"a",@progbits
	.p2align	6, 0x0
	.amdhsa_kernel _ZN4vllm3moe10topkGatingILi8ELi128ELi4ELi16ELi64Ei6__halfLNS0_11ScoringFuncE1EEEvPKT5_PKbPfiPT4_PiiiibPKf
		.amdhsa_group_segment_fixed_size 0
		.amdhsa_private_segment_fixed_size 0
		.amdhsa_kernarg_size 72
		.amdhsa_user_sgpr_count 15
		.amdhsa_user_sgpr_dispatch_ptr 0
		.amdhsa_user_sgpr_queue_ptr 0
		.amdhsa_user_sgpr_kernarg_segment_ptr 1
		.amdhsa_user_sgpr_dispatch_id 0
		.amdhsa_user_sgpr_private_segment_size 0
		.amdhsa_wavefront_size32 1
		.amdhsa_uses_dynamic_stack 0
		.amdhsa_enable_private_segment 0
		.amdhsa_system_sgpr_workgroup_id_x 1
		.amdhsa_system_sgpr_workgroup_id_y 0
		.amdhsa_system_sgpr_workgroup_id_z 0
		.amdhsa_system_sgpr_workgroup_info 0
		.amdhsa_system_vgpr_workitem_id 1
		.amdhsa_next_free_vgpr 47
		.amdhsa_next_free_sgpr 20
		.amdhsa_reserve_vcc 1
		.amdhsa_float_round_mode_32 0
		.amdhsa_float_round_mode_16_64 0
		.amdhsa_float_denorm_mode_32 3
		.amdhsa_float_denorm_mode_16_64 3
		.amdhsa_dx10_clamp 1
		.amdhsa_ieee_mode 1
		.amdhsa_fp16_overflow 0
		.amdhsa_workgroup_processor_mode 1
		.amdhsa_memory_ordered 1
		.amdhsa_forward_progress 0
		.amdhsa_shared_vgpr_count 0
		.amdhsa_exception_fp_ieee_invalid_op 0
		.amdhsa_exception_fp_denorm_src 0
		.amdhsa_exception_fp_ieee_div_zero 0
		.amdhsa_exception_fp_ieee_overflow 0
		.amdhsa_exception_fp_ieee_underflow 0
		.amdhsa_exception_fp_ieee_inexact 0
		.amdhsa_exception_int_div_zero 0
	.end_amdhsa_kernel
	.section	.text._ZN4vllm3moe10topkGatingILi8ELi128ELi4ELi16ELi64Ei6__halfLNS0_11ScoringFuncE1EEEvPKT5_PKbPfiPT4_PiiiibPKf,"axG",@progbits,_ZN4vllm3moe10topkGatingILi8ELi128ELi4ELi16ELi64Ei6__halfLNS0_11ScoringFuncE1EEEvPKT5_PKbPfiPT4_PiiiibPKf,comdat
.Lfunc_end263:
	.size	_ZN4vllm3moe10topkGatingILi8ELi128ELi4ELi16ELi64Ei6__halfLNS0_11ScoringFuncE1EEEvPKT5_PKbPfiPT4_PiiiibPKf, .Lfunc_end263-_ZN4vllm3moe10topkGatingILi8ELi128ELi4ELi16ELi64Ei6__halfLNS0_11ScoringFuncE1EEEvPKT5_PKbPfiPT4_PiiiibPKf
                                        ; -- End function
	.section	.AMDGPU.csdata,"",@progbits
; Kernel info:
; codeLenInByte = 3060
; NumSgprs: 22
; NumVgprs: 47
; ScratchSize: 0
; MemoryBound: 0
; FloatMode: 240
; IeeeMode: 1
; LDSByteSize: 0 bytes/workgroup (compile time only)
; SGPRBlocks: 2
; VGPRBlocks: 5
; NumSGPRsForWavesPerEU: 22
; NumVGPRsForWavesPerEU: 47
; Occupancy: 16
; WaveLimiterHint : 0
; COMPUTE_PGM_RSRC2:SCRATCH_EN: 0
; COMPUTE_PGM_RSRC2:USER_SGPR: 15
; COMPUTE_PGM_RSRC2:TRAP_HANDLER: 0
; COMPUTE_PGM_RSRC2:TGID_X_EN: 1
; COMPUTE_PGM_RSRC2:TGID_Y_EN: 0
; COMPUTE_PGM_RSRC2:TGID_Z_EN: 0
; COMPUTE_PGM_RSRC2:TIDIG_COMP_CNT: 1
	.section	.text._ZN4vllm3moe10topkGatingILi8ELi128ELi4ELi16ELi32Ei6__halfLNS0_11ScoringFuncE1EEEvPKT5_PKbPfiPT4_PiiiibPKf,"axG",@progbits,_ZN4vllm3moe10topkGatingILi8ELi128ELi4ELi16ELi32Ei6__halfLNS0_11ScoringFuncE1EEEvPKT5_PKbPfiPT4_PiiiibPKf,comdat
	.protected	_ZN4vllm3moe10topkGatingILi8ELi128ELi4ELi16ELi32Ei6__halfLNS0_11ScoringFuncE1EEEvPKT5_PKbPfiPT4_PiiiibPKf ; -- Begin function _ZN4vllm3moe10topkGatingILi8ELi128ELi4ELi16ELi32Ei6__halfLNS0_11ScoringFuncE1EEEvPKT5_PKbPfiPT4_PiiiibPKf
	.globl	_ZN4vllm3moe10topkGatingILi8ELi128ELi4ELi16ELi32Ei6__halfLNS0_11ScoringFuncE1EEEvPKT5_PKbPfiPT4_PiiiibPKf
	.p2align	8
	.type	_ZN4vllm3moe10topkGatingILi8ELi128ELi4ELi16ELi32Ei6__halfLNS0_11ScoringFuncE1EEEvPKT5_PKbPfiPT4_PiiiibPKf,@function
_ZN4vllm3moe10topkGatingILi8ELi128ELi4ELi16ELi32Ei6__halfLNS0_11ScoringFuncE1EEEvPKT5_PKbPfiPT4_PiiiibPKf: ; @_ZN4vllm3moe10topkGatingILi8ELi128ELi4ELi16ELi32Ei6__halfLNS0_11ScoringFuncE1EEEvPKT5_PKbPfiPT4_PiiiibPKf
; %bb.0:
	s_load_b32 s18, s[0:1], 0x18
	v_bfe_u32 v1, v0, 10, 10
	v_and_b32_e32 v0, 0x3ff, v0
	s_lshl_b32 s2, s15, 3
	s_delay_alu instid0(VALU_DEP_2) | instskip(NEXT) | instid1(VALU_DEP_2)
	v_lshlrev_b32_e32 v1, 1, v1
	v_lshrrev_b32_e32 v2, 4, v0
	s_delay_alu instid0(VALU_DEP_1) | instskip(SKIP_2) | instid1(VALU_DEP_1)
	v_add3_u32 v16, s2, v1, v2
	s_mov_b32 s2, exec_lo
	s_waitcnt lgkmcnt(0)
	v_cmpx_gt_i32_e64 s18, v16
	s_cbranch_execz .LBB264_37
; %bb.1:
	s_clause 0x1
	s_load_b128 s[4:7], s[0:1], 0x0
	s_load_b64 s[16:17], s[0:1], 0x10
	s_mov_b32 s9, -1
	s_mov_b32 s19, -1
	s_waitcnt lgkmcnt(0)
	s_cmp_eq_u64 s[6:7], 0
	s_cbranch_scc1 .LBB264_3
; %bb.2:
	v_ashrrev_i32_e32 v2, 31, v16
	v_add_co_u32 v1, vcc_lo, s6, v16
	s_delay_alu instid0(VALU_DEP_2) | instskip(SKIP_3) | instid1(VALU_DEP_1)
	v_add_co_ci_u32_e32 v2, vcc_lo, s7, v2, vcc_lo
	global_load_u8 v1, v[1:2], off
	s_waitcnt vmcnt(0)
	v_and_b32_e32 v1, 1, v1
	v_cmp_eq_u32_e32 vcc_lo, 1, v1
	s_xor_b32 s2, vcc_lo, -1
	s_delay_alu instid0(SALU_CYCLE_1)
	s_or_not1_b32 s19, s2, exec_lo
.LBB264_3:
	v_lshlrev_b32_e32 v1, 7, v16
	v_and_b32_e32 v17, 15, v0
	s_load_b64 s[10:11], s[0:1], 0x40
	s_delay_alu instid0(VALU_DEP_2) | instskip(NEXT) | instid1(VALU_DEP_1)
	v_ashrrev_i32_e32 v2, 31, v1
	v_lshlrev_b64 v[0:1], 1, v[1:2]
	s_delay_alu instid0(VALU_DEP_3) | instskip(NEXT) | instid1(VALU_DEP_2)
	v_lshlrev_b32_e32 v2, 4, v17
	v_add_co_u32 v0, vcc_lo, s4, v0
	s_delay_alu instid0(VALU_DEP_3) | instskip(NEXT) | instid1(VALU_DEP_2)
	v_add_co_ci_u32_e32 v1, vcc_lo, s5, v1, vcc_lo
	v_add_co_u32 v0, vcc_lo, v0, v2
	s_delay_alu instid0(VALU_DEP_2)
	v_add_co_ci_u32_e32 v1, vcc_lo, 0, v1, vcc_lo
	s_waitcnt lgkmcnt(0)
	s_cmp_eq_u64 s[10:11], 0
	global_load_b128 v[0:3], v[0:1], off
	s_waitcnt vmcnt(0)
	v_cvt_f32_f16_e32 v4, v0
	v_lshrrev_b32_e32 v0, 16, v0
	v_cvt_f32_f16_e32 v5, v1
	v_lshrrev_b32_e32 v1, 16, v1
	;; [unrolled: 2-line block ×4, first 2 shown]
	v_dual_mul_f32 v4, 0xbfb8aa3b, v4 :: v_dual_mul_f32 v5, 0xbfb8aa3b, v5
	v_cvt_f32_f16_e32 v0, v0
	v_cvt_f32_f16_e32 v1, v1
	;; [unrolled: 1-line block ×4, first 2 shown]
	v_dual_mul_f32 v6, 0xbfb8aa3b, v6 :: v_dual_mul_f32 v7, 0xbfb8aa3b, v7
	v_exp_f32_e32 v4, v4
	v_dual_mul_f32 v0, 0xbfb8aa3b, v0 :: v_dual_mul_f32 v1, 0xbfb8aa3b, v1
	v_exp_f32_e32 v5, v5
	s_delay_alu instid0(VALU_DEP_2)
	v_exp_f32_e32 v6, v6
	v_mul_f32_e32 v2, 0xbfb8aa3b, v2
	v_exp_f32_e32 v7, v7
	v_dual_mul_f32 v3, 0xbfb8aa3b, v3 :: v_dual_lshlrev_b32 v18, 3, v17
	v_exp_f32_e32 v0, v0
	v_exp_f32_e32 v1, v1
	;; [unrolled: 1-line block ×3, first 2 shown]
	s_delay_alu instid0(VALU_DEP_1) | instskip(SKIP_2) | instid1(VALU_DEP_2)
	v_exp_f32_e32 v3, v3
	v_dual_add_f32 v4, 1.0, v4 :: v_dual_add_f32 v5, 1.0, v5
	v_dual_add_f32 v6, 1.0, v6 :: v_dual_add_f32 v7, 1.0, v7
	v_div_scale_f32 v8, null, v4, v4, 1.0
	s_delay_alu instid0(TRANS32_DEP_3) | instskip(NEXT) | instid1(VALU_DEP_4)
	v_dual_add_f32 v0, 1.0, v0 :: v_dual_add_f32 v1, 1.0, v1
	v_div_scale_f32 v10, null, v5, v5, 1.0
	s_delay_alu instid0(VALU_DEP_4) | instskip(NEXT) | instid1(TRANS32_DEP_1)
	v_div_scale_f32 v12, null, v6, v6, 1.0
	v_dual_add_f32 v14, 1.0, v2 :: v_dual_add_f32 v19, 1.0, v3
	v_div_scale_f32 v2, null, v7, v7, 1.0
	v_rcp_f32_e32 v3, v8
	v_div_scale_f32 v20, null, v0, v0, 1.0
	v_rcp_f32_e32 v22, v10
	;; [unrolled: 2-line block ×3, first 2 shown]
	v_rcp_f32_e32 v28, v2
	v_div_scale_f32 v29, null, v19, v19, 1.0
	v_rcp_f32_e32 v30, v20
	v_div_scale_f32 v26, null, v14, v14, 1.0
	v_rcp_f32_e32 v32, v23
	v_fma_f32 v34, -v8, v3, 1.0
	v_rcp_f32_e32 v35, v29
	v_div_scale_f32 v9, vcc_lo, 1.0, v4, 1.0
	v_rcp_f32_e32 v33, v26
	v_fma_f32 v36, -v10, v22, 1.0
	v_fma_f32 v37, -v12, v25, 1.0
	;; [unrolled: 1-line block ×3, first 2 shown]
	v_fmac_f32_e32 v3, v34, v3
	v_fma_f32 v34, -v20, v30, 1.0
	v_fmac_f32_e32 v22, v36, v22
	v_div_scale_f32 v11, s2, 1.0, v5, 1.0
	v_fma_f32 v36, -v23, v32, 1.0
	v_dual_fmac_f32 v25, v37, v25 :: v_dual_fmac_f32 v28, v38, v28
	v_fma_f32 v38, -v29, v35, 1.0
	v_dual_mul_f32 v39, v9, v3 :: v_dual_fmac_f32 v30, v34, v30
	v_div_scale_f32 v21, s5, 1.0, v0, 1.0
	v_div_scale_f32 v24, s6, 1.0, v1, 1.0
	v_fma_f32 v37, -v26, v33, 1.0
	v_mul_f32_e32 v34, v11, v22
	v_dual_fmac_f32 v32, v36, v32 :: v_dual_fmac_f32 v35, v38, v35
	v_fma_f32 v38, -v8, v39, v9
	v_mul_f32_e32 v40, v21, v30
	v_div_scale_f32 v13, s3, 1.0, v6, 1.0
	v_div_scale_f32 v15, s4, 1.0, v7, 1.0
	s_delay_alu instid0(VALU_DEP_4)
	v_fmac_f32_e32 v39, v38, v3
	v_fmac_f32_e32 v33, v37, v33
	v_fma_f32 v41, -v10, v34, v11
	v_mul_f32_e32 v42, v24, v32
	v_fma_f32 v38, -v20, v40, v21
	v_div_scale_f32 v27, s7, 1.0, v14, 1.0
	v_dual_mul_f32 v36, v13, v25 :: v_dual_mul_f32 v37, v15, v28
	v_fmac_f32_e32 v34, v41, v22
	v_fma_f32 v41, -v23, v42, v24
	v_fma_f32 v8, -v8, v39, v9
	v_fmac_f32_e32 v40, v38, v30
	v_fma_f32 v43, -v12, v36, v13
	v_fma_f32 v45, -v2, v37, v15
	v_mul_f32_e32 v44, v27, v33
	v_fmac_f32_e32 v42, v41, v32
	v_div_fmas_f32 v3, v8, v3, v39
	v_fma_f32 v8, -v20, v40, v21
	v_fmac_f32_e32 v37, v45, v28
	v_fma_f32 v9, -v10, v34, v11
	v_fmac_f32_e32 v36, v43, v25
	v_fma_f32 v43, -v26, v44, v27
	s_mov_b32 vcc_lo, s5
	v_fma_f32 v11, -v23, v42, v24
	v_div_fixup_f32 v3, v3, v4, 1.0
	v_div_fmas_f32 v4, v8, v30, v40
	s_mov_b32 vcc_lo, s2
	v_fmac_f32_e32 v44, v43, v33
	v_div_fmas_f32 v8, v9, v22, v34
	s_mov_b32 vcc_lo, s6
	v_fma_f32 v10, -v12, v36, v13
	v_div_fmas_f32 v9, v11, v32, v42
	v_cmp_class_f32_e64 vcc_lo, v3, 0x1f8
	v_fma_f32 v12, -v26, v44, v27
	v_div_fixup_f32 v4, v4, v0, 1.0
	v_div_scale_f32 v31, s8, 1.0, v19, 1.0
	v_cndmask_b32_e32 v0, 0, v3, vcc_lo
	s_mov_b32 vcc_lo, s3
	v_fma_f32 v2, -v2, v37, v15
	v_div_fmas_f32 v3, v10, v25, v36
	s_mov_b32 vcc_lo, s7
	v_div_fixup_f32 v5, v8, v5, 1.0
	v_div_fmas_f32 v8, v12, v33, v44
	s_mov_b32 vcc_lo, s4
	v_div_fixup_f32 v9, v9, v1, 1.0
	v_div_fmas_f32 v10, v2, v28, v37
	v_cmp_class_f32_e64 vcc_lo, v4, 0x1f8
	v_mul_f32_e32 v46, v31, v35
	s_delay_alu instid0(VALU_DEP_3) | instskip(SKIP_1) | instid1(VALU_DEP_3)
	v_div_fixup_f32 v7, v10, v7, 1.0
	v_cndmask_b32_e32 v1, 0, v4, vcc_lo
	v_fma_f32 v45, -v29, v46, v31
	s_mov_b32 vcc_lo, s8
	v_div_fixup_f32 v4, v3, v6, 1.0
	s_delay_alu instid0(VALU_DEP_2) | instskip(NEXT) | instid1(VALU_DEP_1)
	v_fmac_f32_e32 v46, v45, v35
	v_fma_f32 v13, -v29, v46, v31
	s_delay_alu instid0(VALU_DEP_1)
	v_div_fmas_f32 v6, v13, v35, v46
	v_cmp_class_f32_e64 vcc_lo, v5, 0x1f8
	v_cndmask_b32_e32 v2, 0, v5, vcc_lo
	v_cmp_class_f32_e64 vcc_lo, v9, 0x1f8
	v_div_fixup_f32 v5, v8, v14, 1.0
	v_div_fixup_f32 v8, v6, v19, 1.0
	v_cndmask_b32_e32 v3, 0, v9, vcc_lo
	v_cmp_class_f32_e64 vcc_lo, v4, 0x1f8
	v_cndmask_b32_e32 v4, 0, v4, vcc_lo
	v_cmp_class_f32_e64 vcc_lo, v5, 0x1f8
	;; [unrolled: 2-line block ×4, first 2 shown]
	v_cndmask_b32_e32 v7, 0, v8, vcc_lo
	s_cbranch_scc1 .LBB264_31
; %bb.4:
	v_lshlrev_b32_e32 v12, 2, v18
	s_clause 0x1
	global_load_b128 v[8:11], v12, s[10:11]
	global_load_b128 v[12:15], v12, s[10:11] offset:16
	s_waitcnt vmcnt(1)
	v_dual_add_f32 v9, v9, v1 :: v_dual_add_f32 v8, v8, v0
	v_dual_add_f32 v11, v11, v3 :: v_dual_add_f32 v10, v10, v2
	s_waitcnt vmcnt(0)
	v_dual_add_f32 v13, v13, v5 :: v_dual_add_f32 v12, v12, v4
	v_dual_add_f32 v15, v15, v7 :: v_dual_add_f32 v14, v14, v6
	s_cbranch_execnz .LBB264_6
.LBB264_5:
	v_dual_mov_b32 v15, v7 :: v_dual_mov_b32 v14, v6
	v_dual_mov_b32 v13, v5 :: v_dual_mov_b32 v12, v4
	;; [unrolled: 1-line block ×4, first 2 shown]
.LBB264_6:
	s_load_b128 s[8:11], s[0:1], 0x30
	v_cmp_eq_u32_e64 s2, 0, v17
	s_mov_b32 s6, 0
	s_waitcnt lgkmcnt(0)
	s_bitcmp1_b32 s11, 0
	s_cselect_b32 vcc_lo, -1, 0
	s_cmp_gt_i32 s8, 0
	s_cselect_b32 s5, -1, 0
	s_cmp_lt_i32 s8, 1
	s_cbranch_scc1 .LBB264_32
; %bb.7:
	v_mbcnt_lo_u32_b32 v19, -1, 0
	s_load_b128 s[12:15], s[0:1], 0x20
	s_delay_alu instid0(VALU_DEP_1)
	v_dual_mov_b32 v25, v16 :: v_dual_and_b32 v20, 16, v19
	v_xor_b32_e32 v21, 8, v19
	v_xor_b32_e32 v22, 4, v19
	;; [unrolled: 1-line block ×4, first 2 shown]
	v_add_nc_u32_e32 v20, 16, v20
	s_delay_alu instid0(VALU_DEP_1) | instskip(NEXT) | instid1(VALU_DEP_1)
	v_cmp_lt_i32_e64 s0, v21, v20
	v_cndmask_b32_e64 v21, v19, v21, s0
	v_cmp_lt_i32_e64 s0, v22, v20
	s_delay_alu instid0(VALU_DEP_2) | instskip(NEXT) | instid1(VALU_DEP_2)
	v_lshlrev_b32_e32 v21, 2, v21
	v_cndmask_b32_e64 v22, v19, v22, s0
	v_cmp_lt_i32_e64 s0, v23, v20
	s_delay_alu instid0(VALU_DEP_2) | instskip(NEXT) | instid1(VALU_DEP_2)
	v_lshlrev_b32_e32 v22, 2, v22
	v_cndmask_b32_e64 v23, v19, v23, s0
	v_cmp_lt_i32_e64 s0, v24, v20
	v_mul_lo_u32 v20, v16, s8
	s_delay_alu instid0(VALU_DEP_3) | instskip(NEXT) | instid1(VALU_DEP_3)
	v_lshlrev_b32_e32 v23, 2, v23
	v_cndmask_b32_e64 v19, v19, v24, s0
	s_delay_alu instid0(VALU_DEP_1)
	v_dual_mov_b32 v19, 0 :: v_dual_lshlrev_b32 v24, 2, v19
	s_branch .LBB264_10
.LBB264_8:                              ;   in Loop: Header=BB264_10 Depth=1
	s_or_b32 exec_lo, exec_lo, s1
.LBB264_9:                              ;   in Loop: Header=BB264_10 Depth=1
	v_add_nc_u32_e32 v25, s18, v25
	s_cmp_eq_u32 s8, s6
	s_cbranch_scc1 .LBB264_33
.LBB264_10:                             ; =>This Inner Loop Header: Depth=1
	v_cmp_gt_f32_e64 s0, v9, v8
	s_delay_alu instid0(VALU_DEP_1) | instskip(SKIP_2) | instid1(VALU_DEP_3)
	v_cndmask_b32_e64 v27, v8, v9, s0
	v_cndmask_b32_e64 v26, 0, 1, s0
	;; [unrolled: 1-line block ×3, first 2 shown]
	v_cmp_gt_f32_e64 s1, v10, v27
	s_delay_alu instid0(VALU_DEP_1) | instskip(NEXT) | instid1(VALU_DEP_4)
	v_cndmask_b32_e64 v27, v27, v10, s1
	v_cndmask_b32_e64 v26, v26, 2, s1
	s_delay_alu instid0(VALU_DEP_4) | instskip(NEXT) | instid1(VALU_DEP_3)
	v_cndmask_b32_e64 v28, v28, v2, s1
	v_cmp_gt_f32_e64 s3, v11, v27
	s_delay_alu instid0(VALU_DEP_1) | instskip(NEXT) | instid1(VALU_DEP_4)
	v_cndmask_b32_e64 v27, v27, v11, s3
	v_cndmask_b32_e64 v26, v26, 3, s3
	s_delay_alu instid0(VALU_DEP_4) | instskip(NEXT) | instid1(VALU_DEP_3)
	v_cndmask_b32_e64 v28, v28, v3, s3
	v_cmp_gt_f32_e64 s4, v12, v27
	s_delay_alu instid0(VALU_DEP_1) | instskip(NEXT) | instid1(VALU_DEP_4)
	v_cndmask_b32_e64 v27, v27, v12, s4
	v_cndmask_b32_e64 v26, v26, 4, s4
	s_delay_alu instid0(VALU_DEP_4) | instskip(SKIP_1) | instid1(VALU_DEP_3)
	v_cndmask_b32_e64 v28, v28, v4, s4
	s_mov_b32 s4, exec_lo
	v_cmp_gt_f32_e64 s0, v13, v27
	s_delay_alu instid0(VALU_DEP_1) | instskip(SKIP_2) | instid1(VALU_DEP_3)
	v_cndmask_b32_e64 v27, v27, v13, s0
	v_cndmask_b32_e64 v26, v26, 5, s0
	v_cndmask_b32_e64 v28, v28, v5, s0
	v_cmp_gt_f32_e64 s1, v14, v27
	s_delay_alu instid0(VALU_DEP_1) | instskip(NEXT) | instid1(VALU_DEP_4)
	v_cndmask_b32_e64 v27, v27, v14, s1
	v_cndmask_b32_e64 v26, v26, 6, s1
	s_waitcnt lgkmcnt(0)
	v_cndmask_b32_e64 v29, v28, v6, s1
	s_delay_alu instid0(VALU_DEP_3) | instskip(NEXT) | instid1(VALU_DEP_1)
	v_cmp_gt_f32_e64 s0, v15, v27
	v_cndmask_b32_e64 v26, v26, 7, s0
	v_cndmask_b32_e64 v28, v27, v15, s0
	s_delay_alu instid0(VALU_DEP_4) | instskip(NEXT) | instid1(VALU_DEP_3)
	v_cndmask_b32_e64 v27, v29, v7, s0
	v_or_b32_e32 v26, v18, v26
	ds_bpermute_b32 v29, v21, v28
	ds_bpermute_b32 v31, v21, v27
	;; [unrolled: 1-line block ×3, first 2 shown]
	s_waitcnt lgkmcnt(0)
	v_cmp_lt_f32_e64 s3, v28, v29
	v_cmpx_nlt_f32_e32 v28, v29
; %bb.11:                               ;   in Loop: Header=BB264_10 Depth=1
	v_cmp_eq_f32_e64 s0, v28, v29
	v_cmp_lt_i32_e64 s1, v30, v26
	s_delay_alu instid0(VALU_DEP_1) | instskip(SKIP_2) | instid1(SALU_CYCLE_1)
	s_and_b32 s0, s0, s1
	s_and_not1_b32 s1, s3, exec_lo
	s_and_b32 s0, s0, exec_lo
	s_or_b32 s3, s1, s0
; %bb.12:                               ;   in Loop: Header=BB264_10 Depth=1
	s_or_b32 exec_lo, exec_lo, s4
	s_and_saveexec_b32 s0, s3
; %bb.13:                               ;   in Loop: Header=BB264_10 Depth=1
	v_dual_mov_b32 v27, v31 :: v_dual_mov_b32 v28, v29
	v_mov_b32_e32 v26, v30
; %bb.14:                               ;   in Loop: Header=BB264_10 Depth=1
	s_or_b32 exec_lo, exec_lo, s0
	ds_bpermute_b32 v29, v22, v28
	ds_bpermute_b32 v31, v22, v27
	ds_bpermute_b32 v30, v22, v26
	s_mov_b32 s4, exec_lo
	s_waitcnt lgkmcnt(2)
	v_cmp_lt_f32_e64 s3, v28, v29
	v_cmpx_nlt_f32_e32 v28, v29
	s_cbranch_execz .LBB264_16
; %bb.15:                               ;   in Loop: Header=BB264_10 Depth=1
	v_cmp_eq_f32_e64 s0, v28, v29
	s_waitcnt lgkmcnt(0)
	v_cmp_lt_i32_e64 s1, v30, v26
	s_delay_alu instid0(VALU_DEP_1) | instskip(SKIP_2) | instid1(SALU_CYCLE_1)
	s_and_b32 s0, s0, s1
	s_and_not1_b32 s1, s3, exec_lo
	s_and_b32 s0, s0, exec_lo
	s_or_b32 s3, s1, s0
.LBB264_16:                             ;   in Loop: Header=BB264_10 Depth=1
	s_or_b32 exec_lo, exec_lo, s4
	s_delay_alu instid0(VALU_DEP_2)
	s_and_saveexec_b32 s0, s3
	s_cbranch_execz .LBB264_18
; %bb.17:                               ;   in Loop: Header=BB264_10 Depth=1
	s_waitcnt lgkmcnt(1)
	v_dual_mov_b32 v27, v31 :: v_dual_mov_b32 v28, v29
	s_waitcnt lgkmcnt(0)
	v_mov_b32_e32 v26, v30
.LBB264_18:                             ;   in Loop: Header=BB264_10 Depth=1
	s_or_b32 exec_lo, exec_lo, s0
	ds_bpermute_b32 v29, v23, v28
	s_waitcnt lgkmcnt(2)
	ds_bpermute_b32 v31, v23, v27
	s_waitcnt lgkmcnt(2)
	ds_bpermute_b32 v30, v23, v26
	s_mov_b32 s4, exec_lo
	s_waitcnt lgkmcnt(2)
	v_cmp_lt_f32_e64 s3, v28, v29
	v_cmpx_nlt_f32_e32 v28, v29
	s_cbranch_execz .LBB264_20
; %bb.19:                               ;   in Loop: Header=BB264_10 Depth=1
	v_cmp_eq_f32_e64 s0, v28, v29
	s_waitcnt lgkmcnt(0)
	v_cmp_lt_i32_e64 s1, v30, v26
	s_delay_alu instid0(VALU_DEP_1) | instskip(SKIP_2) | instid1(SALU_CYCLE_1)
	s_and_b32 s0, s0, s1
	s_and_not1_b32 s1, s3, exec_lo
	s_and_b32 s0, s0, exec_lo
	s_or_b32 s3, s1, s0
.LBB264_20:                             ;   in Loop: Header=BB264_10 Depth=1
	s_or_b32 exec_lo, exec_lo, s4
	s_delay_alu instid0(VALU_DEP_2)
	s_and_saveexec_b32 s0, s3
	s_cbranch_execz .LBB264_22
; %bb.21:                               ;   in Loop: Header=BB264_10 Depth=1
	s_waitcnt lgkmcnt(1)
	v_dual_mov_b32 v27, v31 :: v_dual_mov_b32 v28, v29
	s_waitcnt lgkmcnt(0)
	v_mov_b32_e32 v26, v30
.LBB264_22:                             ;   in Loop: Header=BB264_10 Depth=1
	s_or_b32 exec_lo, exec_lo, s0
	s_waitcnt lgkmcnt(1)
	ds_bpermute_b32 v31, v24, v28
	ds_bpermute_b32 v29, v24, v27
	s_waitcnt lgkmcnt(2)
	ds_bpermute_b32 v30, v24, v26
	s_mov_b32 s4, exec_lo
	s_waitcnt lgkmcnt(2)
	v_cmp_lt_f32_e64 s3, v28, v31
	v_cmpx_nlt_f32_e32 v28, v31
	s_cbranch_execnz .LBB264_26
; %bb.23:                               ;   in Loop: Header=BB264_10 Depth=1
	s_or_b32 exec_lo, exec_lo, s4
	s_delay_alu instid0(VALU_DEP_2)
	s_and_saveexec_b32 s0, s3
	s_cbranch_execnz .LBB264_27
.LBB264_24:                             ;   in Loop: Header=BB264_10 Depth=1
	s_or_b32 exec_lo, exec_lo, s0
	s_and_saveexec_b32 s3, s2
	s_cbranch_execnz .LBB264_28
.LBB264_25:                             ;   in Loop: Header=BB264_10 Depth=1
	s_or_b32 exec_lo, exec_lo, s3
	s_add_i32 s6, s6, 1
	s_delay_alu instid0(SALU_CYCLE_1)
	s_cmp_ge_i32 s6, s8
	s_cbranch_scc1 .LBB264_9
	s_branch .LBB264_29
.LBB264_26:                             ;   in Loop: Header=BB264_10 Depth=1
	v_cmp_eq_f32_e64 s0, v28, v31
	s_waitcnt lgkmcnt(0)
	v_cmp_lt_i32_e64 s1, v30, v26
	s_delay_alu instid0(VALU_DEP_1) | instskip(SKIP_2) | instid1(SALU_CYCLE_1)
	s_and_b32 s0, s0, s1
	s_and_not1_b32 s1, s3, exec_lo
	s_and_b32 s0, s0, exec_lo
	s_or_b32 s3, s1, s0
	s_or_b32 exec_lo, exec_lo, s4
	s_and_saveexec_b32 s0, s3
	s_cbranch_execz .LBB264_24
.LBB264_27:                             ;   in Loop: Header=BB264_10 Depth=1
	s_waitcnt lgkmcnt(0)
	v_dual_mov_b32 v26, v30 :: v_dual_mov_b32 v27, v29
	s_or_b32 exec_lo, exec_lo, s0
	s_and_saveexec_b32 s3, s2
	s_cbranch_execz .LBB264_25
.LBB264_28:                             ;   in Loop: Header=BB264_10 Depth=1
	s_delay_alu instid0(VALU_DEP_1)
	v_dual_add_f32 v35, v19, v27 :: v_dual_add_nc_u32 v28, s6, v20
	v_cmp_le_i32_e64 s0, s9, v26
	v_cmp_gt_i32_e64 s1, s10, v26
	s_waitcnt lgkmcnt(0)
	v_subrev_nc_u32_e32 v30, s9, v26
	v_ashrrev_i32_e32 v29, 31, v28
	v_cndmask_b32_e32 v19, v19, v35, vcc_lo
	s_and_b32 s0, s0, s1
	s_delay_alu instid0(SALU_CYCLE_1) | instskip(NEXT) | instid1(VALU_DEP_2)
	s_and_b32 s0, s19, s0
	v_lshlrev_b64 v[28:29], 2, v[28:29]
	v_cndmask_b32_e64 v34, 0x80, v30, s0
	s_delay_alu instid0(VALU_DEP_2) | instskip(NEXT) | instid1(VALU_DEP_1)
	v_add_co_u32 v30, s0, s16, v28
	v_add_co_ci_u32_e64 v31, s0, s17, v29, s0
	v_add_co_u32 v32, s0, s12, v28
	s_delay_alu instid0(VALU_DEP_1) | instskip(SKIP_1) | instid1(VALU_DEP_1)
	v_add_co_ci_u32_e64 v33, s0, s13, v29, s0
	v_add_co_u32 v28, s0, s14, v28
	v_add_co_ci_u32_e64 v29, s0, s15, v29, s0
	global_store_b32 v[30:31], v27, off
	global_store_b32 v[32:33], v34, off
	;; [unrolled: 1-line block ×3, first 2 shown]
	s_or_b32 exec_lo, exec_lo, s3
	s_add_i32 s6, s6, 1
	s_delay_alu instid0(SALU_CYCLE_1)
	s_cmp_ge_i32 s6, s8
	s_cbranch_scc1 .LBB264_9
.LBB264_29:                             ;   in Loop: Header=BB264_10 Depth=1
	v_ashrrev_i32_e32 v28, 31, v26
	s_mov_b32 s1, exec_lo
	s_delay_alu instid0(VALU_DEP_1) | instskip(NEXT) | instid1(VALU_DEP_1)
	v_lshrrev_b32_e32 v27, 29, v28
	v_add_nc_u32_e32 v27, v26, v27
	s_delay_alu instid0(VALU_DEP_1) | instskip(SKIP_1) | instid1(VALU_DEP_1)
	v_ashrrev_i32_e32 v27, 3, v27
	s_waitcnt lgkmcnt(1)
	v_lshrrev_b32_e32 v29, 28, v27
	s_delay_alu instid0(VALU_DEP_1) | instskip(NEXT) | instid1(VALU_DEP_1)
	v_add_nc_u32_e32 v29, v27, v29
	v_and_b32_e32 v29, -16, v29
	s_delay_alu instid0(VALU_DEP_1) | instskip(NEXT) | instid1(VALU_DEP_1)
	v_sub_nc_u32_e32 v29, v27, v29
	v_cmpx_eq_u32_e64 v17, v29
	s_cbranch_execz .LBB264_8
; %bb.30:                               ;   in Loop: Header=BB264_10 Depth=1
	v_lshrrev_b32_e32 v28, 25, v28
	v_lshlrev_b32_e32 v27, 3, v27
	s_delay_alu instid0(VALU_DEP_2) | instskip(NEXT) | instid1(VALU_DEP_2)
	v_add_nc_u32_e32 v28, v26, v28
	v_sub_nc_u32_e32 v26, v26, v27
	s_delay_alu instid0(VALU_DEP_2) | instskip(NEXT) | instid1(VALU_DEP_1)
	v_ashrrev_i32_e32 v27, 7, v28
	v_lshl_add_u32 v26, v27, 3, v26
	s_delay_alu instid0(VALU_DEP_1) | instskip(NEXT) | instid1(VALU_DEP_1)
	v_cmp_ne_u32_e64 s0, 7, v26
	v_cndmask_b32_e64 v15, 0xc61c4000, v15, s0
	v_cmp_ne_u32_e64 s0, 6, v26
	s_delay_alu instid0(VALU_DEP_1) | instskip(SKIP_1) | instid1(VALU_DEP_1)
	v_cndmask_b32_e64 v14, 0xc61c4000, v14, s0
	v_cmp_ne_u32_e64 s0, 5, v26
	v_cndmask_b32_e64 v13, 0xc61c4000, v13, s0
	v_cmp_ne_u32_e64 s0, 4, v26
	s_delay_alu instid0(VALU_DEP_1) | instskip(SKIP_1) | instid1(VALU_DEP_1)
	v_cndmask_b32_e64 v12, 0xc61c4000, v12, s0
	;; [unrolled: 5-line block ×3, first 2 shown]
	v_cmp_ne_u32_e64 s0, 1, v26
	v_cndmask_b32_e64 v9, 0xc61c4000, v9, s0
	v_cmp_ne_u32_e64 s0, 0, v26
	s_delay_alu instid0(VALU_DEP_1)
	v_cndmask_b32_e64 v8, 0xc61c4000, v8, s0
	s_branch .LBB264_8
.LBB264_31:
                                        ; implicit-def: $vgpr8_vgpr9_vgpr10_vgpr11_vgpr12_vgpr13_vgpr14_vgpr15
	s_and_not1_b32 vcc_lo, exec_lo, s9
	s_cbranch_vccz .LBB264_5
	s_branch .LBB264_6
.LBB264_32:
	v_mov_b32_e32 v19, 0
.LBB264_33:
	v_cmp_eq_u32_e64 s0, 0, v17
	s_delay_alu instid0(VALU_DEP_1) | instskip(NEXT) | instid1(SALU_CYCLE_1)
	s_and_b32 s0, s0, vcc_lo
	s_and_b32 exec_lo, exec_lo, s0
	s_cbranch_execz .LBB264_37
; %bb.34:
	s_and_not1_b32 vcc_lo, exec_lo, s5
	s_cbranch_vccnz .LBB264_37
; %bb.35:
	v_mul_lo_u32 v0, v16, s8
	v_cmp_lt_f32_e32 vcc_lo, 0, v19
	v_cndmask_b32_e32 v2, 1.0, v19, vcc_lo
	s_delay_alu instid0(VALU_DEP_3) | instskip(NEXT) | instid1(VALU_DEP_1)
	v_ashrrev_i32_e32 v1, 31, v0
	v_lshlrev_b64 v[0:1], 2, v[0:1]
	s_delay_alu instid0(VALU_DEP_1) | instskip(NEXT) | instid1(VALU_DEP_2)
	v_add_co_u32 v0, vcc_lo, s16, v0
	v_add_co_ci_u32_e32 v1, vcc_lo, s17, v1, vcc_lo
	.p2align	6
.LBB264_36:                             ; =>This Inner Loop Header: Depth=1
	global_load_b32 v3, v[0:1], off
	s_add_i32 s8, s8, -1
	s_delay_alu instid0(SALU_CYCLE_1) | instskip(SKIP_3) | instid1(VALU_DEP_2)
	s_cmp_lg_u32 s8, 0
	s_waitcnt vmcnt(0)
	v_div_scale_f32 v4, null, v2, v2, v3
	v_div_scale_f32 v7, vcc_lo, v3, v2, v3
	v_rcp_f32_e32 v5, v4
	s_waitcnt_depctr 0xfff
	v_fma_f32 v6, -v4, v5, 1.0
	s_delay_alu instid0(VALU_DEP_1) | instskip(NEXT) | instid1(VALU_DEP_1)
	v_fmac_f32_e32 v5, v6, v5
	v_mul_f32_e32 v6, v7, v5
	s_delay_alu instid0(VALU_DEP_1) | instskip(NEXT) | instid1(VALU_DEP_1)
	v_fma_f32 v8, -v4, v6, v7
	v_fmac_f32_e32 v6, v8, v5
	s_delay_alu instid0(VALU_DEP_1) | instskip(NEXT) | instid1(VALU_DEP_1)
	v_fma_f32 v4, -v4, v6, v7
	v_div_fmas_f32 v4, v4, v5, v6
	s_delay_alu instid0(VALU_DEP_1)
	v_div_fixup_f32 v3, v4, v2, v3
	global_store_b32 v[0:1], v3, off
	v_add_co_u32 v0, vcc_lo, v0, 4
	v_add_co_ci_u32_e32 v1, vcc_lo, 0, v1, vcc_lo
	s_cbranch_scc1 .LBB264_36
.LBB264_37:
	s_nop 0
	s_sendmsg sendmsg(MSG_DEALLOC_VGPRS)
	s_endpgm
	.section	.rodata,"a",@progbits
	.p2align	6, 0x0
	.amdhsa_kernel _ZN4vllm3moe10topkGatingILi8ELi128ELi4ELi16ELi32Ei6__halfLNS0_11ScoringFuncE1EEEvPKT5_PKbPfiPT4_PiiiibPKf
		.amdhsa_group_segment_fixed_size 0
		.amdhsa_private_segment_fixed_size 0
		.amdhsa_kernarg_size 72
		.amdhsa_user_sgpr_count 15
		.amdhsa_user_sgpr_dispatch_ptr 0
		.amdhsa_user_sgpr_queue_ptr 0
		.amdhsa_user_sgpr_kernarg_segment_ptr 1
		.amdhsa_user_sgpr_dispatch_id 0
		.amdhsa_user_sgpr_private_segment_size 0
		.amdhsa_wavefront_size32 1
		.amdhsa_uses_dynamic_stack 0
		.amdhsa_enable_private_segment 0
		.amdhsa_system_sgpr_workgroup_id_x 1
		.amdhsa_system_sgpr_workgroup_id_y 0
		.amdhsa_system_sgpr_workgroup_id_z 0
		.amdhsa_system_sgpr_workgroup_info 0
		.amdhsa_system_vgpr_workitem_id 1
		.amdhsa_next_free_vgpr 47
		.amdhsa_next_free_sgpr 20
		.amdhsa_reserve_vcc 1
		.amdhsa_float_round_mode_32 0
		.amdhsa_float_round_mode_16_64 0
		.amdhsa_float_denorm_mode_32 3
		.amdhsa_float_denorm_mode_16_64 3
		.amdhsa_dx10_clamp 1
		.amdhsa_ieee_mode 1
		.amdhsa_fp16_overflow 0
		.amdhsa_workgroup_processor_mode 1
		.amdhsa_memory_ordered 1
		.amdhsa_forward_progress 0
		.amdhsa_shared_vgpr_count 0
		.amdhsa_exception_fp_ieee_invalid_op 0
		.amdhsa_exception_fp_denorm_src 0
		.amdhsa_exception_fp_ieee_div_zero 0
		.amdhsa_exception_fp_ieee_overflow 0
		.amdhsa_exception_fp_ieee_underflow 0
		.amdhsa_exception_fp_ieee_inexact 0
		.amdhsa_exception_int_div_zero 0
	.end_amdhsa_kernel
	.section	.text._ZN4vllm3moe10topkGatingILi8ELi128ELi4ELi16ELi32Ei6__halfLNS0_11ScoringFuncE1EEEvPKT5_PKbPfiPT4_PiiiibPKf,"axG",@progbits,_ZN4vllm3moe10topkGatingILi8ELi128ELi4ELi16ELi32Ei6__halfLNS0_11ScoringFuncE1EEEvPKT5_PKbPfiPT4_PiiiibPKf,comdat
.Lfunc_end264:
	.size	_ZN4vllm3moe10topkGatingILi8ELi128ELi4ELi16ELi32Ei6__halfLNS0_11ScoringFuncE1EEEvPKT5_PKbPfiPT4_PiiiibPKf, .Lfunc_end264-_ZN4vllm3moe10topkGatingILi8ELi128ELi4ELi16ELi32Ei6__halfLNS0_11ScoringFuncE1EEEvPKT5_PKbPfiPT4_PiiiibPKf
                                        ; -- End function
	.section	.AMDGPU.csdata,"",@progbits
; Kernel info:
; codeLenInByte = 3060
; NumSgprs: 22
; NumVgprs: 47
; ScratchSize: 0
; MemoryBound: 0
; FloatMode: 240
; IeeeMode: 1
; LDSByteSize: 0 bytes/workgroup (compile time only)
; SGPRBlocks: 2
; VGPRBlocks: 5
; NumSGPRsForWavesPerEU: 22
; NumVGPRsForWavesPerEU: 47
; Occupancy: 16
; WaveLimiterHint : 0
; COMPUTE_PGM_RSRC2:SCRATCH_EN: 0
; COMPUTE_PGM_RSRC2:USER_SGPR: 15
; COMPUTE_PGM_RSRC2:TRAP_HANDLER: 0
; COMPUTE_PGM_RSRC2:TGID_X_EN: 1
; COMPUTE_PGM_RSRC2:TGID_Y_EN: 0
; COMPUTE_PGM_RSRC2:TGID_Z_EN: 0
; COMPUTE_PGM_RSRC2:TIDIG_COMP_CNT: 1
	.section	.text._ZN4vllm3moe10topkGatingILi8ELi256ELi4ELi16ELi64Ei6__halfLNS0_11ScoringFuncE1EEEvPKT5_PKbPfiPT4_PiiiibPKf,"axG",@progbits,_ZN4vllm3moe10topkGatingILi8ELi256ELi4ELi16ELi64Ei6__halfLNS0_11ScoringFuncE1EEEvPKT5_PKbPfiPT4_PiiiibPKf,comdat
	.protected	_ZN4vllm3moe10topkGatingILi8ELi256ELi4ELi16ELi64Ei6__halfLNS0_11ScoringFuncE1EEEvPKT5_PKbPfiPT4_PiiiibPKf ; -- Begin function _ZN4vllm3moe10topkGatingILi8ELi256ELi4ELi16ELi64Ei6__halfLNS0_11ScoringFuncE1EEEvPKT5_PKbPfiPT4_PiiiibPKf
	.globl	_ZN4vllm3moe10topkGatingILi8ELi256ELi4ELi16ELi64Ei6__halfLNS0_11ScoringFuncE1EEEvPKT5_PKbPfiPT4_PiiiibPKf
	.p2align	8
	.type	_ZN4vllm3moe10topkGatingILi8ELi256ELi4ELi16ELi64Ei6__halfLNS0_11ScoringFuncE1EEEvPKT5_PKbPfiPT4_PiiiibPKf,@function
_ZN4vllm3moe10topkGatingILi8ELi256ELi4ELi16ELi64Ei6__halfLNS0_11ScoringFuncE1EEEvPKT5_PKbPfiPT4_PiiiibPKf: ; @_ZN4vllm3moe10topkGatingILi8ELi256ELi4ELi16ELi64Ei6__halfLNS0_11ScoringFuncE1EEEvPKT5_PKbPfiPT4_PiiiibPKf
; %bb.0:
	s_load_b32 s18, s[0:1], 0x18
	v_bfe_u32 v1, v0, 10, 10
	v_and_b32_e32 v0, 0x3ff, v0
	s_lshl_b32 s2, s15, 3
	s_delay_alu instid0(VALU_DEP_2) | instskip(NEXT) | instid1(VALU_DEP_2)
	v_lshlrev_b32_e32 v1, 1, v1
	v_lshrrev_b32_e32 v2, 5, v0
	s_delay_alu instid0(VALU_DEP_1) | instskip(SKIP_2) | instid1(VALU_DEP_1)
	v_add3_u32 v16, s2, v1, v2
	s_mov_b32 s2, exec_lo
	s_waitcnt lgkmcnt(0)
	v_cmpx_gt_i32_e64 s18, v16
	s_cbranch_execz .LBB265_41
; %bb.1:
	s_clause 0x1
	s_load_b128 s[4:7], s[0:1], 0x0
	s_load_b64 s[16:17], s[0:1], 0x10
	s_mov_b32 s9, -1
	s_mov_b32 s19, -1
	s_waitcnt lgkmcnt(0)
	s_cmp_eq_u64 s[6:7], 0
	s_cbranch_scc1 .LBB265_3
; %bb.2:
	v_ashrrev_i32_e32 v2, 31, v16
	v_add_co_u32 v1, vcc_lo, s6, v16
	s_delay_alu instid0(VALU_DEP_2) | instskip(SKIP_3) | instid1(VALU_DEP_1)
	v_add_co_ci_u32_e32 v2, vcc_lo, s7, v2, vcc_lo
	global_load_u8 v1, v[1:2], off
	s_waitcnt vmcnt(0)
	v_and_b32_e32 v1, 1, v1
	v_cmp_eq_u32_e32 vcc_lo, 1, v1
	s_xor_b32 s2, vcc_lo, -1
	s_delay_alu instid0(SALU_CYCLE_1)
	s_or_not1_b32 s19, s2, exec_lo
.LBB265_3:
	v_lshlrev_b32_e32 v1, 8, v16
	v_and_b32_e32 v17, 31, v0
	s_load_b64 s[10:11], s[0:1], 0x40
	s_delay_alu instid0(VALU_DEP_2) | instskip(NEXT) | instid1(VALU_DEP_1)
	v_ashrrev_i32_e32 v2, 31, v1
	v_lshlrev_b64 v[0:1], 1, v[1:2]
	s_delay_alu instid0(VALU_DEP_3) | instskip(NEXT) | instid1(VALU_DEP_2)
	v_lshlrev_b32_e32 v2, 4, v17
	v_add_co_u32 v0, vcc_lo, s4, v0
	s_delay_alu instid0(VALU_DEP_3) | instskip(NEXT) | instid1(VALU_DEP_2)
	v_add_co_ci_u32_e32 v1, vcc_lo, s5, v1, vcc_lo
	v_add_co_u32 v0, vcc_lo, v0, v2
	s_delay_alu instid0(VALU_DEP_2)
	v_add_co_ci_u32_e32 v1, vcc_lo, 0, v1, vcc_lo
	s_waitcnt lgkmcnt(0)
	s_cmp_eq_u64 s[10:11], 0
	global_load_b128 v[0:3], v[0:1], off
	s_waitcnt vmcnt(0)
	v_cvt_f32_f16_e32 v4, v0
	v_lshrrev_b32_e32 v0, 16, v0
	v_cvt_f32_f16_e32 v5, v1
	v_lshrrev_b32_e32 v1, 16, v1
	;; [unrolled: 2-line block ×4, first 2 shown]
	v_dual_mul_f32 v4, 0xbfb8aa3b, v4 :: v_dual_mul_f32 v5, 0xbfb8aa3b, v5
	v_cvt_f32_f16_e32 v0, v0
	v_cvt_f32_f16_e32 v1, v1
	;; [unrolled: 1-line block ×4, first 2 shown]
	v_dual_mul_f32 v6, 0xbfb8aa3b, v6 :: v_dual_mul_f32 v7, 0xbfb8aa3b, v7
	v_exp_f32_e32 v4, v4
	v_dual_mul_f32 v0, 0xbfb8aa3b, v0 :: v_dual_mul_f32 v1, 0xbfb8aa3b, v1
	v_exp_f32_e32 v5, v5
	s_delay_alu instid0(VALU_DEP_2)
	v_exp_f32_e32 v6, v6
	v_mul_f32_e32 v2, 0xbfb8aa3b, v2
	v_exp_f32_e32 v7, v7
	v_dual_mul_f32 v3, 0xbfb8aa3b, v3 :: v_dual_lshlrev_b32 v18, 3, v17
	v_exp_f32_e32 v0, v0
	v_exp_f32_e32 v1, v1
	;; [unrolled: 1-line block ×3, first 2 shown]
	s_delay_alu instid0(VALU_DEP_1) | instskip(SKIP_2) | instid1(VALU_DEP_2)
	v_exp_f32_e32 v3, v3
	v_dual_add_f32 v4, 1.0, v4 :: v_dual_add_f32 v5, 1.0, v5
	v_dual_add_f32 v6, 1.0, v6 :: v_dual_add_f32 v7, 1.0, v7
	v_div_scale_f32 v8, null, v4, v4, 1.0
	s_delay_alu instid0(TRANS32_DEP_3) | instskip(NEXT) | instid1(VALU_DEP_4)
	v_dual_add_f32 v0, 1.0, v0 :: v_dual_add_f32 v1, 1.0, v1
	v_div_scale_f32 v10, null, v5, v5, 1.0
	s_delay_alu instid0(VALU_DEP_4) | instskip(NEXT) | instid1(TRANS32_DEP_1)
	v_div_scale_f32 v12, null, v6, v6, 1.0
	v_dual_add_f32 v14, 1.0, v2 :: v_dual_add_f32 v19, 1.0, v3
	v_div_scale_f32 v2, null, v7, v7, 1.0
	v_rcp_f32_e32 v3, v8
	v_div_scale_f32 v20, null, v0, v0, 1.0
	v_rcp_f32_e32 v22, v10
	;; [unrolled: 2-line block ×3, first 2 shown]
	v_rcp_f32_e32 v28, v2
	v_div_scale_f32 v29, null, v19, v19, 1.0
	v_rcp_f32_e32 v30, v20
	v_div_scale_f32 v26, null, v14, v14, 1.0
	v_rcp_f32_e32 v32, v23
	v_fma_f32 v34, -v8, v3, 1.0
	v_rcp_f32_e32 v35, v29
	v_div_scale_f32 v9, vcc_lo, 1.0, v4, 1.0
	v_rcp_f32_e32 v33, v26
	v_fma_f32 v36, -v10, v22, 1.0
	v_fma_f32 v37, -v12, v25, 1.0
	;; [unrolled: 1-line block ×3, first 2 shown]
	v_fmac_f32_e32 v3, v34, v3
	v_fma_f32 v34, -v20, v30, 1.0
	v_fmac_f32_e32 v22, v36, v22
	v_div_scale_f32 v11, s2, 1.0, v5, 1.0
	v_fma_f32 v36, -v23, v32, 1.0
	v_dual_fmac_f32 v25, v37, v25 :: v_dual_fmac_f32 v28, v38, v28
	v_fma_f32 v38, -v29, v35, 1.0
	v_dual_mul_f32 v39, v9, v3 :: v_dual_fmac_f32 v30, v34, v30
	v_div_scale_f32 v21, s5, 1.0, v0, 1.0
	v_div_scale_f32 v24, s6, 1.0, v1, 1.0
	v_fma_f32 v37, -v26, v33, 1.0
	v_mul_f32_e32 v34, v11, v22
	v_dual_fmac_f32 v32, v36, v32 :: v_dual_fmac_f32 v35, v38, v35
	v_fma_f32 v38, -v8, v39, v9
	v_mul_f32_e32 v40, v21, v30
	v_div_scale_f32 v13, s3, 1.0, v6, 1.0
	v_div_scale_f32 v15, s4, 1.0, v7, 1.0
	s_delay_alu instid0(VALU_DEP_4)
	v_fmac_f32_e32 v39, v38, v3
	v_fmac_f32_e32 v33, v37, v33
	v_fma_f32 v41, -v10, v34, v11
	v_mul_f32_e32 v42, v24, v32
	v_fma_f32 v38, -v20, v40, v21
	v_div_scale_f32 v27, s7, 1.0, v14, 1.0
	v_dual_mul_f32 v36, v13, v25 :: v_dual_mul_f32 v37, v15, v28
	v_fmac_f32_e32 v34, v41, v22
	v_fma_f32 v41, -v23, v42, v24
	v_fma_f32 v8, -v8, v39, v9
	v_fmac_f32_e32 v40, v38, v30
	v_fma_f32 v43, -v12, v36, v13
	v_fma_f32 v45, -v2, v37, v15
	v_mul_f32_e32 v44, v27, v33
	v_fmac_f32_e32 v42, v41, v32
	v_div_fmas_f32 v3, v8, v3, v39
	v_fma_f32 v8, -v20, v40, v21
	v_fmac_f32_e32 v37, v45, v28
	v_fma_f32 v9, -v10, v34, v11
	v_fmac_f32_e32 v36, v43, v25
	v_fma_f32 v43, -v26, v44, v27
	s_mov_b32 vcc_lo, s5
	v_fma_f32 v11, -v23, v42, v24
	v_div_fixup_f32 v3, v3, v4, 1.0
	v_div_fmas_f32 v4, v8, v30, v40
	s_mov_b32 vcc_lo, s2
	v_fmac_f32_e32 v44, v43, v33
	v_div_fmas_f32 v8, v9, v22, v34
	s_mov_b32 vcc_lo, s6
	v_fma_f32 v10, -v12, v36, v13
	v_div_fmas_f32 v9, v11, v32, v42
	v_cmp_class_f32_e64 vcc_lo, v3, 0x1f8
	v_fma_f32 v12, -v26, v44, v27
	v_div_fixup_f32 v4, v4, v0, 1.0
	v_div_scale_f32 v31, s8, 1.0, v19, 1.0
	v_cndmask_b32_e32 v0, 0, v3, vcc_lo
	s_mov_b32 vcc_lo, s3
	v_fma_f32 v2, -v2, v37, v15
	v_div_fmas_f32 v3, v10, v25, v36
	s_mov_b32 vcc_lo, s7
	v_div_fixup_f32 v5, v8, v5, 1.0
	v_div_fmas_f32 v8, v12, v33, v44
	s_mov_b32 vcc_lo, s4
	v_div_fixup_f32 v9, v9, v1, 1.0
	v_div_fmas_f32 v10, v2, v28, v37
	v_cmp_class_f32_e64 vcc_lo, v4, 0x1f8
	v_mul_f32_e32 v46, v31, v35
	s_delay_alu instid0(VALU_DEP_3) | instskip(SKIP_1) | instid1(VALU_DEP_3)
	v_div_fixup_f32 v7, v10, v7, 1.0
	v_cndmask_b32_e32 v1, 0, v4, vcc_lo
	v_fma_f32 v45, -v29, v46, v31
	s_mov_b32 vcc_lo, s8
	v_div_fixup_f32 v4, v3, v6, 1.0
	s_delay_alu instid0(VALU_DEP_2) | instskip(NEXT) | instid1(VALU_DEP_1)
	v_fmac_f32_e32 v46, v45, v35
	v_fma_f32 v13, -v29, v46, v31
	s_delay_alu instid0(VALU_DEP_1)
	v_div_fmas_f32 v6, v13, v35, v46
	v_cmp_class_f32_e64 vcc_lo, v5, 0x1f8
	v_cndmask_b32_e32 v2, 0, v5, vcc_lo
	v_cmp_class_f32_e64 vcc_lo, v9, 0x1f8
	v_div_fixup_f32 v5, v8, v14, 1.0
	v_div_fixup_f32 v8, v6, v19, 1.0
	v_cndmask_b32_e32 v3, 0, v9, vcc_lo
	v_cmp_class_f32_e64 vcc_lo, v4, 0x1f8
	v_cndmask_b32_e32 v4, 0, v4, vcc_lo
	v_cmp_class_f32_e64 vcc_lo, v5, 0x1f8
	;; [unrolled: 2-line block ×4, first 2 shown]
	v_cndmask_b32_e32 v7, 0, v8, vcc_lo
	s_cbranch_scc1 .LBB265_35
; %bb.4:
	v_lshlrev_b32_e32 v12, 2, v18
	s_clause 0x1
	global_load_b128 v[8:11], v12, s[10:11]
	global_load_b128 v[12:15], v12, s[10:11] offset:16
	s_waitcnt vmcnt(1)
	v_dual_add_f32 v9, v9, v1 :: v_dual_add_f32 v8, v8, v0
	v_dual_add_f32 v11, v11, v3 :: v_dual_add_f32 v10, v10, v2
	s_waitcnt vmcnt(0)
	v_dual_add_f32 v13, v13, v5 :: v_dual_add_f32 v12, v12, v4
	v_dual_add_f32 v15, v15, v7 :: v_dual_add_f32 v14, v14, v6
	s_cbranch_execnz .LBB265_6
.LBB265_5:
	v_dual_mov_b32 v15, v7 :: v_dual_mov_b32 v14, v6
	v_dual_mov_b32 v13, v5 :: v_dual_mov_b32 v12, v4
	;; [unrolled: 1-line block ×4, first 2 shown]
.LBB265_6:
	s_load_b128 s[8:11], s[0:1], 0x30
	v_cmp_eq_u32_e64 s2, 0, v17
	s_mov_b32 s6, 0
	s_waitcnt lgkmcnt(0)
	s_bitcmp1_b32 s11, 0
	s_cselect_b32 vcc_lo, -1, 0
	s_cmp_gt_i32 s8, 0
	s_cselect_b32 s5, -1, 0
	s_cmp_lt_i32 s8, 1
	s_cbranch_scc1 .LBB265_36
; %bb.7:
	v_mbcnt_lo_u32_b32 v20, -1, 0
	s_load_b128 s[12:15], s[0:1], 0x20
	v_mul_lo_u32 v19, v16, s8
	v_mov_b32_e32 v26, v16
	s_delay_alu instid0(VALU_DEP_3)
	v_xor_b32_e32 v21, 16, v20
	v_xor_b32_e32 v22, 8, v20
	;; [unrolled: 1-line block ×5, first 2 shown]
	v_cmp_gt_i32_e64 s0, 32, v21
	s_delay_alu instid0(VALU_DEP_1) | instskip(SKIP_1) | instid1(VALU_DEP_2)
	v_cndmask_b32_e64 v21, v20, v21, s0
	v_cmp_gt_i32_e64 s0, 32, v22
	v_lshlrev_b32_e32 v21, 2, v21
	s_delay_alu instid0(VALU_DEP_2) | instskip(SKIP_1) | instid1(VALU_DEP_2)
	v_cndmask_b32_e64 v22, v20, v22, s0
	v_cmp_gt_i32_e64 s0, 32, v23
	v_lshlrev_b32_e32 v22, 2, v22
	s_delay_alu instid0(VALU_DEP_2) | instskip(SKIP_1) | instid1(VALU_DEP_2)
	v_cndmask_b32_e64 v23, v20, v23, s0
	v_cmp_gt_i32_e64 s0, 32, v24
	v_lshlrev_b32_e32 v23, 2, v23
	s_delay_alu instid0(VALU_DEP_2) | instskip(SKIP_1) | instid1(VALU_DEP_2)
	v_cndmask_b32_e64 v24, v20, v24, s0
	v_cmp_gt_i32_e64 s0, 32, v25
	v_lshlrev_b32_e32 v24, 2, v24
	s_delay_alu instid0(VALU_DEP_2) | instskip(NEXT) | instid1(VALU_DEP_1)
	v_cndmask_b32_e64 v20, v20, v25, s0
	v_dual_mov_b32 v20, 0 :: v_dual_lshlrev_b32 v25, 2, v20
	s_branch .LBB265_10
.LBB265_8:                              ;   in Loop: Header=BB265_10 Depth=1
	s_or_b32 exec_lo, exec_lo, s1
.LBB265_9:                              ;   in Loop: Header=BB265_10 Depth=1
	v_add_nc_u32_e32 v26, s18, v26
	s_cmp_eq_u32 s8, s6
	s_cbranch_scc1 .LBB265_37
.LBB265_10:                             ; =>This Inner Loop Header: Depth=1
	v_cmp_gt_f32_e64 s0, v9, v8
	s_delay_alu instid0(VALU_DEP_1) | instskip(SKIP_2) | instid1(VALU_DEP_3)
	v_cndmask_b32_e64 v28, v8, v9, s0
	v_cndmask_b32_e64 v27, 0, 1, s0
	;; [unrolled: 1-line block ×3, first 2 shown]
	v_cmp_gt_f32_e64 s1, v10, v28
	s_delay_alu instid0(VALU_DEP_1) | instskip(NEXT) | instid1(VALU_DEP_4)
	v_cndmask_b32_e64 v28, v28, v10, s1
	v_cndmask_b32_e64 v27, v27, 2, s1
	s_delay_alu instid0(VALU_DEP_4) | instskip(NEXT) | instid1(VALU_DEP_3)
	v_cndmask_b32_e64 v29, v29, v2, s1
	v_cmp_gt_f32_e64 s3, v11, v28
	s_delay_alu instid0(VALU_DEP_1) | instskip(NEXT) | instid1(VALU_DEP_4)
	v_cndmask_b32_e64 v28, v28, v11, s3
	v_cndmask_b32_e64 v27, v27, 3, s3
	s_delay_alu instid0(VALU_DEP_4) | instskip(NEXT) | instid1(VALU_DEP_3)
	v_cndmask_b32_e64 v29, v29, v3, s3
	v_cmp_gt_f32_e64 s4, v12, v28
	s_delay_alu instid0(VALU_DEP_1) | instskip(NEXT) | instid1(VALU_DEP_4)
	v_cndmask_b32_e64 v28, v28, v12, s4
	v_cndmask_b32_e64 v27, v27, 4, s4
	s_delay_alu instid0(VALU_DEP_4) | instskip(SKIP_1) | instid1(VALU_DEP_3)
	v_cndmask_b32_e64 v29, v29, v4, s4
	s_mov_b32 s4, exec_lo
	v_cmp_gt_f32_e64 s0, v13, v28
	s_delay_alu instid0(VALU_DEP_1) | instskip(SKIP_2) | instid1(VALU_DEP_3)
	v_cndmask_b32_e64 v28, v28, v13, s0
	v_cndmask_b32_e64 v27, v27, 5, s0
	;; [unrolled: 1-line block ×3, first 2 shown]
	v_cmp_gt_f32_e64 s1, v14, v28
	s_delay_alu instid0(VALU_DEP_1) | instskip(NEXT) | instid1(VALU_DEP_4)
	v_cndmask_b32_e64 v28, v28, v14, s1
	v_cndmask_b32_e64 v27, v27, 6, s1
	s_waitcnt lgkmcnt(0)
	v_cndmask_b32_e64 v30, v29, v6, s1
	s_delay_alu instid0(VALU_DEP_3) | instskip(NEXT) | instid1(VALU_DEP_1)
	v_cmp_gt_f32_e64 s0, v15, v28
	v_cndmask_b32_e64 v27, v27, 7, s0
	v_cndmask_b32_e64 v29, v28, v15, s0
	s_delay_alu instid0(VALU_DEP_4) | instskip(NEXT) | instid1(VALU_DEP_3)
	v_cndmask_b32_e64 v28, v30, v7, s0
	v_or_b32_e32 v27, v18, v27
	ds_bpermute_b32 v30, v21, v29
	ds_bpermute_b32 v32, v21, v28
	;; [unrolled: 1-line block ×3, first 2 shown]
	s_waitcnt lgkmcnt(0)
	v_cmp_lt_f32_e64 s3, v29, v30
	v_cmpx_nlt_f32_e32 v29, v30
; %bb.11:                               ;   in Loop: Header=BB265_10 Depth=1
	v_cmp_eq_f32_e64 s0, v29, v30
	v_cmp_lt_i32_e64 s1, v31, v27
	s_delay_alu instid0(VALU_DEP_1) | instskip(SKIP_2) | instid1(SALU_CYCLE_1)
	s_and_b32 s0, s0, s1
	s_and_not1_b32 s1, s3, exec_lo
	s_and_b32 s0, s0, exec_lo
	s_or_b32 s3, s1, s0
; %bb.12:                               ;   in Loop: Header=BB265_10 Depth=1
	s_or_b32 exec_lo, exec_lo, s4
	s_and_saveexec_b32 s0, s3
; %bb.13:                               ;   in Loop: Header=BB265_10 Depth=1
	v_dual_mov_b32 v28, v32 :: v_dual_mov_b32 v29, v30
	v_mov_b32_e32 v27, v31
; %bb.14:                               ;   in Loop: Header=BB265_10 Depth=1
	s_or_b32 exec_lo, exec_lo, s0
	ds_bpermute_b32 v30, v22, v29
	ds_bpermute_b32 v32, v22, v28
	;; [unrolled: 1-line block ×3, first 2 shown]
	s_mov_b32 s4, exec_lo
	s_waitcnt lgkmcnt(2)
	v_cmp_lt_f32_e64 s3, v29, v30
	v_cmpx_nlt_f32_e32 v29, v30
	s_cbranch_execz .LBB265_16
; %bb.15:                               ;   in Loop: Header=BB265_10 Depth=1
	v_cmp_eq_f32_e64 s0, v29, v30
	s_waitcnt lgkmcnt(0)
	v_cmp_lt_i32_e64 s1, v31, v27
	s_delay_alu instid0(VALU_DEP_1) | instskip(SKIP_2) | instid1(SALU_CYCLE_1)
	s_and_b32 s0, s0, s1
	s_and_not1_b32 s1, s3, exec_lo
	s_and_b32 s0, s0, exec_lo
	s_or_b32 s3, s1, s0
.LBB265_16:                             ;   in Loop: Header=BB265_10 Depth=1
	s_or_b32 exec_lo, exec_lo, s4
	s_delay_alu instid0(VALU_DEP_2)
	s_and_saveexec_b32 s0, s3
	s_cbranch_execz .LBB265_18
; %bb.17:                               ;   in Loop: Header=BB265_10 Depth=1
	s_waitcnt lgkmcnt(1)
	v_dual_mov_b32 v28, v32 :: v_dual_mov_b32 v29, v30
	s_waitcnt lgkmcnt(0)
	v_mov_b32_e32 v27, v31
.LBB265_18:                             ;   in Loop: Header=BB265_10 Depth=1
	s_or_b32 exec_lo, exec_lo, s0
	ds_bpermute_b32 v30, v23, v29
	s_waitcnt lgkmcnt(2)
	ds_bpermute_b32 v32, v23, v28
	s_waitcnt lgkmcnt(2)
	ds_bpermute_b32 v31, v23, v27
	s_mov_b32 s4, exec_lo
	s_waitcnt lgkmcnt(2)
	v_cmp_lt_f32_e64 s3, v29, v30
	v_cmpx_nlt_f32_e32 v29, v30
	s_cbranch_execz .LBB265_20
; %bb.19:                               ;   in Loop: Header=BB265_10 Depth=1
	v_cmp_eq_f32_e64 s0, v29, v30
	s_waitcnt lgkmcnt(0)
	v_cmp_lt_i32_e64 s1, v31, v27
	s_delay_alu instid0(VALU_DEP_1) | instskip(SKIP_2) | instid1(SALU_CYCLE_1)
	s_and_b32 s0, s0, s1
	s_and_not1_b32 s1, s3, exec_lo
	s_and_b32 s0, s0, exec_lo
	s_or_b32 s3, s1, s0
.LBB265_20:                             ;   in Loop: Header=BB265_10 Depth=1
	s_or_b32 exec_lo, exec_lo, s4
	s_delay_alu instid0(VALU_DEP_2)
	s_and_saveexec_b32 s0, s3
	s_cbranch_execz .LBB265_22
; %bb.21:                               ;   in Loop: Header=BB265_10 Depth=1
	s_waitcnt lgkmcnt(1)
	v_dual_mov_b32 v28, v32 :: v_dual_mov_b32 v29, v30
	s_waitcnt lgkmcnt(0)
	v_mov_b32_e32 v27, v31
.LBB265_22:                             ;   in Loop: Header=BB265_10 Depth=1
	s_or_b32 exec_lo, exec_lo, s0
	ds_bpermute_b32 v30, v24, v29
	s_waitcnt lgkmcnt(2)
	ds_bpermute_b32 v32, v24, v28
	s_waitcnt lgkmcnt(2)
	ds_bpermute_b32 v31, v24, v27
	s_mov_b32 s4, exec_lo
	s_waitcnt lgkmcnt(2)
	v_cmp_lt_f32_e64 s3, v29, v30
	v_cmpx_nlt_f32_e32 v29, v30
	s_cbranch_execz .LBB265_24
; %bb.23:                               ;   in Loop: Header=BB265_10 Depth=1
	v_cmp_eq_f32_e64 s0, v29, v30
	s_waitcnt lgkmcnt(0)
	v_cmp_lt_i32_e64 s1, v31, v27
	s_delay_alu instid0(VALU_DEP_1) | instskip(SKIP_2) | instid1(SALU_CYCLE_1)
	s_and_b32 s0, s0, s1
	s_and_not1_b32 s1, s3, exec_lo
	s_and_b32 s0, s0, exec_lo
	s_or_b32 s3, s1, s0
.LBB265_24:                             ;   in Loop: Header=BB265_10 Depth=1
	s_or_b32 exec_lo, exec_lo, s4
	s_delay_alu instid0(VALU_DEP_2)
	s_and_saveexec_b32 s0, s3
	s_cbranch_execz .LBB265_26
; %bb.25:                               ;   in Loop: Header=BB265_10 Depth=1
	s_waitcnt lgkmcnt(1)
	v_dual_mov_b32 v28, v32 :: v_dual_mov_b32 v29, v30
	s_waitcnt lgkmcnt(0)
	v_mov_b32_e32 v27, v31
.LBB265_26:                             ;   in Loop: Header=BB265_10 Depth=1
	s_or_b32 exec_lo, exec_lo, s0
	s_waitcnt lgkmcnt(1)
	ds_bpermute_b32 v32, v25, v29
	ds_bpermute_b32 v30, v25, v28
	s_waitcnt lgkmcnt(2)
	ds_bpermute_b32 v31, v25, v27
	s_mov_b32 s4, exec_lo
	s_waitcnt lgkmcnt(2)
	v_cmp_lt_f32_e64 s3, v29, v32
	v_cmpx_nlt_f32_e32 v29, v32
	s_cbranch_execnz .LBB265_30
; %bb.27:                               ;   in Loop: Header=BB265_10 Depth=1
	s_or_b32 exec_lo, exec_lo, s4
	s_delay_alu instid0(VALU_DEP_2)
	s_and_saveexec_b32 s0, s3
	s_cbranch_execnz .LBB265_31
.LBB265_28:                             ;   in Loop: Header=BB265_10 Depth=1
	s_or_b32 exec_lo, exec_lo, s0
	s_and_saveexec_b32 s3, s2
	s_cbranch_execnz .LBB265_32
.LBB265_29:                             ;   in Loop: Header=BB265_10 Depth=1
	s_or_b32 exec_lo, exec_lo, s3
	s_add_i32 s6, s6, 1
	s_delay_alu instid0(SALU_CYCLE_1)
	s_cmp_ge_i32 s6, s8
	s_cbranch_scc1 .LBB265_9
	s_branch .LBB265_33
.LBB265_30:                             ;   in Loop: Header=BB265_10 Depth=1
	v_cmp_eq_f32_e64 s0, v29, v32
	s_waitcnt lgkmcnt(0)
	v_cmp_lt_i32_e64 s1, v31, v27
	s_delay_alu instid0(VALU_DEP_1) | instskip(SKIP_2) | instid1(SALU_CYCLE_1)
	s_and_b32 s0, s0, s1
	s_and_not1_b32 s1, s3, exec_lo
	s_and_b32 s0, s0, exec_lo
	s_or_b32 s3, s1, s0
	s_or_b32 exec_lo, exec_lo, s4
	s_and_saveexec_b32 s0, s3
	s_cbranch_execz .LBB265_28
.LBB265_31:                             ;   in Loop: Header=BB265_10 Depth=1
	s_waitcnt lgkmcnt(0)
	v_dual_mov_b32 v27, v31 :: v_dual_mov_b32 v28, v30
	s_or_b32 exec_lo, exec_lo, s0
	s_and_saveexec_b32 s3, s2
	s_cbranch_execz .LBB265_29
.LBB265_32:                             ;   in Loop: Header=BB265_10 Depth=1
	s_delay_alu instid0(VALU_DEP_1)
	v_dual_add_f32 v36, v20, v28 :: v_dual_add_nc_u32 v29, s6, v19
	v_cmp_le_i32_e64 s0, s9, v27
	v_cmp_gt_i32_e64 s1, s10, v27
	s_waitcnt lgkmcnt(0)
	v_subrev_nc_u32_e32 v31, s9, v27
	v_ashrrev_i32_e32 v30, 31, v29
	v_cndmask_b32_e32 v20, v20, v36, vcc_lo
	s_and_b32 s0, s0, s1
	s_delay_alu instid0(SALU_CYCLE_1) | instskip(NEXT) | instid1(VALU_DEP_2)
	s_and_b32 s0, s19, s0
	v_lshlrev_b64 v[29:30], 2, v[29:30]
	v_cndmask_b32_e64 v35, 0x100, v31, s0
	s_delay_alu instid0(VALU_DEP_2) | instskip(NEXT) | instid1(VALU_DEP_1)
	v_add_co_u32 v31, s0, s16, v29
	v_add_co_ci_u32_e64 v32, s0, s17, v30, s0
	v_add_co_u32 v33, s0, s12, v29
	s_delay_alu instid0(VALU_DEP_1) | instskip(SKIP_1) | instid1(VALU_DEP_1)
	v_add_co_ci_u32_e64 v34, s0, s13, v30, s0
	v_add_co_u32 v29, s0, s14, v29
	v_add_co_ci_u32_e64 v30, s0, s15, v30, s0
	global_store_b32 v[31:32], v28, off
	global_store_b32 v[33:34], v35, off
	;; [unrolled: 1-line block ×3, first 2 shown]
	s_or_b32 exec_lo, exec_lo, s3
	s_add_i32 s6, s6, 1
	s_delay_alu instid0(SALU_CYCLE_1)
	s_cmp_ge_i32 s6, s8
	s_cbranch_scc1 .LBB265_9
.LBB265_33:                             ;   in Loop: Header=BB265_10 Depth=1
	v_ashrrev_i32_e32 v28, 31, v27
	s_mov_b32 s1, exec_lo
	s_delay_alu instid0(VALU_DEP_1) | instskip(NEXT) | instid1(VALU_DEP_1)
	v_lshrrev_b32_e32 v29, 29, v28
	v_add_nc_u32_e32 v29, v27, v29
	s_waitcnt lgkmcnt(1)
	s_delay_alu instid0(VALU_DEP_1) | instskip(SKIP_1) | instid1(VALU_DEP_2)
	v_ashrrev_i32_e32 v30, 31, v29
	v_ashrrev_i32_e32 v29, 3, v29
	v_lshrrev_b32_e32 v30, 27, v30
	s_delay_alu instid0(VALU_DEP_1) | instskip(NEXT) | instid1(VALU_DEP_1)
	v_add_nc_u32_e32 v30, v29, v30
	v_and_b32_e32 v30, 0xffffffe0, v30
	s_delay_alu instid0(VALU_DEP_1) | instskip(NEXT) | instid1(VALU_DEP_1)
	v_sub_nc_u32_e32 v30, v29, v30
	v_cmpx_eq_u32_e64 v17, v30
	s_cbranch_execz .LBB265_8
; %bb.34:                               ;   in Loop: Header=BB265_10 Depth=1
	v_lshrrev_b32_e32 v28, 24, v28
	v_lshlrev_b32_e32 v29, 3, v29
	s_delay_alu instid0(VALU_DEP_2) | instskip(NEXT) | instid1(VALU_DEP_2)
	v_add_nc_u32_e32 v28, v27, v28
	v_sub_nc_u32_e32 v27, v27, v29
	s_delay_alu instid0(VALU_DEP_2) | instskip(NEXT) | instid1(VALU_DEP_1)
	v_ashrrev_i32_e32 v28, 8, v28
	v_lshl_add_u32 v27, v28, 3, v27
	s_delay_alu instid0(VALU_DEP_1) | instskip(NEXT) | instid1(VALU_DEP_1)
	v_cmp_ne_u32_e64 s0, 7, v27
	v_cndmask_b32_e64 v15, 0xc61c4000, v15, s0
	v_cmp_ne_u32_e64 s0, 6, v27
	s_delay_alu instid0(VALU_DEP_1) | instskip(SKIP_1) | instid1(VALU_DEP_1)
	v_cndmask_b32_e64 v14, 0xc61c4000, v14, s0
	v_cmp_ne_u32_e64 s0, 5, v27
	v_cndmask_b32_e64 v13, 0xc61c4000, v13, s0
	v_cmp_ne_u32_e64 s0, 4, v27
	s_delay_alu instid0(VALU_DEP_1) | instskip(SKIP_1) | instid1(VALU_DEP_1)
	v_cndmask_b32_e64 v12, 0xc61c4000, v12, s0
	;; [unrolled: 5-line block ×3, first 2 shown]
	v_cmp_ne_u32_e64 s0, 1, v27
	v_cndmask_b32_e64 v9, 0xc61c4000, v9, s0
	v_cmp_ne_u32_e64 s0, 0, v27
	s_delay_alu instid0(VALU_DEP_1)
	v_cndmask_b32_e64 v8, 0xc61c4000, v8, s0
	s_branch .LBB265_8
.LBB265_35:
                                        ; implicit-def: $vgpr8_vgpr9_vgpr10_vgpr11_vgpr12_vgpr13_vgpr14_vgpr15
	s_and_not1_b32 vcc_lo, exec_lo, s9
	s_cbranch_vccz .LBB265_5
	s_branch .LBB265_6
.LBB265_36:
	v_mov_b32_e32 v20, 0
.LBB265_37:
	v_cmp_eq_u32_e64 s0, 0, v17
	s_delay_alu instid0(VALU_DEP_1) | instskip(NEXT) | instid1(SALU_CYCLE_1)
	s_and_b32 s0, s0, vcc_lo
	s_and_b32 exec_lo, exec_lo, s0
	s_cbranch_execz .LBB265_41
; %bb.38:
	s_and_not1_b32 vcc_lo, exec_lo, s5
	s_cbranch_vccnz .LBB265_41
; %bb.39:
	v_mul_lo_u32 v0, v16, s8
	v_cmp_lt_f32_e32 vcc_lo, 0, v20
	v_cndmask_b32_e32 v2, 1.0, v20, vcc_lo
	s_delay_alu instid0(VALU_DEP_3) | instskip(NEXT) | instid1(VALU_DEP_1)
	v_ashrrev_i32_e32 v1, 31, v0
	v_lshlrev_b64 v[0:1], 2, v[0:1]
	s_delay_alu instid0(VALU_DEP_1) | instskip(NEXT) | instid1(VALU_DEP_2)
	v_add_co_u32 v0, vcc_lo, s16, v0
	v_add_co_ci_u32_e32 v1, vcc_lo, s17, v1, vcc_lo
	.p2align	6
.LBB265_40:                             ; =>This Inner Loop Header: Depth=1
	global_load_b32 v3, v[0:1], off
	s_add_i32 s8, s8, -1
	s_delay_alu instid0(SALU_CYCLE_1) | instskip(SKIP_3) | instid1(VALU_DEP_2)
	s_cmp_lg_u32 s8, 0
	s_waitcnt vmcnt(0)
	v_div_scale_f32 v4, null, v2, v2, v3
	v_div_scale_f32 v7, vcc_lo, v3, v2, v3
	v_rcp_f32_e32 v5, v4
	s_waitcnt_depctr 0xfff
	v_fma_f32 v6, -v4, v5, 1.0
	s_delay_alu instid0(VALU_DEP_1) | instskip(NEXT) | instid1(VALU_DEP_1)
	v_fmac_f32_e32 v5, v6, v5
	v_mul_f32_e32 v6, v7, v5
	s_delay_alu instid0(VALU_DEP_1) | instskip(NEXT) | instid1(VALU_DEP_1)
	v_fma_f32 v8, -v4, v6, v7
	v_fmac_f32_e32 v6, v8, v5
	s_delay_alu instid0(VALU_DEP_1) | instskip(NEXT) | instid1(VALU_DEP_1)
	v_fma_f32 v4, -v4, v6, v7
	v_div_fmas_f32 v4, v4, v5, v6
	s_delay_alu instid0(VALU_DEP_1)
	v_div_fixup_f32 v3, v4, v2, v3
	global_store_b32 v[0:1], v3, off
	v_add_co_u32 v0, vcc_lo, v0, 4
	v_add_co_ci_u32_e32 v1, vcc_lo, 0, v1, vcc_lo
	s_cbranch_scc1 .LBB265_40
.LBB265_41:
	s_nop 0
	s_sendmsg sendmsg(MSG_DEALLOC_VGPRS)
	s_endpgm
	.section	.rodata,"a",@progbits
	.p2align	6, 0x0
	.amdhsa_kernel _ZN4vllm3moe10topkGatingILi8ELi256ELi4ELi16ELi64Ei6__halfLNS0_11ScoringFuncE1EEEvPKT5_PKbPfiPT4_PiiiibPKf
		.amdhsa_group_segment_fixed_size 0
		.amdhsa_private_segment_fixed_size 0
		.amdhsa_kernarg_size 72
		.amdhsa_user_sgpr_count 15
		.amdhsa_user_sgpr_dispatch_ptr 0
		.amdhsa_user_sgpr_queue_ptr 0
		.amdhsa_user_sgpr_kernarg_segment_ptr 1
		.amdhsa_user_sgpr_dispatch_id 0
		.amdhsa_user_sgpr_private_segment_size 0
		.amdhsa_wavefront_size32 1
		.amdhsa_uses_dynamic_stack 0
		.amdhsa_enable_private_segment 0
		.amdhsa_system_sgpr_workgroup_id_x 1
		.amdhsa_system_sgpr_workgroup_id_y 0
		.amdhsa_system_sgpr_workgroup_id_z 0
		.amdhsa_system_sgpr_workgroup_info 0
		.amdhsa_system_vgpr_workitem_id 1
		.amdhsa_next_free_vgpr 47
		.amdhsa_next_free_sgpr 20
		.amdhsa_reserve_vcc 1
		.amdhsa_float_round_mode_32 0
		.amdhsa_float_round_mode_16_64 0
		.amdhsa_float_denorm_mode_32 3
		.amdhsa_float_denorm_mode_16_64 3
		.amdhsa_dx10_clamp 1
		.amdhsa_ieee_mode 1
		.amdhsa_fp16_overflow 0
		.amdhsa_workgroup_processor_mode 1
		.amdhsa_memory_ordered 1
		.amdhsa_forward_progress 0
		.amdhsa_shared_vgpr_count 0
		.amdhsa_exception_fp_ieee_invalid_op 0
		.amdhsa_exception_fp_denorm_src 0
		.amdhsa_exception_fp_ieee_div_zero 0
		.amdhsa_exception_fp_ieee_overflow 0
		.amdhsa_exception_fp_ieee_underflow 0
		.amdhsa_exception_fp_ieee_inexact 0
		.amdhsa_exception_int_div_zero 0
	.end_amdhsa_kernel
	.section	.text._ZN4vllm3moe10topkGatingILi8ELi256ELi4ELi16ELi64Ei6__halfLNS0_11ScoringFuncE1EEEvPKT5_PKbPfiPT4_PiiiibPKf,"axG",@progbits,_ZN4vllm3moe10topkGatingILi8ELi256ELi4ELi16ELi64Ei6__halfLNS0_11ScoringFuncE1EEEvPKT5_PKbPfiPT4_PiiiibPKf,comdat
.Lfunc_end265:
	.size	_ZN4vllm3moe10topkGatingILi8ELi256ELi4ELi16ELi64Ei6__halfLNS0_11ScoringFuncE1EEEvPKT5_PKbPfiPT4_PiiiibPKf, .Lfunc_end265-_ZN4vllm3moe10topkGatingILi8ELi256ELi4ELi16ELi64Ei6__halfLNS0_11ScoringFuncE1EEEvPKT5_PKbPfiPT4_PiiiibPKf
                                        ; -- End function
	.section	.AMDGPU.csdata,"",@progbits
; Kernel info:
; codeLenInByte = 3220
; NumSgprs: 22
; NumVgprs: 47
; ScratchSize: 0
; MemoryBound: 0
; FloatMode: 240
; IeeeMode: 1
; LDSByteSize: 0 bytes/workgroup (compile time only)
; SGPRBlocks: 2
; VGPRBlocks: 5
; NumSGPRsForWavesPerEU: 22
; NumVGPRsForWavesPerEU: 47
; Occupancy: 16
; WaveLimiterHint : 0
; COMPUTE_PGM_RSRC2:SCRATCH_EN: 0
; COMPUTE_PGM_RSRC2:USER_SGPR: 15
; COMPUTE_PGM_RSRC2:TRAP_HANDLER: 0
; COMPUTE_PGM_RSRC2:TGID_X_EN: 1
; COMPUTE_PGM_RSRC2:TGID_Y_EN: 0
; COMPUTE_PGM_RSRC2:TGID_Z_EN: 0
; COMPUTE_PGM_RSRC2:TIDIG_COMP_CNT: 1
	.section	.text._ZN4vllm3moe10topkGatingILi8ELi256ELi4ELi16ELi32Ei6__halfLNS0_11ScoringFuncE1EEEvPKT5_PKbPfiPT4_PiiiibPKf,"axG",@progbits,_ZN4vllm3moe10topkGatingILi8ELi256ELi4ELi16ELi32Ei6__halfLNS0_11ScoringFuncE1EEEvPKT5_PKbPfiPT4_PiiiibPKf,comdat
	.protected	_ZN4vllm3moe10topkGatingILi8ELi256ELi4ELi16ELi32Ei6__halfLNS0_11ScoringFuncE1EEEvPKT5_PKbPfiPT4_PiiiibPKf ; -- Begin function _ZN4vllm3moe10topkGatingILi8ELi256ELi4ELi16ELi32Ei6__halfLNS0_11ScoringFuncE1EEEvPKT5_PKbPfiPT4_PiiiibPKf
	.globl	_ZN4vllm3moe10topkGatingILi8ELi256ELi4ELi16ELi32Ei6__halfLNS0_11ScoringFuncE1EEEvPKT5_PKbPfiPT4_PiiiibPKf
	.p2align	8
	.type	_ZN4vllm3moe10topkGatingILi8ELi256ELi4ELi16ELi32Ei6__halfLNS0_11ScoringFuncE1EEEvPKT5_PKbPfiPT4_PiiiibPKf,@function
_ZN4vllm3moe10topkGatingILi8ELi256ELi4ELi16ELi32Ei6__halfLNS0_11ScoringFuncE1EEEvPKT5_PKbPfiPT4_PiiiibPKf: ; @_ZN4vllm3moe10topkGatingILi8ELi256ELi4ELi16ELi32Ei6__halfLNS0_11ScoringFuncE1EEEvPKT5_PKbPfiPT4_PiiiibPKf
; %bb.0:
	s_load_b32 s18, s[0:1], 0x18
	v_and_b32_e32 v1, 0x3ff, v0
	v_bfe_u32 v0, v0, 10, 10
	s_lshl_b32 s2, s15, 2
	s_delay_alu instid0(VALU_DEP_2) | instskip(NEXT) | instid1(VALU_DEP_1)
	v_lshrrev_b32_e32 v2, 5, v1
	v_add3_u32 v16, s2, v0, v2
	s_mov_b32 s2, exec_lo
	s_waitcnt lgkmcnt(0)
	s_delay_alu instid0(VALU_DEP_1)
	v_cmpx_gt_i32_e64 s18, v16
	s_cbranch_execz .LBB266_41
; %bb.1:
	s_clause 0x1
	s_load_b128 s[4:7], s[0:1], 0x0
	s_load_b64 s[16:17], s[0:1], 0x10
	s_mov_b32 s9, -1
	s_mov_b32 s19, -1
	s_waitcnt lgkmcnt(0)
	s_cmp_eq_u64 s[6:7], 0
	s_cbranch_scc1 .LBB266_3
; %bb.2:
	v_ashrrev_i32_e32 v0, 31, v16
	v_add_co_u32 v2, vcc_lo, s6, v16
	s_delay_alu instid0(VALU_DEP_2) | instskip(SKIP_3) | instid1(VALU_DEP_1)
	v_add_co_ci_u32_e32 v3, vcc_lo, s7, v0, vcc_lo
	global_load_u8 v0, v[2:3], off
	s_waitcnt vmcnt(0)
	v_and_b32_e32 v0, 1, v0
	v_cmp_eq_u32_e32 vcc_lo, 1, v0
	s_xor_b32 s2, vcc_lo, -1
	s_delay_alu instid0(SALU_CYCLE_1)
	s_or_not1_b32 s19, s2, exec_lo
.LBB266_3:
	v_lshlrev_b32_e32 v2, 8, v16
	v_and_b32_e32 v17, 31, v1
	s_load_b64 s[10:11], s[0:1], 0x40
	s_delay_alu instid0(VALU_DEP_2) | instskip(NEXT) | instid1(VALU_DEP_1)
	v_ashrrev_i32_e32 v3, 31, v2
	v_lshlrev_b64 v[0:1], 1, v[2:3]
	s_delay_alu instid0(VALU_DEP_3) | instskip(NEXT) | instid1(VALU_DEP_2)
	v_lshlrev_b32_e32 v2, 4, v17
	v_add_co_u32 v0, vcc_lo, s4, v0
	s_delay_alu instid0(VALU_DEP_3) | instskip(NEXT) | instid1(VALU_DEP_2)
	v_add_co_ci_u32_e32 v1, vcc_lo, s5, v1, vcc_lo
	v_add_co_u32 v0, vcc_lo, v0, v2
	s_delay_alu instid0(VALU_DEP_2)
	v_add_co_ci_u32_e32 v1, vcc_lo, 0, v1, vcc_lo
	s_waitcnt lgkmcnt(0)
	s_cmp_eq_u64 s[10:11], 0
	global_load_b128 v[0:3], v[0:1], off
	s_waitcnt vmcnt(0)
	v_cvt_f32_f16_e32 v4, v0
	v_cvt_f32_f16_e32 v5, v1
	v_lshrrev_b32_e32 v1, 16, v1
	v_lshrrev_b32_e32 v0, 16, v0
	v_cvt_f32_f16_e32 v6, v2
	v_cvt_f32_f16_e32 v7, v3
	v_lshrrev_b32_e32 v3, 16, v3
	v_cvt_f32_f16_e32 v1, v1
	v_mul_f32_e32 v4, 0xbfb8aa3b, v4
	v_cvt_f32_f16_e32 v0, v0
	v_mul_f32_e32 v7, 0xbfb8aa3b, v7
	v_cvt_f32_f16_e32 v3, v3
	v_dual_mul_f32 v6, 0xbfb8aa3b, v6 :: v_dual_mul_f32 v1, 0xbfb8aa3b, v1
	v_exp_f32_e32 v4, v4
	s_delay_alu instid0(VALU_DEP_2) | instskip(NEXT) | instid1(VALU_DEP_2)
	v_dual_mul_f32 v0, 0xbfb8aa3b, v0 :: v_dual_mul_f32 v3, 0xbfb8aa3b, v3
	v_exp_f32_e32 v6, v6
	s_delay_alu instid0(VALU_DEP_2)
	v_exp_f32_e32 v1, v1
	v_lshrrev_b32_e32 v2, 16, v2
	v_mul_f32_e32 v5, 0xbfb8aa3b, v5
	v_exp_f32_e32 v3, v3
	v_exp_f32_e32 v7, v7
	;; [unrolled: 1-line block ×3, first 2 shown]
	v_add_f32_e32 v4, 1.0, v4
	v_cvt_f32_f16_e32 v2, v2
	v_exp_f32_e32 v5, v5
	v_dual_add_f32 v6, 1.0, v6 :: v_dual_add_f32 v1, 1.0, v1
	s_delay_alu instid0(VALU_DEP_3) | instskip(NEXT) | instid1(VALU_DEP_3)
	v_div_scale_f32 v8, null, v4, v4, 1.0
	v_dual_add_f32 v19, 1.0, v3 :: v_dual_mul_f32 v2, 0xbfb8aa3b, v2
	s_delay_alu instid0(VALU_DEP_3) | instskip(NEXT) | instid1(VALU_DEP_3)
	v_div_scale_f32 v12, null, v6, v6, 1.0
	v_rcp_f32_e32 v3, v8
	s_waitcnt_depctr 0xfff
	v_add_f32_e32 v5, 1.0, v5
	v_exp_f32_e32 v2, v2
	v_rcp_f32_e32 v25, v12
	v_dual_add_f32 v7, 1.0, v7 :: v_dual_lshlrev_b32 v18, 3, v17
	s_delay_alu instid0(VALU_DEP_2) | instskip(SKIP_3) | instid1(VALU_DEP_4)
	v_div_scale_f32 v10, null, v5, v5, 1.0
	v_div_scale_f32 v29, null, v19, v19, 1.0
	v_fma_f32 v34, -v8, v3, 1.0
	v_add_f32_e32 v0, 1.0, v0
	v_rcp_f32_e32 v22, v10
	s_delay_alu instid0(TRANS32_DEP_2) | instskip(NEXT) | instid1(TRANS32_DEP_3)
	v_fma_f32 v37, -v12, v25, 1.0
	v_add_f32_e32 v14, 1.0, v2
	v_div_scale_f32 v2, null, v7, v7, 1.0
	v_fmac_f32_e32 v3, v34, v3
	s_delay_alu instid0(VALU_DEP_4) | instskip(SKIP_3) | instid1(VALU_DEP_2)
	v_fmac_f32_e32 v25, v37, v25
	v_div_scale_f32 v20, null, v0, v0, 1.0
	v_div_scale_f32 v26, null, v14, v14, 1.0
	v_rcp_f32_e32 v28, v2
	v_rcp_f32_e32 v30, v20
	v_div_scale_f32 v23, null, v1, v1, 1.0
	s_delay_alu instid0(VALU_DEP_2) | instskip(SKIP_2) | instid1(VALU_DEP_2)
	v_rcp_f32_e32 v33, v26
	v_rcp_f32_e32 v35, v29
	v_div_scale_f32 v9, vcc_lo, 1.0, v4, 1.0
	v_rcp_f32_e32 v32, v23
	v_fma_f32 v36, -v10, v22, 1.0
	v_fma_f32 v38, -v2, v28, 1.0
	;; [unrolled: 1-line block ×3, first 2 shown]
	v_div_scale_f32 v11, s2, 1.0, v5, 1.0
	v_div_scale_f32 v15, s4, 1.0, v7, 1.0
	;; [unrolled: 1-line block ×3, first 2 shown]
	v_dual_fmac_f32 v22, v36, v22 :: v_dual_mul_f32 v39, v9, v3
	v_fma_f32 v37, -v26, v33, 1.0
	v_fmac_f32_e32 v28, v38, v28
	v_fma_f32 v38, -v29, v35, 1.0
	v_fmac_f32_e32 v30, v34, v30
	v_fma_f32 v36, -v23, v32, 1.0
	v_dual_mul_f32 v34, v11, v22 :: v_dual_fmac_f32 v33, v37, v33
	s_delay_alu instid0(VALU_DEP_4)
	v_fmac_f32_e32 v35, v38, v35
	v_mul_f32_e32 v37, v15, v28
	v_fma_f32 v38, -v8, v39, v9
	v_mul_f32_e32 v40, v21, v30
	v_fmac_f32_e32 v32, v36, v32
	v_div_scale_f32 v24, s6, 1.0, v1, 1.0
	s_delay_alu instid0(VALU_DEP_4) | instskip(NEXT) | instid1(VALU_DEP_4)
	v_fmac_f32_e32 v39, v38, v3
	v_fma_f32 v38, -v20, v40, v21
	v_div_scale_f32 v13, s3, 1.0, v6, 1.0
	v_fma_f32 v41, -v10, v34, v11
	s_delay_alu instid0(VALU_DEP_4) | instskip(NEXT) | instid1(VALU_DEP_4)
	v_fma_f32 v8, -v8, v39, v9
	v_fmac_f32_e32 v40, v38, v30
	v_mul_f32_e32 v42, v24, v32
	v_div_scale_f32 v27, s7, 1.0, v14, 1.0
	s_delay_alu instid0(VALU_DEP_4) | instskip(NEXT) | instid1(VALU_DEP_4)
	v_div_fmas_f32 v3, v8, v3, v39
	v_fma_f32 v8, -v20, v40, v21
	s_mov_b32 vcc_lo, s5
	v_fmac_f32_e32 v34, v41, v22
	v_fma_f32 v41, -v23, v42, v24
	v_div_fixup_f32 v3, v3, v4, 1.0
	v_div_fmas_f32 v4, v8, v30, v40
	v_fma_f32 v45, -v2, v37, v15
	v_mul_f32_e32 v44, v27, v33
	v_fmac_f32_e32 v42, v41, v32
	v_div_scale_f32 v31, s8, 1.0, v19, 1.0
	s_delay_alu instid0(VALU_DEP_4)
	v_fmac_f32_e32 v37, v45, v28
	v_div_fixup_f32 v4, v4, v0, 1.0
	v_mul_f32_e32 v36, v13, v25
	v_fma_f32 v9, -v10, v34, v11
	v_fma_f32 v11, -v23, v42, v24
	s_mov_b32 vcc_lo, s2
	v_mul_f32_e32 v46, v31, v35
	v_fma_f32 v43, -v12, v36, v13
	v_div_fmas_f32 v8, v9, v22, v34
	s_mov_b32 vcc_lo, s6
	v_fma_f32 v2, -v2, v37, v15
	v_div_fmas_f32 v9, v11, v32, v42
	v_fmac_f32_e32 v36, v43, v25
	v_fma_f32 v43, -v26, v44, v27
	v_cmp_class_f32_e64 vcc_lo, v3, 0x1f8
	v_fma_f32 v45, -v29, v46, v31
	v_div_fixup_f32 v5, v8, v5, 1.0
	v_fma_f32 v10, -v12, v36, v13
	v_fmac_f32_e32 v44, v43, v33
	v_cndmask_b32_e32 v0, 0, v3, vcc_lo
	s_mov_b32 vcc_lo, s3
	v_fmac_f32_e32 v46, v45, v35
	v_div_fmas_f32 v3, v10, v25, v36
	v_fma_f32 v12, -v26, v44, v27
	s_mov_b32 vcc_lo, s7
	v_div_fixup_f32 v9, v9, v1, 1.0
	v_fma_f32 v13, -v29, v46, v31
	s_delay_alu instid0(VALU_DEP_3) | instskip(SKIP_3) | instid1(VALU_DEP_2)
	v_div_fmas_f32 v8, v12, v33, v44
	s_mov_b32 vcc_lo, s4
	v_div_fmas_f32 v10, v2, v28, v37
	v_cmp_class_f32_e64 vcc_lo, v4, 0x1f8
	v_div_fixup_f32 v7, v10, v7, 1.0
	v_cndmask_b32_e32 v1, 0, v4, vcc_lo
	s_mov_b32 vcc_lo, s8
	v_div_fixup_f32 v4, v3, v6, 1.0
	v_div_fmas_f32 v6, v13, v35, v46
	v_cmp_class_f32_e64 vcc_lo, v5, 0x1f8
	v_cndmask_b32_e32 v2, 0, v5, vcc_lo
	v_cmp_class_f32_e64 vcc_lo, v9, 0x1f8
	v_div_fixup_f32 v5, v8, v14, 1.0
	v_div_fixup_f32 v8, v6, v19, 1.0
	v_cndmask_b32_e32 v3, 0, v9, vcc_lo
	v_cmp_class_f32_e64 vcc_lo, v4, 0x1f8
	v_cndmask_b32_e32 v4, 0, v4, vcc_lo
	v_cmp_class_f32_e64 vcc_lo, v5, 0x1f8
	;; [unrolled: 2-line block ×4, first 2 shown]
	v_cndmask_b32_e32 v7, 0, v8, vcc_lo
	s_cbranch_scc1 .LBB266_35
; %bb.4:
	v_lshlrev_b32_e32 v12, 2, v18
	s_clause 0x1
	global_load_b128 v[8:11], v12, s[10:11]
	global_load_b128 v[12:15], v12, s[10:11] offset:16
	s_waitcnt vmcnt(1)
	v_dual_add_f32 v9, v9, v1 :: v_dual_add_f32 v8, v8, v0
	v_dual_add_f32 v11, v11, v3 :: v_dual_add_f32 v10, v10, v2
	s_waitcnt vmcnt(0)
	v_dual_add_f32 v13, v13, v5 :: v_dual_add_f32 v12, v12, v4
	v_dual_add_f32 v15, v15, v7 :: v_dual_add_f32 v14, v14, v6
	s_cbranch_execnz .LBB266_6
.LBB266_5:
	v_dual_mov_b32 v15, v7 :: v_dual_mov_b32 v14, v6
	v_dual_mov_b32 v13, v5 :: v_dual_mov_b32 v12, v4
	;; [unrolled: 1-line block ×4, first 2 shown]
.LBB266_6:
	s_load_b128 s[8:11], s[0:1], 0x30
	v_cmp_eq_u32_e64 s2, 0, v17
	s_mov_b32 s6, 0
	s_waitcnt lgkmcnt(0)
	s_bitcmp1_b32 s11, 0
	s_cselect_b32 vcc_lo, -1, 0
	s_cmp_gt_i32 s8, 0
	s_cselect_b32 s5, -1, 0
	s_cmp_lt_i32 s8, 1
	s_cbranch_scc1 .LBB266_36
; %bb.7:
	v_mbcnt_lo_u32_b32 v20, -1, 0
	s_load_b128 s[12:15], s[0:1], 0x20
	v_mul_lo_u32 v19, v16, s8
	v_mov_b32_e32 v26, v16
	s_delay_alu instid0(VALU_DEP_3)
	v_xor_b32_e32 v21, 16, v20
	v_xor_b32_e32 v22, 8, v20
	;; [unrolled: 1-line block ×5, first 2 shown]
	v_cmp_gt_i32_e64 s0, 32, v21
	s_delay_alu instid0(VALU_DEP_1) | instskip(SKIP_1) | instid1(VALU_DEP_2)
	v_cndmask_b32_e64 v21, v20, v21, s0
	v_cmp_gt_i32_e64 s0, 32, v22
	v_lshlrev_b32_e32 v21, 2, v21
	s_delay_alu instid0(VALU_DEP_2) | instskip(SKIP_1) | instid1(VALU_DEP_2)
	v_cndmask_b32_e64 v22, v20, v22, s0
	v_cmp_gt_i32_e64 s0, 32, v23
	v_lshlrev_b32_e32 v22, 2, v22
	s_delay_alu instid0(VALU_DEP_2) | instskip(SKIP_1) | instid1(VALU_DEP_2)
	;; [unrolled: 4-line block ×3, first 2 shown]
	v_cndmask_b32_e64 v24, v20, v24, s0
	v_cmp_gt_i32_e64 s0, 32, v25
	v_lshlrev_b32_e32 v24, 2, v24
	s_delay_alu instid0(VALU_DEP_2) | instskip(NEXT) | instid1(VALU_DEP_1)
	v_cndmask_b32_e64 v20, v20, v25, s0
	v_dual_mov_b32 v20, 0 :: v_dual_lshlrev_b32 v25, 2, v20
	s_branch .LBB266_10
.LBB266_8:                              ;   in Loop: Header=BB266_10 Depth=1
	s_or_b32 exec_lo, exec_lo, s1
.LBB266_9:                              ;   in Loop: Header=BB266_10 Depth=1
	v_add_nc_u32_e32 v26, s18, v26
	s_cmp_eq_u32 s8, s6
	s_cbranch_scc1 .LBB266_37
.LBB266_10:                             ; =>This Inner Loop Header: Depth=1
	v_cmp_gt_f32_e64 s0, v9, v8
	s_delay_alu instid0(VALU_DEP_1) | instskip(SKIP_2) | instid1(VALU_DEP_3)
	v_cndmask_b32_e64 v28, v8, v9, s0
	v_cndmask_b32_e64 v27, 0, 1, s0
	;; [unrolled: 1-line block ×3, first 2 shown]
	v_cmp_gt_f32_e64 s1, v10, v28
	s_delay_alu instid0(VALU_DEP_1) | instskip(NEXT) | instid1(VALU_DEP_4)
	v_cndmask_b32_e64 v28, v28, v10, s1
	v_cndmask_b32_e64 v27, v27, 2, s1
	s_delay_alu instid0(VALU_DEP_4) | instskip(NEXT) | instid1(VALU_DEP_3)
	v_cndmask_b32_e64 v29, v29, v2, s1
	v_cmp_gt_f32_e64 s3, v11, v28
	s_delay_alu instid0(VALU_DEP_1) | instskip(NEXT) | instid1(VALU_DEP_4)
	v_cndmask_b32_e64 v28, v28, v11, s3
	v_cndmask_b32_e64 v27, v27, 3, s3
	s_delay_alu instid0(VALU_DEP_4) | instskip(NEXT) | instid1(VALU_DEP_3)
	v_cndmask_b32_e64 v29, v29, v3, s3
	v_cmp_gt_f32_e64 s4, v12, v28
	s_delay_alu instid0(VALU_DEP_1) | instskip(NEXT) | instid1(VALU_DEP_4)
	v_cndmask_b32_e64 v28, v28, v12, s4
	v_cndmask_b32_e64 v27, v27, 4, s4
	s_delay_alu instid0(VALU_DEP_4) | instskip(SKIP_1) | instid1(VALU_DEP_3)
	v_cndmask_b32_e64 v29, v29, v4, s4
	s_mov_b32 s4, exec_lo
	v_cmp_gt_f32_e64 s0, v13, v28
	s_delay_alu instid0(VALU_DEP_1) | instskip(SKIP_2) | instid1(VALU_DEP_3)
	v_cndmask_b32_e64 v28, v28, v13, s0
	v_cndmask_b32_e64 v27, v27, 5, s0
	v_cndmask_b32_e64 v29, v29, v5, s0
	v_cmp_gt_f32_e64 s1, v14, v28
	s_delay_alu instid0(VALU_DEP_1) | instskip(NEXT) | instid1(VALU_DEP_4)
	v_cndmask_b32_e64 v28, v28, v14, s1
	v_cndmask_b32_e64 v27, v27, 6, s1
	s_waitcnt lgkmcnt(0)
	v_cndmask_b32_e64 v30, v29, v6, s1
	s_delay_alu instid0(VALU_DEP_3) | instskip(NEXT) | instid1(VALU_DEP_1)
	v_cmp_gt_f32_e64 s0, v15, v28
	v_cndmask_b32_e64 v27, v27, 7, s0
	v_cndmask_b32_e64 v29, v28, v15, s0
	s_delay_alu instid0(VALU_DEP_4) | instskip(NEXT) | instid1(VALU_DEP_3)
	v_cndmask_b32_e64 v28, v30, v7, s0
	v_or_b32_e32 v27, v18, v27
	ds_bpermute_b32 v30, v21, v29
	ds_bpermute_b32 v32, v21, v28
	;; [unrolled: 1-line block ×3, first 2 shown]
	s_waitcnt lgkmcnt(0)
	v_cmp_lt_f32_e64 s3, v29, v30
	v_cmpx_nlt_f32_e32 v29, v30
; %bb.11:                               ;   in Loop: Header=BB266_10 Depth=1
	v_cmp_eq_f32_e64 s0, v29, v30
	v_cmp_lt_i32_e64 s1, v31, v27
	s_delay_alu instid0(VALU_DEP_1) | instskip(SKIP_2) | instid1(SALU_CYCLE_1)
	s_and_b32 s0, s0, s1
	s_and_not1_b32 s1, s3, exec_lo
	s_and_b32 s0, s0, exec_lo
	s_or_b32 s3, s1, s0
; %bb.12:                               ;   in Loop: Header=BB266_10 Depth=1
	s_or_b32 exec_lo, exec_lo, s4
	s_and_saveexec_b32 s0, s3
; %bb.13:                               ;   in Loop: Header=BB266_10 Depth=1
	v_dual_mov_b32 v28, v32 :: v_dual_mov_b32 v29, v30
	v_mov_b32_e32 v27, v31
; %bb.14:                               ;   in Loop: Header=BB266_10 Depth=1
	s_or_b32 exec_lo, exec_lo, s0
	ds_bpermute_b32 v30, v22, v29
	ds_bpermute_b32 v32, v22, v28
	;; [unrolled: 1-line block ×3, first 2 shown]
	s_mov_b32 s4, exec_lo
	s_waitcnt lgkmcnt(2)
	v_cmp_lt_f32_e64 s3, v29, v30
	v_cmpx_nlt_f32_e32 v29, v30
	s_cbranch_execz .LBB266_16
; %bb.15:                               ;   in Loop: Header=BB266_10 Depth=1
	v_cmp_eq_f32_e64 s0, v29, v30
	s_waitcnt lgkmcnt(0)
	v_cmp_lt_i32_e64 s1, v31, v27
	s_delay_alu instid0(VALU_DEP_1) | instskip(SKIP_2) | instid1(SALU_CYCLE_1)
	s_and_b32 s0, s0, s1
	s_and_not1_b32 s1, s3, exec_lo
	s_and_b32 s0, s0, exec_lo
	s_or_b32 s3, s1, s0
.LBB266_16:                             ;   in Loop: Header=BB266_10 Depth=1
	s_or_b32 exec_lo, exec_lo, s4
	s_delay_alu instid0(VALU_DEP_2)
	s_and_saveexec_b32 s0, s3
	s_cbranch_execz .LBB266_18
; %bb.17:                               ;   in Loop: Header=BB266_10 Depth=1
	s_waitcnt lgkmcnt(1)
	v_dual_mov_b32 v28, v32 :: v_dual_mov_b32 v29, v30
	s_waitcnt lgkmcnt(0)
	v_mov_b32_e32 v27, v31
.LBB266_18:                             ;   in Loop: Header=BB266_10 Depth=1
	s_or_b32 exec_lo, exec_lo, s0
	ds_bpermute_b32 v30, v23, v29
	s_waitcnt lgkmcnt(2)
	ds_bpermute_b32 v32, v23, v28
	s_waitcnt lgkmcnt(2)
	ds_bpermute_b32 v31, v23, v27
	s_mov_b32 s4, exec_lo
	s_waitcnt lgkmcnt(2)
	v_cmp_lt_f32_e64 s3, v29, v30
	v_cmpx_nlt_f32_e32 v29, v30
	s_cbranch_execz .LBB266_20
; %bb.19:                               ;   in Loop: Header=BB266_10 Depth=1
	v_cmp_eq_f32_e64 s0, v29, v30
	s_waitcnt lgkmcnt(0)
	v_cmp_lt_i32_e64 s1, v31, v27
	s_delay_alu instid0(VALU_DEP_1) | instskip(SKIP_2) | instid1(SALU_CYCLE_1)
	s_and_b32 s0, s0, s1
	s_and_not1_b32 s1, s3, exec_lo
	s_and_b32 s0, s0, exec_lo
	s_or_b32 s3, s1, s0
.LBB266_20:                             ;   in Loop: Header=BB266_10 Depth=1
	s_or_b32 exec_lo, exec_lo, s4
	s_delay_alu instid0(VALU_DEP_2)
	s_and_saveexec_b32 s0, s3
	s_cbranch_execz .LBB266_22
; %bb.21:                               ;   in Loop: Header=BB266_10 Depth=1
	s_waitcnt lgkmcnt(1)
	v_dual_mov_b32 v28, v32 :: v_dual_mov_b32 v29, v30
	s_waitcnt lgkmcnt(0)
	v_mov_b32_e32 v27, v31
.LBB266_22:                             ;   in Loop: Header=BB266_10 Depth=1
	s_or_b32 exec_lo, exec_lo, s0
	ds_bpermute_b32 v30, v24, v29
	s_waitcnt lgkmcnt(2)
	ds_bpermute_b32 v32, v24, v28
	s_waitcnt lgkmcnt(2)
	ds_bpermute_b32 v31, v24, v27
	s_mov_b32 s4, exec_lo
	s_waitcnt lgkmcnt(2)
	v_cmp_lt_f32_e64 s3, v29, v30
	v_cmpx_nlt_f32_e32 v29, v30
	s_cbranch_execz .LBB266_24
; %bb.23:                               ;   in Loop: Header=BB266_10 Depth=1
	v_cmp_eq_f32_e64 s0, v29, v30
	s_waitcnt lgkmcnt(0)
	v_cmp_lt_i32_e64 s1, v31, v27
	s_delay_alu instid0(VALU_DEP_1) | instskip(SKIP_2) | instid1(SALU_CYCLE_1)
	s_and_b32 s0, s0, s1
	s_and_not1_b32 s1, s3, exec_lo
	s_and_b32 s0, s0, exec_lo
	s_or_b32 s3, s1, s0
.LBB266_24:                             ;   in Loop: Header=BB266_10 Depth=1
	s_or_b32 exec_lo, exec_lo, s4
	s_delay_alu instid0(VALU_DEP_2)
	s_and_saveexec_b32 s0, s3
	s_cbranch_execz .LBB266_26
; %bb.25:                               ;   in Loop: Header=BB266_10 Depth=1
	s_waitcnt lgkmcnt(1)
	v_dual_mov_b32 v28, v32 :: v_dual_mov_b32 v29, v30
	s_waitcnt lgkmcnt(0)
	v_mov_b32_e32 v27, v31
.LBB266_26:                             ;   in Loop: Header=BB266_10 Depth=1
	s_or_b32 exec_lo, exec_lo, s0
	s_waitcnt lgkmcnt(1)
	ds_bpermute_b32 v32, v25, v29
	ds_bpermute_b32 v30, v25, v28
	s_waitcnt lgkmcnt(2)
	ds_bpermute_b32 v31, v25, v27
	s_mov_b32 s4, exec_lo
	s_waitcnt lgkmcnt(2)
	v_cmp_lt_f32_e64 s3, v29, v32
	v_cmpx_nlt_f32_e32 v29, v32
	s_cbranch_execnz .LBB266_30
; %bb.27:                               ;   in Loop: Header=BB266_10 Depth=1
	s_or_b32 exec_lo, exec_lo, s4
	s_delay_alu instid0(VALU_DEP_2)
	s_and_saveexec_b32 s0, s3
	s_cbranch_execnz .LBB266_31
.LBB266_28:                             ;   in Loop: Header=BB266_10 Depth=1
	s_or_b32 exec_lo, exec_lo, s0
	s_and_saveexec_b32 s3, s2
	s_cbranch_execnz .LBB266_32
.LBB266_29:                             ;   in Loop: Header=BB266_10 Depth=1
	s_or_b32 exec_lo, exec_lo, s3
	s_add_i32 s6, s6, 1
	s_delay_alu instid0(SALU_CYCLE_1)
	s_cmp_ge_i32 s6, s8
	s_cbranch_scc1 .LBB266_9
	s_branch .LBB266_33
.LBB266_30:                             ;   in Loop: Header=BB266_10 Depth=1
	v_cmp_eq_f32_e64 s0, v29, v32
	s_waitcnt lgkmcnt(0)
	v_cmp_lt_i32_e64 s1, v31, v27
	s_delay_alu instid0(VALU_DEP_1) | instskip(SKIP_2) | instid1(SALU_CYCLE_1)
	s_and_b32 s0, s0, s1
	s_and_not1_b32 s1, s3, exec_lo
	s_and_b32 s0, s0, exec_lo
	s_or_b32 s3, s1, s0
	s_or_b32 exec_lo, exec_lo, s4
	s_and_saveexec_b32 s0, s3
	s_cbranch_execz .LBB266_28
.LBB266_31:                             ;   in Loop: Header=BB266_10 Depth=1
	s_waitcnt lgkmcnt(0)
	v_dual_mov_b32 v27, v31 :: v_dual_mov_b32 v28, v30
	s_or_b32 exec_lo, exec_lo, s0
	s_and_saveexec_b32 s3, s2
	s_cbranch_execz .LBB266_29
.LBB266_32:                             ;   in Loop: Header=BB266_10 Depth=1
	s_delay_alu instid0(VALU_DEP_1)
	v_dual_add_f32 v36, v20, v28 :: v_dual_add_nc_u32 v29, s6, v19
	v_cmp_le_i32_e64 s0, s9, v27
	v_cmp_gt_i32_e64 s1, s10, v27
	s_waitcnt lgkmcnt(0)
	v_subrev_nc_u32_e32 v31, s9, v27
	v_ashrrev_i32_e32 v30, 31, v29
	v_cndmask_b32_e32 v20, v20, v36, vcc_lo
	s_and_b32 s0, s0, s1
	s_delay_alu instid0(SALU_CYCLE_1) | instskip(NEXT) | instid1(VALU_DEP_2)
	s_and_b32 s0, s19, s0
	v_lshlrev_b64 v[29:30], 2, v[29:30]
	v_cndmask_b32_e64 v35, 0x100, v31, s0
	s_delay_alu instid0(VALU_DEP_2) | instskip(NEXT) | instid1(VALU_DEP_1)
	v_add_co_u32 v31, s0, s16, v29
	v_add_co_ci_u32_e64 v32, s0, s17, v30, s0
	v_add_co_u32 v33, s0, s12, v29
	s_delay_alu instid0(VALU_DEP_1) | instskip(SKIP_1) | instid1(VALU_DEP_1)
	v_add_co_ci_u32_e64 v34, s0, s13, v30, s0
	v_add_co_u32 v29, s0, s14, v29
	v_add_co_ci_u32_e64 v30, s0, s15, v30, s0
	global_store_b32 v[31:32], v28, off
	global_store_b32 v[33:34], v35, off
	;; [unrolled: 1-line block ×3, first 2 shown]
	s_or_b32 exec_lo, exec_lo, s3
	s_add_i32 s6, s6, 1
	s_delay_alu instid0(SALU_CYCLE_1)
	s_cmp_ge_i32 s6, s8
	s_cbranch_scc1 .LBB266_9
.LBB266_33:                             ;   in Loop: Header=BB266_10 Depth=1
	v_ashrrev_i32_e32 v28, 31, v27
	s_mov_b32 s1, exec_lo
	s_delay_alu instid0(VALU_DEP_1) | instskip(NEXT) | instid1(VALU_DEP_1)
	v_lshrrev_b32_e32 v29, 29, v28
	v_add_nc_u32_e32 v29, v27, v29
	s_waitcnt lgkmcnt(1)
	s_delay_alu instid0(VALU_DEP_1) | instskip(SKIP_1) | instid1(VALU_DEP_2)
	v_ashrrev_i32_e32 v30, 31, v29
	v_ashrrev_i32_e32 v29, 3, v29
	v_lshrrev_b32_e32 v30, 27, v30
	s_delay_alu instid0(VALU_DEP_1) | instskip(NEXT) | instid1(VALU_DEP_1)
	v_add_nc_u32_e32 v30, v29, v30
	v_and_b32_e32 v30, 0xffffffe0, v30
	s_delay_alu instid0(VALU_DEP_1) | instskip(NEXT) | instid1(VALU_DEP_1)
	v_sub_nc_u32_e32 v30, v29, v30
	v_cmpx_eq_u32_e64 v17, v30
	s_cbranch_execz .LBB266_8
; %bb.34:                               ;   in Loop: Header=BB266_10 Depth=1
	v_lshrrev_b32_e32 v28, 24, v28
	v_lshlrev_b32_e32 v29, 3, v29
	s_delay_alu instid0(VALU_DEP_2) | instskip(NEXT) | instid1(VALU_DEP_2)
	v_add_nc_u32_e32 v28, v27, v28
	v_sub_nc_u32_e32 v27, v27, v29
	s_delay_alu instid0(VALU_DEP_2) | instskip(NEXT) | instid1(VALU_DEP_1)
	v_ashrrev_i32_e32 v28, 8, v28
	v_lshl_add_u32 v27, v28, 3, v27
	s_delay_alu instid0(VALU_DEP_1) | instskip(NEXT) | instid1(VALU_DEP_1)
	v_cmp_ne_u32_e64 s0, 7, v27
	v_cndmask_b32_e64 v15, 0xc61c4000, v15, s0
	v_cmp_ne_u32_e64 s0, 6, v27
	s_delay_alu instid0(VALU_DEP_1) | instskip(SKIP_1) | instid1(VALU_DEP_1)
	v_cndmask_b32_e64 v14, 0xc61c4000, v14, s0
	v_cmp_ne_u32_e64 s0, 5, v27
	v_cndmask_b32_e64 v13, 0xc61c4000, v13, s0
	v_cmp_ne_u32_e64 s0, 4, v27
	s_delay_alu instid0(VALU_DEP_1) | instskip(SKIP_1) | instid1(VALU_DEP_1)
	v_cndmask_b32_e64 v12, 0xc61c4000, v12, s0
	;; [unrolled: 5-line block ×3, first 2 shown]
	v_cmp_ne_u32_e64 s0, 1, v27
	v_cndmask_b32_e64 v9, 0xc61c4000, v9, s0
	v_cmp_ne_u32_e64 s0, 0, v27
	s_delay_alu instid0(VALU_DEP_1)
	v_cndmask_b32_e64 v8, 0xc61c4000, v8, s0
	s_branch .LBB266_8
.LBB266_35:
                                        ; implicit-def: $vgpr8_vgpr9_vgpr10_vgpr11_vgpr12_vgpr13_vgpr14_vgpr15
	s_and_not1_b32 vcc_lo, exec_lo, s9
	s_cbranch_vccz .LBB266_5
	s_branch .LBB266_6
.LBB266_36:
	v_mov_b32_e32 v20, 0
.LBB266_37:
	v_cmp_eq_u32_e64 s0, 0, v17
	s_delay_alu instid0(VALU_DEP_1) | instskip(NEXT) | instid1(SALU_CYCLE_1)
	s_and_b32 s0, s0, vcc_lo
	s_and_b32 exec_lo, exec_lo, s0
	s_cbranch_execz .LBB266_41
; %bb.38:
	s_and_not1_b32 vcc_lo, exec_lo, s5
	s_cbranch_vccnz .LBB266_41
; %bb.39:
	v_mul_lo_u32 v0, v16, s8
	v_cmp_lt_f32_e32 vcc_lo, 0, v20
	v_cndmask_b32_e32 v2, 1.0, v20, vcc_lo
	s_delay_alu instid0(VALU_DEP_3) | instskip(NEXT) | instid1(VALU_DEP_1)
	v_ashrrev_i32_e32 v1, 31, v0
	v_lshlrev_b64 v[0:1], 2, v[0:1]
	s_delay_alu instid0(VALU_DEP_1) | instskip(NEXT) | instid1(VALU_DEP_2)
	v_add_co_u32 v0, vcc_lo, s16, v0
	v_add_co_ci_u32_e32 v1, vcc_lo, s17, v1, vcc_lo
	.p2align	6
.LBB266_40:                             ; =>This Inner Loop Header: Depth=1
	global_load_b32 v3, v[0:1], off
	s_add_i32 s8, s8, -1
	s_delay_alu instid0(SALU_CYCLE_1) | instskip(SKIP_3) | instid1(VALU_DEP_2)
	s_cmp_lg_u32 s8, 0
	s_waitcnt vmcnt(0)
	v_div_scale_f32 v4, null, v2, v2, v3
	v_div_scale_f32 v7, vcc_lo, v3, v2, v3
	v_rcp_f32_e32 v5, v4
	s_waitcnt_depctr 0xfff
	v_fma_f32 v6, -v4, v5, 1.0
	s_delay_alu instid0(VALU_DEP_1) | instskip(NEXT) | instid1(VALU_DEP_1)
	v_fmac_f32_e32 v5, v6, v5
	v_mul_f32_e32 v6, v7, v5
	s_delay_alu instid0(VALU_DEP_1) | instskip(NEXT) | instid1(VALU_DEP_1)
	v_fma_f32 v8, -v4, v6, v7
	v_fmac_f32_e32 v6, v8, v5
	s_delay_alu instid0(VALU_DEP_1) | instskip(NEXT) | instid1(VALU_DEP_1)
	v_fma_f32 v4, -v4, v6, v7
	v_div_fmas_f32 v4, v4, v5, v6
	s_delay_alu instid0(VALU_DEP_1)
	v_div_fixup_f32 v3, v4, v2, v3
	global_store_b32 v[0:1], v3, off
	v_add_co_u32 v0, vcc_lo, v0, 4
	v_add_co_ci_u32_e32 v1, vcc_lo, 0, v1, vcc_lo
	s_cbranch_scc1 .LBB266_40
.LBB266_41:
	s_nop 0
	s_sendmsg sendmsg(MSG_DEALLOC_VGPRS)
	s_endpgm
	.section	.rodata,"a",@progbits
	.p2align	6, 0x0
	.amdhsa_kernel _ZN4vllm3moe10topkGatingILi8ELi256ELi4ELi16ELi32Ei6__halfLNS0_11ScoringFuncE1EEEvPKT5_PKbPfiPT4_PiiiibPKf
		.amdhsa_group_segment_fixed_size 0
		.amdhsa_private_segment_fixed_size 0
		.amdhsa_kernarg_size 72
		.amdhsa_user_sgpr_count 15
		.amdhsa_user_sgpr_dispatch_ptr 0
		.amdhsa_user_sgpr_queue_ptr 0
		.amdhsa_user_sgpr_kernarg_segment_ptr 1
		.amdhsa_user_sgpr_dispatch_id 0
		.amdhsa_user_sgpr_private_segment_size 0
		.amdhsa_wavefront_size32 1
		.amdhsa_uses_dynamic_stack 0
		.amdhsa_enable_private_segment 0
		.amdhsa_system_sgpr_workgroup_id_x 1
		.amdhsa_system_sgpr_workgroup_id_y 0
		.amdhsa_system_sgpr_workgroup_id_z 0
		.amdhsa_system_sgpr_workgroup_info 0
		.amdhsa_system_vgpr_workitem_id 1
		.amdhsa_next_free_vgpr 47
		.amdhsa_next_free_sgpr 20
		.amdhsa_reserve_vcc 1
		.amdhsa_float_round_mode_32 0
		.amdhsa_float_round_mode_16_64 0
		.amdhsa_float_denorm_mode_32 3
		.amdhsa_float_denorm_mode_16_64 3
		.amdhsa_dx10_clamp 1
		.amdhsa_ieee_mode 1
		.amdhsa_fp16_overflow 0
		.amdhsa_workgroup_processor_mode 1
		.amdhsa_memory_ordered 1
		.amdhsa_forward_progress 0
		.amdhsa_shared_vgpr_count 0
		.amdhsa_exception_fp_ieee_invalid_op 0
		.amdhsa_exception_fp_denorm_src 0
		.amdhsa_exception_fp_ieee_div_zero 0
		.amdhsa_exception_fp_ieee_overflow 0
		.amdhsa_exception_fp_ieee_underflow 0
		.amdhsa_exception_fp_ieee_inexact 0
		.amdhsa_exception_int_div_zero 0
	.end_amdhsa_kernel
	.section	.text._ZN4vllm3moe10topkGatingILi8ELi256ELi4ELi16ELi32Ei6__halfLNS0_11ScoringFuncE1EEEvPKT5_PKbPfiPT4_PiiiibPKf,"axG",@progbits,_ZN4vllm3moe10topkGatingILi8ELi256ELi4ELi16ELi32Ei6__halfLNS0_11ScoringFuncE1EEEvPKT5_PKbPfiPT4_PiiiibPKf,comdat
.Lfunc_end266:
	.size	_ZN4vllm3moe10topkGatingILi8ELi256ELi4ELi16ELi32Ei6__halfLNS0_11ScoringFuncE1EEEvPKT5_PKbPfiPT4_PiiiibPKf, .Lfunc_end266-_ZN4vllm3moe10topkGatingILi8ELi256ELi4ELi16ELi32Ei6__halfLNS0_11ScoringFuncE1EEEvPKT5_PKbPfiPT4_PiiiibPKf
                                        ; -- End function
	.section	.AMDGPU.csdata,"",@progbits
; Kernel info:
; codeLenInByte = 3248
; NumSgprs: 22
; NumVgprs: 47
; ScratchSize: 0
; MemoryBound: 0
; FloatMode: 240
; IeeeMode: 1
; LDSByteSize: 0 bytes/workgroup (compile time only)
; SGPRBlocks: 2
; VGPRBlocks: 5
; NumSGPRsForWavesPerEU: 22
; NumVGPRsForWavesPerEU: 47
; Occupancy: 16
; WaveLimiterHint : 0
; COMPUTE_PGM_RSRC2:SCRATCH_EN: 0
; COMPUTE_PGM_RSRC2:USER_SGPR: 15
; COMPUTE_PGM_RSRC2:TRAP_HANDLER: 0
; COMPUTE_PGM_RSRC2:TGID_X_EN: 1
; COMPUTE_PGM_RSRC2:TGID_Y_EN: 0
; COMPUTE_PGM_RSRC2:TGID_Z_EN: 0
; COMPUTE_PGM_RSRC2:TIDIG_COMP_CNT: 1
	.section	.text._ZN4vllm3moe10topkGatingILi8ELi512ELi4ELi16ELi64Ei6__halfLNS0_11ScoringFuncE1EEEvPKT5_PKbPfiPT4_PiiiibPKf,"axG",@progbits,_ZN4vllm3moe10topkGatingILi8ELi512ELi4ELi16ELi64Ei6__halfLNS0_11ScoringFuncE1EEEvPKT5_PKbPfiPT4_PiiiibPKf,comdat
	.protected	_ZN4vllm3moe10topkGatingILi8ELi512ELi4ELi16ELi64Ei6__halfLNS0_11ScoringFuncE1EEEvPKT5_PKbPfiPT4_PiiiibPKf ; -- Begin function _ZN4vllm3moe10topkGatingILi8ELi512ELi4ELi16ELi64Ei6__halfLNS0_11ScoringFuncE1EEEvPKT5_PKbPfiPT4_PiiiibPKf
	.globl	_ZN4vllm3moe10topkGatingILi8ELi512ELi4ELi16ELi64Ei6__halfLNS0_11ScoringFuncE1EEEvPKT5_PKbPfiPT4_PiiiibPKf
	.p2align	8
	.type	_ZN4vllm3moe10topkGatingILi8ELi512ELi4ELi16ELi64Ei6__halfLNS0_11ScoringFuncE1EEEvPKT5_PKbPfiPT4_PiiiibPKf,@function
_ZN4vllm3moe10topkGatingILi8ELi512ELi4ELi16ELi64Ei6__halfLNS0_11ScoringFuncE1EEEvPKT5_PKbPfiPT4_PiiiibPKf: ; @_ZN4vllm3moe10topkGatingILi8ELi512ELi4ELi16ELi64Ei6__halfLNS0_11ScoringFuncE1EEEvPKT5_PKbPfiPT4_PiiiibPKf
; %bb.0:
	s_load_b32 s18, s[0:1], 0x18
	v_and_b32_e32 v1, 0x3ff, v0
	v_bfe_u32 v0, v0, 10, 10
	s_lshl_b32 s2, s15, 2
	s_delay_alu instid0(VALU_DEP_2) | instskip(NEXT) | instid1(VALU_DEP_1)
	v_lshrrev_b32_e32 v2, 6, v1
	v_add3_u32 v16, s2, v0, v2
	s_mov_b32 s2, exec_lo
	s_waitcnt lgkmcnt(0)
	s_delay_alu instid0(VALU_DEP_1)
	v_cmpx_gt_i32_e64 s18, v16
	s_cbranch_execz .LBB267_45
; %bb.1:
	s_clause 0x1
	s_load_b128 s[4:7], s[0:1], 0x0
	s_load_b64 s[16:17], s[0:1], 0x10
	s_mov_b32 s9, -1
	s_mov_b32 s19, -1
	s_waitcnt lgkmcnt(0)
	s_cmp_eq_u64 s[6:7], 0
	s_cbranch_scc1 .LBB267_3
; %bb.2:
	v_ashrrev_i32_e32 v0, 31, v16
	v_add_co_u32 v2, vcc_lo, s6, v16
	s_delay_alu instid0(VALU_DEP_2) | instskip(SKIP_3) | instid1(VALU_DEP_1)
	v_add_co_ci_u32_e32 v3, vcc_lo, s7, v0, vcc_lo
	global_load_u8 v0, v[2:3], off
	s_waitcnt vmcnt(0)
	v_and_b32_e32 v0, 1, v0
	v_cmp_eq_u32_e32 vcc_lo, 1, v0
	s_xor_b32 s2, vcc_lo, -1
	s_delay_alu instid0(SALU_CYCLE_1)
	s_or_not1_b32 s19, s2, exec_lo
.LBB267_3:
	v_lshlrev_b32_e32 v2, 9, v16
	v_and_b32_e32 v17, 63, v1
	s_load_b64 s[10:11], s[0:1], 0x40
	s_delay_alu instid0(VALU_DEP_2) | instskip(NEXT) | instid1(VALU_DEP_1)
	v_ashrrev_i32_e32 v3, 31, v2
	v_lshlrev_b64 v[0:1], 1, v[2:3]
	s_delay_alu instid0(VALU_DEP_3) | instskip(NEXT) | instid1(VALU_DEP_2)
	v_lshlrev_b32_e32 v2, 4, v17
	v_add_co_u32 v0, vcc_lo, s4, v0
	s_delay_alu instid0(VALU_DEP_3) | instskip(NEXT) | instid1(VALU_DEP_2)
	v_add_co_ci_u32_e32 v1, vcc_lo, s5, v1, vcc_lo
	v_add_co_u32 v0, vcc_lo, v0, v2
	s_delay_alu instid0(VALU_DEP_2)
	v_add_co_ci_u32_e32 v1, vcc_lo, 0, v1, vcc_lo
	s_waitcnt lgkmcnt(0)
	s_cmp_eq_u64 s[10:11], 0
	global_load_b128 v[0:3], v[0:1], off
	s_waitcnt vmcnt(0)
	v_cvt_f32_f16_e32 v4, v0
	v_cvt_f32_f16_e32 v5, v1
	v_lshrrev_b32_e32 v1, 16, v1
	v_lshrrev_b32_e32 v0, 16, v0
	v_cvt_f32_f16_e32 v6, v2
	v_cvt_f32_f16_e32 v7, v3
	v_lshrrev_b32_e32 v3, 16, v3
	v_cvt_f32_f16_e32 v1, v1
	v_mul_f32_e32 v4, 0xbfb8aa3b, v4
	v_cvt_f32_f16_e32 v0, v0
	v_mul_f32_e32 v7, 0xbfb8aa3b, v7
	v_cvt_f32_f16_e32 v3, v3
	v_dual_mul_f32 v6, 0xbfb8aa3b, v6 :: v_dual_mul_f32 v1, 0xbfb8aa3b, v1
	v_exp_f32_e32 v4, v4
	s_delay_alu instid0(VALU_DEP_2) | instskip(NEXT) | instid1(VALU_DEP_2)
	v_dual_mul_f32 v0, 0xbfb8aa3b, v0 :: v_dual_mul_f32 v3, 0xbfb8aa3b, v3
	v_exp_f32_e32 v6, v6
	s_delay_alu instid0(VALU_DEP_2)
	v_exp_f32_e32 v1, v1
	v_lshrrev_b32_e32 v2, 16, v2
	v_mul_f32_e32 v5, 0xbfb8aa3b, v5
	v_exp_f32_e32 v3, v3
	v_exp_f32_e32 v7, v7
	;; [unrolled: 1-line block ×3, first 2 shown]
	v_add_f32_e32 v4, 1.0, v4
	v_cvt_f32_f16_e32 v2, v2
	v_exp_f32_e32 v5, v5
	v_dual_add_f32 v6, 1.0, v6 :: v_dual_add_f32 v1, 1.0, v1
	s_delay_alu instid0(VALU_DEP_3) | instskip(NEXT) | instid1(VALU_DEP_3)
	v_div_scale_f32 v8, null, v4, v4, 1.0
	v_dual_add_f32 v19, 1.0, v3 :: v_dual_mul_f32 v2, 0xbfb8aa3b, v2
	s_delay_alu instid0(VALU_DEP_3) | instskip(NEXT) | instid1(VALU_DEP_3)
	v_div_scale_f32 v12, null, v6, v6, 1.0
	v_rcp_f32_e32 v3, v8
	s_waitcnt_depctr 0xfff
	v_add_f32_e32 v5, 1.0, v5
	v_exp_f32_e32 v2, v2
	v_rcp_f32_e32 v25, v12
	v_dual_add_f32 v7, 1.0, v7 :: v_dual_lshlrev_b32 v18, 3, v17
	s_delay_alu instid0(VALU_DEP_2) | instskip(SKIP_3) | instid1(VALU_DEP_4)
	v_div_scale_f32 v10, null, v5, v5, 1.0
	v_div_scale_f32 v29, null, v19, v19, 1.0
	v_fma_f32 v34, -v8, v3, 1.0
	v_add_f32_e32 v0, 1.0, v0
	v_rcp_f32_e32 v22, v10
	s_delay_alu instid0(TRANS32_DEP_2) | instskip(NEXT) | instid1(TRANS32_DEP_3)
	v_fma_f32 v37, -v12, v25, 1.0
	v_add_f32_e32 v14, 1.0, v2
	v_div_scale_f32 v2, null, v7, v7, 1.0
	v_fmac_f32_e32 v3, v34, v3
	s_delay_alu instid0(VALU_DEP_4) | instskip(SKIP_3) | instid1(VALU_DEP_2)
	v_fmac_f32_e32 v25, v37, v25
	v_div_scale_f32 v20, null, v0, v0, 1.0
	v_div_scale_f32 v26, null, v14, v14, 1.0
	v_rcp_f32_e32 v28, v2
	v_rcp_f32_e32 v30, v20
	v_div_scale_f32 v23, null, v1, v1, 1.0
	s_delay_alu instid0(VALU_DEP_2) | instskip(SKIP_2) | instid1(VALU_DEP_2)
	v_rcp_f32_e32 v33, v26
	v_rcp_f32_e32 v35, v29
	v_div_scale_f32 v9, vcc_lo, 1.0, v4, 1.0
	v_rcp_f32_e32 v32, v23
	v_fma_f32 v36, -v10, v22, 1.0
	v_fma_f32 v38, -v2, v28, 1.0
	;; [unrolled: 1-line block ×3, first 2 shown]
	v_div_scale_f32 v11, s2, 1.0, v5, 1.0
	v_div_scale_f32 v15, s4, 1.0, v7, 1.0
	;; [unrolled: 1-line block ×3, first 2 shown]
	v_dual_fmac_f32 v22, v36, v22 :: v_dual_mul_f32 v39, v9, v3
	v_fma_f32 v37, -v26, v33, 1.0
	v_fmac_f32_e32 v28, v38, v28
	v_fma_f32 v38, -v29, v35, 1.0
	v_fmac_f32_e32 v30, v34, v30
	v_fma_f32 v36, -v23, v32, 1.0
	v_dual_mul_f32 v34, v11, v22 :: v_dual_fmac_f32 v33, v37, v33
	s_delay_alu instid0(VALU_DEP_4)
	v_fmac_f32_e32 v35, v38, v35
	v_mul_f32_e32 v37, v15, v28
	v_fma_f32 v38, -v8, v39, v9
	v_mul_f32_e32 v40, v21, v30
	v_fmac_f32_e32 v32, v36, v32
	v_div_scale_f32 v24, s6, 1.0, v1, 1.0
	s_delay_alu instid0(VALU_DEP_4) | instskip(NEXT) | instid1(VALU_DEP_4)
	v_fmac_f32_e32 v39, v38, v3
	v_fma_f32 v38, -v20, v40, v21
	v_div_scale_f32 v13, s3, 1.0, v6, 1.0
	v_fma_f32 v41, -v10, v34, v11
	s_delay_alu instid0(VALU_DEP_4) | instskip(NEXT) | instid1(VALU_DEP_4)
	v_fma_f32 v8, -v8, v39, v9
	v_fmac_f32_e32 v40, v38, v30
	v_mul_f32_e32 v42, v24, v32
	v_div_scale_f32 v27, s7, 1.0, v14, 1.0
	s_delay_alu instid0(VALU_DEP_4) | instskip(NEXT) | instid1(VALU_DEP_4)
	v_div_fmas_f32 v3, v8, v3, v39
	v_fma_f32 v8, -v20, v40, v21
	s_mov_b32 vcc_lo, s5
	v_fmac_f32_e32 v34, v41, v22
	v_fma_f32 v41, -v23, v42, v24
	v_div_fixup_f32 v3, v3, v4, 1.0
	v_div_fmas_f32 v4, v8, v30, v40
	v_fma_f32 v45, -v2, v37, v15
	v_mul_f32_e32 v44, v27, v33
	v_fmac_f32_e32 v42, v41, v32
	v_div_scale_f32 v31, s8, 1.0, v19, 1.0
	s_delay_alu instid0(VALU_DEP_4)
	v_fmac_f32_e32 v37, v45, v28
	v_div_fixup_f32 v4, v4, v0, 1.0
	v_mul_f32_e32 v36, v13, v25
	v_fma_f32 v9, -v10, v34, v11
	v_fma_f32 v11, -v23, v42, v24
	s_mov_b32 vcc_lo, s2
	v_mul_f32_e32 v46, v31, v35
	v_fma_f32 v43, -v12, v36, v13
	v_div_fmas_f32 v8, v9, v22, v34
	s_mov_b32 vcc_lo, s6
	v_fma_f32 v2, -v2, v37, v15
	v_div_fmas_f32 v9, v11, v32, v42
	v_fmac_f32_e32 v36, v43, v25
	v_fma_f32 v43, -v26, v44, v27
	v_cmp_class_f32_e64 vcc_lo, v3, 0x1f8
	v_fma_f32 v45, -v29, v46, v31
	v_div_fixup_f32 v5, v8, v5, 1.0
	v_fma_f32 v10, -v12, v36, v13
	v_fmac_f32_e32 v44, v43, v33
	v_cndmask_b32_e32 v0, 0, v3, vcc_lo
	s_mov_b32 vcc_lo, s3
	v_fmac_f32_e32 v46, v45, v35
	v_div_fmas_f32 v3, v10, v25, v36
	v_fma_f32 v12, -v26, v44, v27
	s_mov_b32 vcc_lo, s7
	v_div_fixup_f32 v9, v9, v1, 1.0
	v_fma_f32 v13, -v29, v46, v31
	s_delay_alu instid0(VALU_DEP_3) | instskip(SKIP_3) | instid1(VALU_DEP_2)
	v_div_fmas_f32 v8, v12, v33, v44
	s_mov_b32 vcc_lo, s4
	v_div_fmas_f32 v10, v2, v28, v37
	v_cmp_class_f32_e64 vcc_lo, v4, 0x1f8
	v_div_fixup_f32 v7, v10, v7, 1.0
	v_cndmask_b32_e32 v1, 0, v4, vcc_lo
	s_mov_b32 vcc_lo, s8
	v_div_fixup_f32 v4, v3, v6, 1.0
	v_div_fmas_f32 v6, v13, v35, v46
	v_cmp_class_f32_e64 vcc_lo, v5, 0x1f8
	v_cndmask_b32_e32 v2, 0, v5, vcc_lo
	v_cmp_class_f32_e64 vcc_lo, v9, 0x1f8
	v_div_fixup_f32 v5, v8, v14, 1.0
	v_div_fixup_f32 v8, v6, v19, 1.0
	v_cndmask_b32_e32 v3, 0, v9, vcc_lo
	v_cmp_class_f32_e64 vcc_lo, v4, 0x1f8
	v_cndmask_b32_e32 v4, 0, v4, vcc_lo
	v_cmp_class_f32_e64 vcc_lo, v5, 0x1f8
	;; [unrolled: 2-line block ×4, first 2 shown]
	v_cndmask_b32_e32 v7, 0, v8, vcc_lo
	s_cbranch_scc1 .LBB267_39
; %bb.4:
	v_lshlrev_b32_e32 v12, 2, v18
	s_clause 0x1
	global_load_b128 v[8:11], v12, s[10:11]
	global_load_b128 v[12:15], v12, s[10:11] offset:16
	s_waitcnt vmcnt(1)
	v_dual_add_f32 v9, v9, v1 :: v_dual_add_f32 v8, v8, v0
	v_dual_add_f32 v11, v11, v3 :: v_dual_add_f32 v10, v10, v2
	s_waitcnt vmcnt(0)
	v_dual_add_f32 v13, v13, v5 :: v_dual_add_f32 v12, v12, v4
	v_dual_add_f32 v15, v15, v7 :: v_dual_add_f32 v14, v14, v6
	s_cbranch_execnz .LBB267_6
.LBB267_5:
	v_dual_mov_b32 v15, v7 :: v_dual_mov_b32 v14, v6
	v_dual_mov_b32 v13, v5 :: v_dual_mov_b32 v12, v4
	;; [unrolled: 1-line block ×4, first 2 shown]
.LBB267_6:
	s_load_b128 s[8:11], s[0:1], 0x30
	v_cmp_eq_u32_e64 s2, 0, v17
	s_mov_b32 s6, 0
	s_waitcnt lgkmcnt(0)
	s_bitcmp1_b32 s11, 0
	s_cselect_b32 vcc_lo, -1, 0
	s_cmp_gt_i32 s8, 0
	s_cselect_b32 s5, -1, 0
	s_cmp_lt_i32 s8, 1
	s_cbranch_scc1 .LBB267_40
; %bb.7:
	v_mbcnt_lo_u32_b32 v20, -1, 0
	s_load_b128 s[12:15], s[0:1], 0x20
	v_mul_lo_u32 v19, v16, s8
	v_mov_b32_e32 v27, v16
	s_delay_alu instid0(VALU_DEP_3)
	v_or_b32_e32 v21, 32, v20
	v_xor_b32_e32 v22, 16, v20
	v_xor_b32_e32 v23, 8, v20
	;; [unrolled: 1-line block ×4, first 2 shown]
	v_cmp_gt_i32_e64 s0, 64, v21
	v_xor_b32_e32 v26, 1, v20
	s_delay_alu instid0(VALU_DEP_2) | instskip(SKIP_1) | instid1(VALU_DEP_2)
	v_cndmask_b32_e64 v21, v20, v21, s0
	v_cmp_gt_i32_e64 s0, 64, v22
	v_lshlrev_b32_e32 v21, 2, v21
	s_delay_alu instid0(VALU_DEP_2) | instskip(SKIP_1) | instid1(VALU_DEP_2)
	v_cndmask_b32_e64 v22, v20, v22, s0
	v_cmp_gt_i32_e64 s0, 64, v23
	v_lshlrev_b32_e32 v22, 2, v22
	;; [unrolled: 4-line block ×5, first 2 shown]
	s_delay_alu instid0(VALU_DEP_2) | instskip(NEXT) | instid1(VALU_DEP_1)
	v_cndmask_b32_e64 v20, v20, v26, s0
	v_lshlrev_b32_e32 v26, 2, v20
	v_mov_b32_e32 v20, 0
	s_branch .LBB267_10
.LBB267_8:                              ;   in Loop: Header=BB267_10 Depth=1
	s_or_b32 exec_lo, exec_lo, s1
.LBB267_9:                              ;   in Loop: Header=BB267_10 Depth=1
	v_add_nc_u32_e32 v27, s18, v27
	s_cmp_eq_u32 s8, s6
	s_cbranch_scc1 .LBB267_41
.LBB267_10:                             ; =>This Inner Loop Header: Depth=1
	v_cmp_gt_f32_e64 s0, v9, v8
	s_delay_alu instid0(VALU_DEP_1) | instskip(SKIP_2) | instid1(VALU_DEP_3)
	v_cndmask_b32_e64 v29, v8, v9, s0
	v_cndmask_b32_e64 v28, 0, 1, s0
	;; [unrolled: 1-line block ×3, first 2 shown]
	v_cmp_gt_f32_e64 s1, v10, v29
	s_delay_alu instid0(VALU_DEP_1) | instskip(NEXT) | instid1(VALU_DEP_4)
	v_cndmask_b32_e64 v29, v29, v10, s1
	v_cndmask_b32_e64 v28, v28, 2, s1
	s_delay_alu instid0(VALU_DEP_4) | instskip(NEXT) | instid1(VALU_DEP_3)
	v_cndmask_b32_e64 v30, v30, v2, s1
	v_cmp_gt_f32_e64 s3, v11, v29
	s_delay_alu instid0(VALU_DEP_1) | instskip(NEXT) | instid1(VALU_DEP_4)
	v_cndmask_b32_e64 v29, v29, v11, s3
	v_cndmask_b32_e64 v28, v28, 3, s3
	s_delay_alu instid0(VALU_DEP_4) | instskip(NEXT) | instid1(VALU_DEP_3)
	v_cndmask_b32_e64 v30, v30, v3, s3
	v_cmp_gt_f32_e64 s4, v12, v29
	s_delay_alu instid0(VALU_DEP_1) | instskip(NEXT) | instid1(VALU_DEP_4)
	v_cndmask_b32_e64 v29, v29, v12, s4
	v_cndmask_b32_e64 v28, v28, 4, s4
	s_delay_alu instid0(VALU_DEP_4) | instskip(SKIP_1) | instid1(VALU_DEP_3)
	v_cndmask_b32_e64 v30, v30, v4, s4
	s_mov_b32 s4, exec_lo
	v_cmp_gt_f32_e64 s0, v13, v29
	s_delay_alu instid0(VALU_DEP_1) | instskip(SKIP_2) | instid1(VALU_DEP_3)
	v_cndmask_b32_e64 v29, v29, v13, s0
	v_cndmask_b32_e64 v28, v28, 5, s0
	;; [unrolled: 1-line block ×3, first 2 shown]
	v_cmp_gt_f32_e64 s1, v14, v29
	s_delay_alu instid0(VALU_DEP_1) | instskip(NEXT) | instid1(VALU_DEP_4)
	v_cndmask_b32_e64 v29, v29, v14, s1
	v_cndmask_b32_e64 v28, v28, 6, s1
	s_waitcnt lgkmcnt(0)
	v_cndmask_b32_e64 v31, v30, v6, s1
	s_delay_alu instid0(VALU_DEP_3) | instskip(NEXT) | instid1(VALU_DEP_1)
	v_cmp_gt_f32_e64 s0, v15, v29
	v_cndmask_b32_e64 v28, v28, 7, s0
	v_cndmask_b32_e64 v30, v29, v15, s0
	s_delay_alu instid0(VALU_DEP_4) | instskip(NEXT) | instid1(VALU_DEP_3)
	v_cndmask_b32_e64 v29, v31, v7, s0
	v_or_b32_e32 v28, v18, v28
	ds_bpermute_b32 v31, v21, v30
	ds_bpermute_b32 v33, v21, v29
	;; [unrolled: 1-line block ×3, first 2 shown]
	s_waitcnt lgkmcnt(0)
	v_cmp_lt_f32_e64 s3, v30, v31
	v_cmpx_nlt_f32_e32 v30, v31
; %bb.11:                               ;   in Loop: Header=BB267_10 Depth=1
	v_cmp_eq_f32_e64 s0, v30, v31
	v_cmp_lt_i32_e64 s1, v32, v28
	s_delay_alu instid0(VALU_DEP_1) | instskip(SKIP_2) | instid1(SALU_CYCLE_1)
	s_and_b32 s0, s0, s1
	s_and_not1_b32 s1, s3, exec_lo
	s_and_b32 s0, s0, exec_lo
	s_or_b32 s3, s1, s0
; %bb.12:                               ;   in Loop: Header=BB267_10 Depth=1
	s_or_b32 exec_lo, exec_lo, s4
	s_and_saveexec_b32 s0, s3
; %bb.13:                               ;   in Loop: Header=BB267_10 Depth=1
	v_dual_mov_b32 v29, v33 :: v_dual_mov_b32 v30, v31
	v_mov_b32_e32 v28, v32
; %bb.14:                               ;   in Loop: Header=BB267_10 Depth=1
	s_or_b32 exec_lo, exec_lo, s0
	ds_bpermute_b32 v31, v22, v30
	ds_bpermute_b32 v33, v22, v29
	ds_bpermute_b32 v32, v22, v28
	s_mov_b32 s4, exec_lo
	s_waitcnt lgkmcnt(2)
	v_cmp_lt_f32_e64 s3, v30, v31
	v_cmpx_nlt_f32_e32 v30, v31
	s_cbranch_execz .LBB267_16
; %bb.15:                               ;   in Loop: Header=BB267_10 Depth=1
	v_cmp_eq_f32_e64 s0, v30, v31
	s_waitcnt lgkmcnt(0)
	v_cmp_lt_i32_e64 s1, v32, v28
	s_delay_alu instid0(VALU_DEP_1) | instskip(SKIP_2) | instid1(SALU_CYCLE_1)
	s_and_b32 s0, s0, s1
	s_and_not1_b32 s1, s3, exec_lo
	s_and_b32 s0, s0, exec_lo
	s_or_b32 s3, s1, s0
.LBB267_16:                             ;   in Loop: Header=BB267_10 Depth=1
	s_or_b32 exec_lo, exec_lo, s4
	s_delay_alu instid0(VALU_DEP_2)
	s_and_saveexec_b32 s0, s3
	s_cbranch_execz .LBB267_18
; %bb.17:                               ;   in Loop: Header=BB267_10 Depth=1
	s_waitcnt lgkmcnt(1)
	v_dual_mov_b32 v29, v33 :: v_dual_mov_b32 v30, v31
	s_waitcnt lgkmcnt(0)
	v_mov_b32_e32 v28, v32
.LBB267_18:                             ;   in Loop: Header=BB267_10 Depth=1
	s_or_b32 exec_lo, exec_lo, s0
	ds_bpermute_b32 v31, v23, v30
	s_waitcnt lgkmcnt(2)
	ds_bpermute_b32 v33, v23, v29
	s_waitcnt lgkmcnt(2)
	ds_bpermute_b32 v32, v23, v28
	s_mov_b32 s4, exec_lo
	s_waitcnt lgkmcnt(2)
	v_cmp_lt_f32_e64 s3, v30, v31
	v_cmpx_nlt_f32_e32 v30, v31
	s_cbranch_execz .LBB267_20
; %bb.19:                               ;   in Loop: Header=BB267_10 Depth=1
	v_cmp_eq_f32_e64 s0, v30, v31
	s_waitcnt lgkmcnt(0)
	v_cmp_lt_i32_e64 s1, v32, v28
	s_delay_alu instid0(VALU_DEP_1) | instskip(SKIP_2) | instid1(SALU_CYCLE_1)
	s_and_b32 s0, s0, s1
	s_and_not1_b32 s1, s3, exec_lo
	s_and_b32 s0, s0, exec_lo
	s_or_b32 s3, s1, s0
.LBB267_20:                             ;   in Loop: Header=BB267_10 Depth=1
	s_or_b32 exec_lo, exec_lo, s4
	s_delay_alu instid0(VALU_DEP_2)
	s_and_saveexec_b32 s0, s3
	s_cbranch_execz .LBB267_22
; %bb.21:                               ;   in Loop: Header=BB267_10 Depth=1
	s_waitcnt lgkmcnt(1)
	v_dual_mov_b32 v29, v33 :: v_dual_mov_b32 v30, v31
	s_waitcnt lgkmcnt(0)
	v_mov_b32_e32 v28, v32
.LBB267_22:                             ;   in Loop: Header=BB267_10 Depth=1
	s_or_b32 exec_lo, exec_lo, s0
	ds_bpermute_b32 v31, v24, v30
	s_waitcnt lgkmcnt(2)
	ds_bpermute_b32 v33, v24, v29
	s_waitcnt lgkmcnt(2)
	ds_bpermute_b32 v32, v24, v28
	;; [unrolled: 31-line block ×3, first 2 shown]
	s_mov_b32 s4, exec_lo
	s_waitcnt lgkmcnt(2)
	v_cmp_lt_f32_e64 s3, v30, v31
	v_cmpx_nlt_f32_e32 v30, v31
	s_cbranch_execz .LBB267_28
; %bb.27:                               ;   in Loop: Header=BB267_10 Depth=1
	v_cmp_eq_f32_e64 s0, v30, v31
	s_waitcnt lgkmcnt(0)
	v_cmp_lt_i32_e64 s1, v32, v28
	s_delay_alu instid0(VALU_DEP_1) | instskip(SKIP_2) | instid1(SALU_CYCLE_1)
	s_and_b32 s0, s0, s1
	s_and_not1_b32 s1, s3, exec_lo
	s_and_b32 s0, s0, exec_lo
	s_or_b32 s3, s1, s0
.LBB267_28:                             ;   in Loop: Header=BB267_10 Depth=1
	s_or_b32 exec_lo, exec_lo, s4
	s_delay_alu instid0(VALU_DEP_2)
	s_and_saveexec_b32 s0, s3
	s_cbranch_execz .LBB267_30
; %bb.29:                               ;   in Loop: Header=BB267_10 Depth=1
	s_waitcnt lgkmcnt(1)
	v_dual_mov_b32 v29, v33 :: v_dual_mov_b32 v30, v31
	s_waitcnt lgkmcnt(0)
	v_mov_b32_e32 v28, v32
.LBB267_30:                             ;   in Loop: Header=BB267_10 Depth=1
	s_or_b32 exec_lo, exec_lo, s0
	s_waitcnt lgkmcnt(1)
	ds_bpermute_b32 v33, v26, v30
	ds_bpermute_b32 v31, v26, v29
	s_waitcnt lgkmcnt(2)
	ds_bpermute_b32 v32, v26, v28
	s_mov_b32 s4, exec_lo
	s_waitcnt lgkmcnt(2)
	v_cmp_lt_f32_e64 s3, v30, v33
	v_cmpx_nlt_f32_e32 v30, v33
	s_cbranch_execnz .LBB267_34
; %bb.31:                               ;   in Loop: Header=BB267_10 Depth=1
	s_or_b32 exec_lo, exec_lo, s4
	s_delay_alu instid0(VALU_DEP_2)
	s_and_saveexec_b32 s0, s3
	s_cbranch_execnz .LBB267_35
.LBB267_32:                             ;   in Loop: Header=BB267_10 Depth=1
	s_or_b32 exec_lo, exec_lo, s0
	s_and_saveexec_b32 s3, s2
	s_cbranch_execnz .LBB267_36
.LBB267_33:                             ;   in Loop: Header=BB267_10 Depth=1
	s_or_b32 exec_lo, exec_lo, s3
	s_add_i32 s6, s6, 1
	s_delay_alu instid0(SALU_CYCLE_1)
	s_cmp_ge_i32 s6, s8
	s_cbranch_scc1 .LBB267_9
	s_branch .LBB267_37
.LBB267_34:                             ;   in Loop: Header=BB267_10 Depth=1
	v_cmp_eq_f32_e64 s0, v30, v33
	s_waitcnt lgkmcnt(0)
	v_cmp_lt_i32_e64 s1, v32, v28
	s_delay_alu instid0(VALU_DEP_1) | instskip(SKIP_2) | instid1(SALU_CYCLE_1)
	s_and_b32 s0, s0, s1
	s_and_not1_b32 s1, s3, exec_lo
	s_and_b32 s0, s0, exec_lo
	s_or_b32 s3, s1, s0
	s_or_b32 exec_lo, exec_lo, s4
	s_and_saveexec_b32 s0, s3
	s_cbranch_execz .LBB267_32
.LBB267_35:                             ;   in Loop: Header=BB267_10 Depth=1
	s_waitcnt lgkmcnt(0)
	v_dual_mov_b32 v28, v32 :: v_dual_mov_b32 v29, v31
	s_or_b32 exec_lo, exec_lo, s0
	s_and_saveexec_b32 s3, s2
	s_cbranch_execz .LBB267_33
.LBB267_36:                             ;   in Loop: Header=BB267_10 Depth=1
	s_delay_alu instid0(VALU_DEP_1)
	v_dual_add_f32 v37, v20, v29 :: v_dual_add_nc_u32 v30, s6, v19
	v_cmp_le_i32_e64 s0, s9, v28
	v_cmp_gt_i32_e64 s1, s10, v28
	s_waitcnt lgkmcnt(0)
	v_subrev_nc_u32_e32 v32, s9, v28
	v_ashrrev_i32_e32 v31, 31, v30
	v_cndmask_b32_e32 v20, v20, v37, vcc_lo
	s_and_b32 s0, s0, s1
	s_delay_alu instid0(SALU_CYCLE_1) | instskip(NEXT) | instid1(VALU_DEP_2)
	s_and_b32 s0, s19, s0
	v_lshlrev_b64 v[30:31], 2, v[30:31]
	v_cndmask_b32_e64 v36, 0x200, v32, s0
	s_delay_alu instid0(VALU_DEP_2) | instskip(NEXT) | instid1(VALU_DEP_1)
	v_add_co_u32 v32, s0, s16, v30
	v_add_co_ci_u32_e64 v33, s0, s17, v31, s0
	v_add_co_u32 v34, s0, s12, v30
	s_delay_alu instid0(VALU_DEP_1) | instskip(SKIP_1) | instid1(VALU_DEP_1)
	v_add_co_ci_u32_e64 v35, s0, s13, v31, s0
	v_add_co_u32 v30, s0, s14, v30
	v_add_co_ci_u32_e64 v31, s0, s15, v31, s0
	global_store_b32 v[32:33], v29, off
	global_store_b32 v[34:35], v36, off
	;; [unrolled: 1-line block ×3, first 2 shown]
	s_or_b32 exec_lo, exec_lo, s3
	s_add_i32 s6, s6, 1
	s_delay_alu instid0(SALU_CYCLE_1)
	s_cmp_ge_i32 s6, s8
	s_cbranch_scc1 .LBB267_9
.LBB267_37:                             ;   in Loop: Header=BB267_10 Depth=1
	v_ashrrev_i32_e32 v29, 31, v28
	s_mov_b32 s1, exec_lo
	s_delay_alu instid0(VALU_DEP_1) | instskip(NEXT) | instid1(VALU_DEP_1)
	v_lshrrev_b32_e32 v30, 29, v29
	v_add_nc_u32_e32 v30, v28, v30
	s_waitcnt lgkmcnt(1)
	s_delay_alu instid0(VALU_DEP_1) | instskip(SKIP_1) | instid1(VALU_DEP_2)
	v_ashrrev_i32_e32 v31, 31, v30
	v_ashrrev_i32_e32 v30, 3, v30
	v_lshrrev_b32_e32 v31, 26, v31
	s_delay_alu instid0(VALU_DEP_1) | instskip(NEXT) | instid1(VALU_DEP_1)
	v_add_nc_u32_e32 v31, v30, v31
	v_and_b32_e32 v31, 0xffffffc0, v31
	s_delay_alu instid0(VALU_DEP_1) | instskip(NEXT) | instid1(VALU_DEP_1)
	v_sub_nc_u32_e32 v31, v30, v31
	v_cmpx_eq_u32_e64 v17, v31
	s_cbranch_execz .LBB267_8
; %bb.38:                               ;   in Loop: Header=BB267_10 Depth=1
	v_lshrrev_b32_e32 v29, 23, v29
	v_lshlrev_b32_e32 v30, 3, v30
	s_delay_alu instid0(VALU_DEP_2) | instskip(NEXT) | instid1(VALU_DEP_2)
	v_add_nc_u32_e32 v29, v28, v29
	v_sub_nc_u32_e32 v28, v28, v30
	s_delay_alu instid0(VALU_DEP_2) | instskip(NEXT) | instid1(VALU_DEP_1)
	v_ashrrev_i32_e32 v29, 9, v29
	v_lshl_add_u32 v28, v29, 3, v28
	s_delay_alu instid0(VALU_DEP_1) | instskip(NEXT) | instid1(VALU_DEP_1)
	v_cmp_ne_u32_e64 s0, 7, v28
	v_cndmask_b32_e64 v15, 0xc61c4000, v15, s0
	v_cmp_ne_u32_e64 s0, 6, v28
	s_delay_alu instid0(VALU_DEP_1) | instskip(SKIP_1) | instid1(VALU_DEP_1)
	v_cndmask_b32_e64 v14, 0xc61c4000, v14, s0
	v_cmp_ne_u32_e64 s0, 5, v28
	v_cndmask_b32_e64 v13, 0xc61c4000, v13, s0
	v_cmp_ne_u32_e64 s0, 4, v28
	s_delay_alu instid0(VALU_DEP_1) | instskip(SKIP_1) | instid1(VALU_DEP_1)
	v_cndmask_b32_e64 v12, 0xc61c4000, v12, s0
	;; [unrolled: 5-line block ×3, first 2 shown]
	v_cmp_ne_u32_e64 s0, 1, v28
	v_cndmask_b32_e64 v9, 0xc61c4000, v9, s0
	v_cmp_ne_u32_e64 s0, 0, v28
	s_delay_alu instid0(VALU_DEP_1)
	v_cndmask_b32_e64 v8, 0xc61c4000, v8, s0
	s_branch .LBB267_8
.LBB267_39:
                                        ; implicit-def: $vgpr8_vgpr9_vgpr10_vgpr11_vgpr12_vgpr13_vgpr14_vgpr15
	s_and_not1_b32 vcc_lo, exec_lo, s9
	s_cbranch_vccz .LBB267_5
	s_branch .LBB267_6
.LBB267_40:
	v_mov_b32_e32 v20, 0
.LBB267_41:
	v_cmp_eq_u32_e64 s0, 0, v17
	s_delay_alu instid0(VALU_DEP_1) | instskip(NEXT) | instid1(SALU_CYCLE_1)
	s_and_b32 s0, s0, vcc_lo
	s_and_b32 exec_lo, exec_lo, s0
	s_cbranch_execz .LBB267_45
; %bb.42:
	s_and_not1_b32 vcc_lo, exec_lo, s5
	s_cbranch_vccnz .LBB267_45
; %bb.43:
	v_mul_lo_u32 v0, v16, s8
	v_cmp_lt_f32_e32 vcc_lo, 0, v20
	v_cndmask_b32_e32 v2, 1.0, v20, vcc_lo
	s_delay_alu instid0(VALU_DEP_3) | instskip(NEXT) | instid1(VALU_DEP_1)
	v_ashrrev_i32_e32 v1, 31, v0
	v_lshlrev_b64 v[0:1], 2, v[0:1]
	s_delay_alu instid0(VALU_DEP_1) | instskip(NEXT) | instid1(VALU_DEP_2)
	v_add_co_u32 v0, vcc_lo, s16, v0
	v_add_co_ci_u32_e32 v1, vcc_lo, s17, v1, vcc_lo
	.p2align	6
.LBB267_44:                             ; =>This Inner Loop Header: Depth=1
	global_load_b32 v3, v[0:1], off
	s_add_i32 s8, s8, -1
	s_delay_alu instid0(SALU_CYCLE_1) | instskip(SKIP_3) | instid1(VALU_DEP_2)
	s_cmp_lg_u32 s8, 0
	s_waitcnt vmcnt(0)
	v_div_scale_f32 v4, null, v2, v2, v3
	v_div_scale_f32 v7, vcc_lo, v3, v2, v3
	v_rcp_f32_e32 v5, v4
	s_waitcnt_depctr 0xfff
	v_fma_f32 v6, -v4, v5, 1.0
	s_delay_alu instid0(VALU_DEP_1) | instskip(NEXT) | instid1(VALU_DEP_1)
	v_fmac_f32_e32 v5, v6, v5
	v_mul_f32_e32 v6, v7, v5
	s_delay_alu instid0(VALU_DEP_1) | instskip(NEXT) | instid1(VALU_DEP_1)
	v_fma_f32 v8, -v4, v6, v7
	v_fmac_f32_e32 v6, v8, v5
	s_delay_alu instid0(VALU_DEP_1) | instskip(NEXT) | instid1(VALU_DEP_1)
	v_fma_f32 v4, -v4, v6, v7
	v_div_fmas_f32 v4, v4, v5, v6
	s_delay_alu instid0(VALU_DEP_1)
	v_div_fixup_f32 v3, v4, v2, v3
	global_store_b32 v[0:1], v3, off
	v_add_co_u32 v0, vcc_lo, v0, 4
	v_add_co_ci_u32_e32 v1, vcc_lo, 0, v1, vcc_lo
	s_cbranch_scc1 .LBB267_44
.LBB267_45:
	s_nop 0
	s_sendmsg sendmsg(MSG_DEALLOC_VGPRS)
	s_endpgm
	.section	.rodata,"a",@progbits
	.p2align	6, 0x0
	.amdhsa_kernel _ZN4vllm3moe10topkGatingILi8ELi512ELi4ELi16ELi64Ei6__halfLNS0_11ScoringFuncE1EEEvPKT5_PKbPfiPT4_PiiiibPKf
		.amdhsa_group_segment_fixed_size 0
		.amdhsa_private_segment_fixed_size 0
		.amdhsa_kernarg_size 72
		.amdhsa_user_sgpr_count 15
		.amdhsa_user_sgpr_dispatch_ptr 0
		.amdhsa_user_sgpr_queue_ptr 0
		.amdhsa_user_sgpr_kernarg_segment_ptr 1
		.amdhsa_user_sgpr_dispatch_id 0
		.amdhsa_user_sgpr_private_segment_size 0
		.amdhsa_wavefront_size32 1
		.amdhsa_uses_dynamic_stack 0
		.amdhsa_enable_private_segment 0
		.amdhsa_system_sgpr_workgroup_id_x 1
		.amdhsa_system_sgpr_workgroup_id_y 0
		.amdhsa_system_sgpr_workgroup_id_z 0
		.amdhsa_system_sgpr_workgroup_info 0
		.amdhsa_system_vgpr_workitem_id 1
		.amdhsa_next_free_vgpr 47
		.amdhsa_next_free_sgpr 20
		.amdhsa_reserve_vcc 1
		.amdhsa_float_round_mode_32 0
		.amdhsa_float_round_mode_16_64 0
		.amdhsa_float_denorm_mode_32 3
		.amdhsa_float_denorm_mode_16_64 3
		.amdhsa_dx10_clamp 1
		.amdhsa_ieee_mode 1
		.amdhsa_fp16_overflow 0
		.amdhsa_workgroup_processor_mode 1
		.amdhsa_memory_ordered 1
		.amdhsa_forward_progress 0
		.amdhsa_shared_vgpr_count 0
		.amdhsa_exception_fp_ieee_invalid_op 0
		.amdhsa_exception_fp_denorm_src 0
		.amdhsa_exception_fp_ieee_div_zero 0
		.amdhsa_exception_fp_ieee_overflow 0
		.amdhsa_exception_fp_ieee_underflow 0
		.amdhsa_exception_fp_ieee_inexact 0
		.amdhsa_exception_int_div_zero 0
	.end_amdhsa_kernel
	.section	.text._ZN4vllm3moe10topkGatingILi8ELi512ELi4ELi16ELi64Ei6__halfLNS0_11ScoringFuncE1EEEvPKT5_PKbPfiPT4_PiiiibPKf,"axG",@progbits,_ZN4vllm3moe10topkGatingILi8ELi512ELi4ELi16ELi64Ei6__halfLNS0_11ScoringFuncE1EEEvPKT5_PKbPfiPT4_PiiiibPKf,comdat
.Lfunc_end267:
	.size	_ZN4vllm3moe10topkGatingILi8ELi512ELi4ELi16ELi64Ei6__halfLNS0_11ScoringFuncE1EEEvPKT5_PKbPfiPT4_PiiiibPKf, .Lfunc_end267-_ZN4vllm3moe10topkGatingILi8ELi512ELi4ELi16ELi64Ei6__halfLNS0_11ScoringFuncE1EEEvPKT5_PKbPfiPT4_PiiiibPKf
                                        ; -- End function
	.section	.AMDGPU.csdata,"",@progbits
; Kernel info:
; codeLenInByte = 3412
; NumSgprs: 22
; NumVgprs: 47
; ScratchSize: 0
; MemoryBound: 0
; FloatMode: 240
; IeeeMode: 1
; LDSByteSize: 0 bytes/workgroup (compile time only)
; SGPRBlocks: 2
; VGPRBlocks: 5
; NumSGPRsForWavesPerEU: 22
; NumVGPRsForWavesPerEU: 47
; Occupancy: 16
; WaveLimiterHint : 0
; COMPUTE_PGM_RSRC2:SCRATCH_EN: 0
; COMPUTE_PGM_RSRC2:USER_SGPR: 15
; COMPUTE_PGM_RSRC2:TRAP_HANDLER: 0
; COMPUTE_PGM_RSRC2:TGID_X_EN: 1
; COMPUTE_PGM_RSRC2:TGID_Y_EN: 0
; COMPUTE_PGM_RSRC2:TGID_Z_EN: 0
; COMPUTE_PGM_RSRC2:TIDIG_COMP_CNT: 1
	.section	.text._ZN4vllm3moe10topkGatingILi16ELi512ELi4ELi16ELi32Ei6__halfLNS0_11ScoringFuncE1EEEvPKT5_PKbPfiPT4_PiiiibPKf,"axG",@progbits,_ZN4vllm3moe10topkGatingILi16ELi512ELi4ELi16ELi32Ei6__halfLNS0_11ScoringFuncE1EEEvPKT5_PKbPfiPT4_PiiiibPKf,comdat
	.protected	_ZN4vllm3moe10topkGatingILi16ELi512ELi4ELi16ELi32Ei6__halfLNS0_11ScoringFuncE1EEEvPKT5_PKbPfiPT4_PiiiibPKf ; -- Begin function _ZN4vllm3moe10topkGatingILi16ELi512ELi4ELi16ELi32Ei6__halfLNS0_11ScoringFuncE1EEEvPKT5_PKbPfiPT4_PiiiibPKf
	.globl	_ZN4vllm3moe10topkGatingILi16ELi512ELi4ELi16ELi32Ei6__halfLNS0_11ScoringFuncE1EEEvPKT5_PKbPfiPT4_PiiiibPKf
	.p2align	8
	.type	_ZN4vllm3moe10topkGatingILi16ELi512ELi4ELi16ELi32Ei6__halfLNS0_11ScoringFuncE1EEEvPKT5_PKbPfiPT4_PiiiibPKf,@function
_ZN4vllm3moe10topkGatingILi16ELi512ELi4ELi16ELi32Ei6__halfLNS0_11ScoringFuncE1EEEvPKT5_PKbPfiPT4_PiiiibPKf: ; @_ZN4vllm3moe10topkGatingILi16ELi512ELi4ELi16ELi32Ei6__halfLNS0_11ScoringFuncE1EEEvPKT5_PKbPfiPT4_PiiiibPKf
; %bb.0:
	s_load_b32 s22, s[0:1], 0x18
	v_and_b32_e32 v1, 0x3ff, v0
	v_bfe_u32 v0, v0, 10, 10
	s_lshl_b32 s2, s15, 2
	s_delay_alu instid0(VALU_DEP_2) | instskip(NEXT) | instid1(VALU_DEP_1)
	v_lshrrev_b32_e32 v2, 5, v1
	v_add3_u32 v32, s2, v0, v2
	s_mov_b32 s2, exec_lo
	s_waitcnt lgkmcnt(0)
	s_delay_alu instid0(VALU_DEP_1)
	v_cmpx_gt_i32_e64 s22, v32
	s_cbranch_execz .LBB268_41
; %bb.1:
	s_clause 0x1
	s_load_b128 s[4:7], s[0:1], 0x0
	s_load_b64 s[20:21], s[0:1], 0x10
	s_mov_b32 s17, -1
	s_mov_b32 s23, -1
	s_waitcnt lgkmcnt(0)
	s_cmp_eq_u64 s[6:7], 0
	s_cbranch_scc1 .LBB268_3
; %bb.2:
	v_ashrrev_i32_e32 v0, 31, v32
	v_add_co_u32 v2, vcc_lo, s6, v32
	s_delay_alu instid0(VALU_DEP_2) | instskip(SKIP_3) | instid1(VALU_DEP_1)
	v_add_co_ci_u32_e32 v3, vcc_lo, s7, v0, vcc_lo
	global_load_u8 v0, v[2:3], off
	s_waitcnt vmcnt(0)
	v_and_b32_e32 v0, 1, v0
	v_cmp_eq_u32_e32 vcc_lo, 1, v0
	s_xor_b32 s2, vcc_lo, -1
	s_delay_alu instid0(SALU_CYCLE_1)
	s_or_not1_b32 s23, s2, exec_lo
.LBB268_3:
	v_lshlrev_b32_e32 v2, 9, v32
	v_and_b32_e32 v33, 31, v1
	s_load_b64 s[18:19], s[0:1], 0x40
	s_delay_alu instid0(VALU_DEP_2) | instskip(NEXT) | instid1(VALU_DEP_1)
	v_ashrrev_i32_e32 v3, 31, v2
	v_lshlrev_b64 v[0:1], 1, v[2:3]
	s_delay_alu instid0(VALU_DEP_3) | instskip(NEXT) | instid1(VALU_DEP_2)
	v_lshlrev_b32_e32 v2, 4, v33
	v_add_co_u32 v0, vcc_lo, s4, v0
	s_delay_alu instid0(VALU_DEP_3) | instskip(NEXT) | instid1(VALU_DEP_2)
	v_add_co_ci_u32_e32 v1, vcc_lo, s5, v1, vcc_lo
	v_add_co_u32 v4, vcc_lo, v0, v2
	s_delay_alu instid0(VALU_DEP_2)
	v_add_co_ci_u32_e32 v5, vcc_lo, 0, v1, vcc_lo
	s_waitcnt lgkmcnt(0)
	s_cmp_eq_u64 s[18:19], 0
	s_clause 0x1
	global_load_b128 v[0:3], v[4:5], off
	global_load_b128 v[4:7], v[4:5], off offset:512
	s_waitcnt vmcnt(1)
	v_cvt_f32_f16_e32 v8, v0
	v_cvt_f32_f16_e32 v10, v2
	v_lshrrev_b32_e32 v2, 16, v2
	s_waitcnt vmcnt(0)
	v_cvt_f32_f16_e32 v13, v5
	v_cvt_f32_f16_e32 v15, v7
	v_lshrrev_b32_e32 v7, 16, v7
	v_mul_f32_e32 v8, 0xbfb8aa3b, v8
	v_cvt_f32_f16_e32 v11, v3
	v_lshrrev_b32_e32 v3, 16, v3
	v_cvt_f32_f16_e32 v14, v6
	v_cvt_f32_f16_e32 v2, v2
	;; [unrolled: 1-line block ×3, first 2 shown]
	v_dual_mul_f32 v11, 0xbfb8aa3b, v11 :: v_dual_mul_f32 v10, 0xbfb8aa3b, v10
	v_mul_f32_e32 v13, 0xbfb8aa3b, v13
	v_exp_f32_e32 v8, v8
	v_cvt_f32_f16_e32 v3, v3
	v_mul_f32_e32 v14, 0xbfb8aa3b, v14
	v_dual_mul_f32 v2, 0xbfb8aa3b, v2 :: v_dual_mul_f32 v7, 0xbfb8aa3b, v7
	v_exp_f32_e32 v13, v13
	v_lshrrev_b32_e32 v0, 16, v0
	v_lshrrev_b32_e32 v5, 16, v5
	v_mul_f32_e32 v3, 0xbfb8aa3b, v3
	v_exp_f32_e32 v14, v14
	v_exp_f32_e32 v7, v7
	v_add_f32_e32 v8, 1.0, v8
	v_cvt_f32_f16_e32 v0, v0
	v_cvt_f32_f16_e32 v5, v5
	v_dual_mul_f32 v15, 0xbfb8aa3b, v15 :: v_dual_lshlrev_b32 v34, 3, v33
	v_add_f32_e32 v13, 1.0, v13
	v_div_scale_f32 v16, null, v8, v8, 1.0
	s_delay_alu instid0(VALU_DEP_4) | instskip(NEXT) | instid1(TRANS32_DEP_1)
	v_dual_mul_f32 v0, 0xbfb8aa3b, v0 :: v_dual_mul_f32 v5, 0xbfb8aa3b, v5
	v_dual_add_f32 v14, 1.0, v14 :: v_dual_add_f32 v35, 1.0, v7
	s_delay_alu instid0(VALU_DEP_3)
	v_rcp_f32_e32 v7, v16
	v_cvt_f32_f16_e32 v9, v1
	v_lshrrev_b32_e32 v1, 16, v1
	v_cvt_f32_f16_e32 v12, v4
	v_exp_f32_e32 v10, v10
	v_exp_f32_e32 v0, v0
	;; [unrolled: 1-line block ×3, first 2 shown]
	v_cvt_f32_f16_e32 v1, v1
	v_mul_f32_e32 v12, 0xbfb8aa3b, v12
	v_exp_f32_e32 v15, v15
	v_fma_f32 v67, -v16, v7, 1.0
	v_div_scale_f32 v17, vcc_lo, 1.0, v8, 1.0
	v_mul_f32_e32 v1, 0xbfb8aa3b, v1
	v_exp_f32_e32 v12, v12
	v_add_f32_e32 v10, 1.0, v10
	v_dual_add_f32 v0, 1.0, v0 :: v_dual_fmac_f32 v7, v67, v7
	v_add_f32_e32 v28, 1.0, v5
	v_div_scale_f32 v5, null, v14, v14, 1.0
	v_lshrrev_b32_e32 v4, 16, v4
	s_delay_alu instid0(VALU_DEP_4)
	v_mul_f32_e32 v75, v17, v7
	v_lshrrev_b32_e32 v6, 16, v6
	v_mul_f32_e32 v9, 0xbfb8aa3b, v9
	v_exp_f32_e32 v1, v1
	v_exp_f32_e32 v3, v3
	v_add_f32_e32 v15, 1.0, v15
	v_div_scale_f32 v20, null, v10, v10, 1.0
	v_rcp_f32_e32 v53, v5
	v_cvt_f32_f16_e32 v4, v4
	v_cvt_f32_f16_e32 v6, v6
	v_exp_f32_e32 v9, v9
	v_exp_f32_e32 v11, v11
	;; [unrolled: 1-line block ×3, first 2 shown]
	v_dual_add_f32 v12, 1.0, v12 :: v_dual_add_f32 v1, 1.0, v1
	v_rcp_f32_e32 v41, v20
	v_mul_f32_e32 v4, 0xbfb8aa3b, v4
	v_mul_f32_e32 v6, 0xbfb8aa3b, v6
	v_div_scale_f32 v36, null, v0, v0, 1.0
	v_fma_f32 v73, -v5, v53, 1.0
	s_delay_alu instid0(TRANS32_DEP_3) | instskip(SKIP_2) | instid1(VALU_DEP_4)
	v_add_f32_e32 v11, 1.0, v11
	v_add_f32_e32 v24, 1.0, v3
	v_div_scale_f32 v3, null, v12, v12, 1.0
	v_fmac_f32_e32 v53, v73, v53
	v_exp_f32_e32 v6, v6
	v_add_f32_e32 v9, 1.0, v9
	v_exp_f32_e32 v4, v4
	v_rcp_f32_e32 v47, v3
	v_rcp_f32_e32 v59, v36
	v_fma_f32 v69, -v20, v41, 1.0
	v_add_f32_e32 v22, 1.0, v2
	v_div_scale_f32 v18, null, v9, v9, 1.0
	v_div_scale_f32 v2, null, v11, v11, 1.0
	s_delay_alu instid0(VALU_DEP_4) | instskip(NEXT) | instid1(VALU_DEP_4)
	v_fmac_f32_e32 v41, v69, v41
	v_div_scale_f32 v42, null, v22, v22, 1.0
	s_delay_alu instid0(VALU_DEP_4) | instskip(NEXT) | instid1(VALU_DEP_3)
	v_rcp_f32_e32 v38, v18
	v_rcp_f32_e32 v44, v2
	v_fma_f32 v71, -v3, v47, 1.0
	v_add_f32_e32 v26, 1.0, v4
	v_div_scale_f32 v4, null, v13, v13, 1.0
	v_rcp_f32_e32 v61, v42
	s_delay_alu instid0(VALU_DEP_3) | instskip(SKIP_4) | instid1(VALU_DEP_4)
	v_fmac_f32_e32 v47, v71, v47
	v_fma_f32 v67, -v36, v59, 1.0
	v_add_f32_e32 v30, 1.0, v6
	v_div_scale_f32 v6, null, v15, v15, 1.0
	v_div_scale_f32 v39, null, v1, v1, 1.0
	v_fmac_f32_e32 v59, v67, v59
	v_div_scale_f32 v48, null, v26, v26, 1.0
	v_rcp_f32_e32 v50, v4
	v_rcp_f32_e32 v56, v6
	v_div_scale_f32 v57, null, v35, v35, 1.0
	v_div_scale_f32 v51, null, v28, v28, 1.0
	;; [unrolled: 1-line block ×4, first 2 shown]
	v_rcp_f32_e32 v60, v39
	v_rcp_f32_e32 v63, v48
	;; [unrolled: 1-line block ×3, first 2 shown]
	v_fma_f32 v68, -v18, v38, 1.0
	v_fma_f32 v70, -v2, v44, 1.0
	;; [unrolled: 1-line block ×3, first 2 shown]
	v_rcp_f32_e32 v64, v51
	v_div_scale_f32 v19, s2, 1.0, v9, 1.0
	v_div_scale_f32 v23, s4, 1.0, v11, 1.0
	v_rcp_f32_e32 v62, v45
	v_rcp_f32_e32 v65, v54
	v_fma_f32 v72, -v4, v50, 1.0
	v_fma_f32 v74, -v6, v56, 1.0
	v_dual_fmac_f32 v38, v68, v38 :: v_dual_fmac_f32 v61, v69, v61
	v_fmac_f32_e32 v44, v70, v44
	v_div_scale_f32 v27, s6, 1.0, v13, 1.0
	s_delay_alu instid0(VALU_DEP_3)
	v_mul_f32_e32 v67, v19, v38
	v_fma_f32 v68, -v39, v60, 1.0
	v_fma_f32 v71, -v48, v63, 1.0
	v_dual_fmac_f32 v50, v72, v50 :: v_dual_mul_f32 v69, v23, v44
	v_fmac_f32_e32 v56, v74, v56
	v_fma_f32 v74, -v57, v66, 1.0
	s_delay_alu instid0(VALU_DEP_4)
	v_fmac_f32_e32 v63, v71, v63
	v_div_scale_f32 v21, s3, 1.0, v10, 1.0
	v_div_scale_f32 v29, s7, 1.0, v14, 1.0
	;; [unrolled: 1-line block ×3, first 2 shown]
	v_fma_f32 v72, -v51, v64, 1.0
	v_div_scale_f32 v31, s8, 1.0, v15, 1.0
	v_div_scale_f32 v40, s10, 1.0, v1, 1.0
	v_fma_f32 v70, -v45, v62, 1.0
	v_fma_f32 v73, -v54, v65, 1.0
	v_dual_fmac_f32 v60, v68, v60 :: v_dual_mul_f32 v71, v27, v50
	v_fma_f32 v81, -v2, v69, v23
	v_fmac_f32_e32 v66, v74, v66
	v_fma_f32 v74, -v16, v75, v17
	v_mul_f32_e32 v68, v21, v41
	v_fmac_f32_e32 v64, v72, v64
	v_mul_f32_e32 v72, v29, v53
	v_mul_f32_e32 v76, v37, v59
	v_div_scale_f32 v43, s11, 1.0, v22, 1.0
	v_dual_fmac_f32 v62, v70, v62 :: v_dual_fmac_f32 v65, v73, v65
	v_mul_f32_e32 v73, v31, v56
	v_fma_f32 v77, -v18, v67, v19
	v_mul_f32_e32 v78, v40, v60
	v_fma_f32 v85, -v4, v71, v27
	v_fmac_f32_e32 v75, v74, v7
	v_fma_f32 v79, -v20, v68, v21
	v_fmac_f32_e32 v67, v77, v38
	v_fma_f32 v87, -v5, v72, v29
	v_fma_f32 v74, -v36, v76, v37
	v_div_scale_f32 v46, s12, 1.0, v24, 1.0
	v_dual_mul_f32 v80, v43, v61 :: v_dual_fmac_f32 v71, v85, v50
	v_fma_f32 v89, -v6, v73, v31
	v_fma_f32 v77, -v39, v78, v40
	;; [unrolled: 1-line block ×3, first 2 shown]
	v_fmac_f32_e32 v68, v79, v41
	v_fmac_f32_e32 v72, v87, v53
	;; [unrolled: 1-line block ×3, first 2 shown]
	v_dual_mul_f32 v82, v46, v62 :: v_dual_fmac_f32 v73, v89, v56
	v_fma_f32 v17, -v18, v67, v19
	v_fmac_f32_e32 v78, v77, v60
	v_fma_f32 v19, -v4, v71, v27
	v_div_fmas_f32 v4, v16, v7, v75
	v_fma_f32 v18, -v20, v68, v21
	v_fma_f32 v20, -v5, v72, v29
	;; [unrolled: 1-line block ×4, first 2 shown]
	s_mov_b32 vcc_lo, s9
	v_fma_f32 v21, -v6, v73, v31
	v_fma_f32 v6, -v39, v78, v40
	v_div_fixup_f32 v4, v4, v8, 1.0
	v_div_fmas_f32 v5, v5, v59, v76
	s_mov_b32 vcc_lo, s2
	v_fmac_f32_e32 v80, v79, v61
	v_div_fmas_f32 v8, v17, v38, v67
	s_mov_b32 vcc_lo, s10
	v_fmac_f32_e32 v69, v81, v44
	v_div_fmas_f32 v6, v6, v60, v78
	v_cmp_class_f32_e64 vcc_lo, v4, 0x1f8
	v_fma_f32 v7, -v42, v80, v43
	v_div_fixup_f32 v5, v5, v0, 1.0
	v_div_scale_f32 v25, s5, 1.0, v12, 1.0
	v_cndmask_b32_e32 v0, 0, v4, vcc_lo
	s_mov_b32 vcc_lo, s3
	v_fma_f32 v2, -v2, v69, v23
	v_div_fmas_f32 v4, v18, v41, v68
	s_mov_b32 vcc_lo, s11
	v_fma_f32 v81, -v45, v82, v46
	v_div_fmas_f32 v7, v7, v61, v80
	s_mov_b32 vcc_lo, s4
	v_div_fixup_f32 v8, v8, v9, 1.0
	v_div_fmas_f32 v9, v2, v44, v69
	v_cmp_class_f32_e64 vcc_lo, v5, 0x1f8
	v_mul_f32_e32 v70, v25, v47
	v_div_scale_f32 v49, s13, 1.0, v26, 1.0
	v_fmac_f32_e32 v82, v81, v62
	v_div_fixup_f32 v6, v6, v1, 1.0
	v_cndmask_b32_e32 v1, 0, v5, vcc_lo
	v_fma_f32 v83, -v3, v70, v25
	v_mul_f32_e32 v84, v49, v63
	v_fma_f32 v16, -v45, v82, v46
	s_mov_b32 vcc_lo, s12
	v_div_fixup_f32 v4, v4, v10, 1.0
	v_fmac_f32_e32 v70, v83, v47
	v_fma_f32 v83, -v48, v84, v49
	v_div_fmas_f32 v5, v16, v62, v82
	v_cmp_class_f32_e64 vcc_lo, v8, 0x1f8
	v_div_scale_f32 v52, s14, 1.0, v28, 1.0
	v_fma_f32 v3, -v3, v70, v25
	v_fmac_f32_e32 v84, v83, v63
	v_cndmask_b32_e32 v2, 0, v8, vcc_lo
	s_mov_b32 vcc_lo, s5
	v_div_fixup_f32 v7, v7, v22, 1.0
	v_div_fmas_f32 v8, v3, v47, v70
	v_cmp_class_f32_e64 vcc_lo, v6, 0x1f8
	v_fma_f32 v23, -v48, v84, v49
	v_div_fixup_f32 v10, v5, v24, 1.0
	v_div_scale_f32 v55, s15, 1.0, v30, 1.0
	v_cndmask_b32_e32 v3, 0, v6, vcc_lo
	s_mov_b32 vcc_lo, s13
	v_div_fixup_f32 v6, v9, v11, 1.0
	v_div_fmas_f32 v9, v23, v63, v84
	v_cmp_class_f32_e64 vcc_lo, v4, 0x1f8
	v_div_fixup_f32 v8, v8, v12, 1.0
	v_div_scale_f32 v58, s16, 1.0, v35, 1.0
	s_delay_alu instid0(VALU_DEP_4)
	v_div_fixup_f32 v9, v9, v26, 1.0
	v_cndmask_b32_e32 v4, 0, v4, vcc_lo
	s_mov_b32 vcc_lo, s6
	v_div_fmas_f32 v11, v19, v50, v71
	v_cmp_class_f32_e64 vcc_lo, v7, 0x1f8
	v_dual_mul_f32 v86, v52, v64 :: v_dual_cndmask_b32 v5, 0, v7
	s_delay_alu instid0(VALU_DEP_1) | instskip(SKIP_1) | instid1(VALU_DEP_1)
	v_fma_f32 v85, -v51, v86, v52
	s_mov_b32 vcc_lo, s14
	v_fmac_f32_e32 v86, v85, v64
	s_delay_alu instid0(VALU_DEP_1) | instskip(NEXT) | instid1(VALU_DEP_1)
	v_fma_f32 v25, -v51, v86, v52
	v_div_fmas_f32 v12, v25, v64, v86
	v_cmp_class_f32_e64 vcc_lo, v6, 0x1f8
	s_delay_alu instid0(VALU_DEP_2) | instskip(SKIP_4) | instid1(VALU_DEP_3)
	v_div_fixup_f32 v12, v12, v28, 1.0
	v_mul_f32_e32 v88, v55, v65
	v_cndmask_b32_e32 v6, 0, v6, vcc_lo
	s_mov_b32 vcc_lo, s7
	v_div_fmas_f32 v16, v20, v53, v72
	v_fma_f32 v87, -v54, v88, v55
	v_cmp_class_f32_e64 vcc_lo, v10, 0x1f8
	s_delay_alu instid0(VALU_DEP_3) | instskip(NEXT) | instid1(VALU_DEP_3)
	v_div_fixup_f32 v14, v16, v14, 1.0
	v_dual_fmac_f32 v88, v87, v65 :: v_dual_cndmask_b32 v7, 0, v10
	s_mov_b32 vcc_lo, s15
	v_div_fixup_f32 v10, v11, v13, 1.0
	s_delay_alu instid0(VALU_DEP_2) | instskip(NEXT) | instid1(VALU_DEP_1)
	v_fma_f32 v27, -v54, v88, v55
	v_div_fmas_f32 v11, v27, v65, v88
	v_cmp_class_f32_e64 vcc_lo, v8, 0x1f8
	s_delay_alu instid0(VALU_DEP_2) | instskip(SKIP_4) | instid1(VALU_DEP_3)
	v_div_fixup_f32 v17, v11, v30, 1.0
	v_mul_f32_e32 v90, v58, v66
	v_cndmask_b32_e32 v8, 0, v8, vcc_lo
	s_mov_b32 vcc_lo, s8
	v_div_fmas_f32 v13, v21, v56, v73
	v_fma_f32 v89, -v57, v90, v58
	v_cmp_class_f32_e64 vcc_lo, v9, 0x1f8
	s_delay_alu instid0(VALU_DEP_3) | instskip(NEXT) | instid1(VALU_DEP_3)
	v_div_fixup_f32 v15, v13, v15, 1.0
	v_dual_fmac_f32 v90, v89, v66 :: v_dual_cndmask_b32 v9, 0, v9
	s_mov_b32 vcc_lo, s16
	s_delay_alu instid0(VALU_DEP_1) | instskip(NEXT) | instid1(VALU_DEP_1)
	v_fma_f32 v29, -v57, v90, v58
	v_div_fmas_f32 v16, v29, v66, v90
	v_cmp_class_f32_e64 vcc_lo, v10, 0x1f8
	s_delay_alu instid0(VALU_DEP_2)
	v_div_fixup_f32 v16, v16, v35, 1.0
	v_cndmask_b32_e32 v10, 0, v10, vcc_lo
	v_cmp_class_f32_e64 vcc_lo, v12, 0x1f8
	v_cndmask_b32_e32 v11, 0, v12, vcc_lo
	v_cmp_class_f32_e64 vcc_lo, v14, 0x1f8
	;; [unrolled: 2-line block ×5, first 2 shown]
	v_cndmask_b32_e32 v15, 0, v16, vcc_lo
	s_cbranch_scc1 .LBB268_35
; %bb.4:
	v_lshlrev_b32_e32 v28, 2, v34
	s_clause 0x3
	global_load_b128 v[16:19], v28, s[18:19]
	global_load_b128 v[20:23], v28, s[18:19] offset:16
	global_load_b128 v[24:27], v28, s[18:19] offset:1024
	;; [unrolled: 1-line block ×3, first 2 shown]
	s_waitcnt vmcnt(3)
	v_dual_add_f32 v17, v17, v1 :: v_dual_add_f32 v16, v16, v0
	v_dual_add_f32 v19, v19, v3 :: v_dual_add_f32 v18, v18, v2
	s_waitcnt vmcnt(2)
	v_dual_add_f32 v21, v21, v5 :: v_dual_add_f32 v20, v20, v4
	v_dual_add_f32 v23, v23, v7 :: v_dual_add_f32 v22, v22, v6
	;; [unrolled: 3-line block ×4, first 2 shown]
	s_cbranch_execnz .LBB268_6
.LBB268_5:
	v_dual_mov_b32 v31, v15 :: v_dual_mov_b32 v30, v14
	v_dual_mov_b32 v29, v13 :: v_dual_mov_b32 v28, v12
	;; [unrolled: 1-line block ×8, first 2 shown]
.LBB268_6:
	s_load_b128 s[12:15], s[0:1], 0x30
	v_cmp_eq_u32_e64 s2, 0, v33
	s_mov_b32 s10, 0
	s_waitcnt lgkmcnt(0)
	s_bitcmp1_b32 s15, 0
	s_cselect_b32 vcc_lo, -1, 0
	s_cmp_gt_i32 s12, 0
	s_cselect_b32 s9, -1, 0
	s_cmp_lt_i32 s12, 1
	s_cbranch_scc1 .LBB268_36
; %bb.7:
	v_mbcnt_lo_u32_b32 v36, -1, 0
	s_load_b128 s[16:19], s[0:1], 0x20
	v_mul_lo_u32 v35, v32, s12
	v_mov_b32_e32 v42, v32
	s_delay_alu instid0(VALU_DEP_3)
	v_xor_b32_e32 v37, 16, v36
	v_xor_b32_e32 v38, 8, v36
	;; [unrolled: 1-line block ×5, first 2 shown]
	v_cmp_gt_i32_e64 s0, 32, v37
	s_delay_alu instid0(VALU_DEP_1) | instskip(SKIP_1) | instid1(VALU_DEP_2)
	v_cndmask_b32_e64 v37, v36, v37, s0
	v_cmp_gt_i32_e64 s0, 32, v38
	v_lshlrev_b32_e32 v37, 2, v37
	s_delay_alu instid0(VALU_DEP_2) | instskip(SKIP_1) | instid1(VALU_DEP_2)
	v_cndmask_b32_e64 v38, v36, v38, s0
	v_cmp_gt_i32_e64 s0, 32, v39
	v_lshlrev_b32_e32 v38, 2, v38
	s_delay_alu instid0(VALU_DEP_2) | instskip(SKIP_1) | instid1(VALU_DEP_2)
	;; [unrolled: 4-line block ×3, first 2 shown]
	v_cndmask_b32_e64 v40, v36, v40, s0
	v_cmp_gt_i32_e64 s0, 32, v41
	v_lshlrev_b32_e32 v40, 2, v40
	s_delay_alu instid0(VALU_DEP_2) | instskip(NEXT) | instid1(VALU_DEP_1)
	v_cndmask_b32_e64 v36, v36, v41, s0
	v_dual_mov_b32 v36, 0 :: v_dual_lshlrev_b32 v41, 2, v36
	s_branch .LBB268_10
.LBB268_8:                              ;   in Loop: Header=BB268_10 Depth=1
	s_or_b32 exec_lo, exec_lo, s1
.LBB268_9:                              ;   in Loop: Header=BB268_10 Depth=1
	v_add_nc_u32_e32 v42, s22, v42
	s_cmp_eq_u32 s12, s10
	s_cbranch_scc1 .LBB268_37
.LBB268_10:                             ; =>This Inner Loop Header: Depth=1
	v_cmp_gt_f32_e64 s0, v17, v16
	s_delay_alu instid0(VALU_DEP_1) | instskip(SKIP_2) | instid1(VALU_DEP_3)
	v_cndmask_b32_e64 v44, v16, v17, s0
	v_cndmask_b32_e64 v43, 0, 1, s0
	;; [unrolled: 1-line block ×3, first 2 shown]
	v_cmp_gt_f32_e64 s1, v18, v44
	s_delay_alu instid0(VALU_DEP_1) | instskip(NEXT) | instid1(VALU_DEP_4)
	v_cndmask_b32_e64 v44, v44, v18, s1
	v_cndmask_b32_e64 v43, v43, 2, s1
	s_delay_alu instid0(VALU_DEP_4) | instskip(NEXT) | instid1(VALU_DEP_3)
	v_cndmask_b32_e64 v45, v45, v2, s1
	v_cmp_gt_f32_e64 s3, v19, v44
	s_delay_alu instid0(VALU_DEP_1) | instskip(NEXT) | instid1(VALU_DEP_4)
	v_cndmask_b32_e64 v44, v44, v19, s3
	v_cndmask_b32_e64 v43, v43, 3, s3
	s_delay_alu instid0(VALU_DEP_4) | instskip(NEXT) | instid1(VALU_DEP_3)
	v_cndmask_b32_e64 v45, v45, v3, s3
	v_cmp_gt_f32_e64 s4, v20, v44
	s_delay_alu instid0(VALU_DEP_1) | instskip(NEXT) | instid1(VALU_DEP_4)
	v_cndmask_b32_e64 v44, v44, v20, s4
	v_cndmask_b32_e64 v43, v43, 4, s4
	s_delay_alu instid0(VALU_DEP_4) | instskip(NEXT) | instid1(VALU_DEP_3)
	v_cndmask_b32_e64 v45, v45, v4, s4
	v_cmp_gt_f32_e64 s5, v21, v44
	s_delay_alu instid0(VALU_DEP_1) | instskip(NEXT) | instid1(VALU_DEP_4)
	v_cndmask_b32_e64 v44, v44, v21, s5
	v_cndmask_b32_e64 v43, v43, 5, s5
	s_delay_alu instid0(VALU_DEP_4) | instskip(NEXT) | instid1(VALU_DEP_3)
	v_cndmask_b32_e64 v45, v45, v5, s5
	v_cmp_gt_f32_e64 s6, v22, v44
	s_delay_alu instid0(VALU_DEP_1) | instskip(NEXT) | instid1(VALU_DEP_4)
	v_cndmask_b32_e64 v44, v44, v22, s6
	v_cndmask_b32_e64 v43, v43, 6, s6
	s_delay_alu instid0(VALU_DEP_4) | instskip(NEXT) | instid1(VALU_DEP_3)
	v_cndmask_b32_e64 v45, v45, v6, s6
	v_cmp_gt_f32_e64 s7, v23, v44
	s_delay_alu instid0(VALU_DEP_1) | instskip(NEXT) | instid1(VALU_DEP_4)
	v_cndmask_b32_e64 v44, v44, v23, s7
	v_cndmask_b32_e64 v43, v43, 7, s7
	s_delay_alu instid0(VALU_DEP_4) | instskip(NEXT) | instid1(VALU_DEP_3)
	v_cndmask_b32_e64 v45, v45, v7, s7
	v_cmp_gt_f32_e64 s8, v24, v44
	s_delay_alu instid0(VALU_DEP_1) | instskip(NEXT) | instid1(VALU_DEP_4)
	v_cndmask_b32_e64 v44, v44, v24, s8
	v_cndmask_b32_e64 v43, v43, 0x100, s8
	s_delay_alu instid0(VALU_DEP_4) | instskip(NEXT) | instid1(VALU_DEP_3)
	v_cndmask_b32_e64 v45, v45, v8, s8
	v_cmp_gt_f32_e64 s0, v25, v44
	s_delay_alu instid0(VALU_DEP_1) | instskip(NEXT) | instid1(VALU_DEP_4)
	v_cndmask_b32_e64 v44, v44, v25, s0
	v_cndmask_b32_e64 v43, v43, 0x101, s0
	s_delay_alu instid0(VALU_DEP_4) | instskip(NEXT) | instid1(VALU_DEP_3)
	v_cndmask_b32_e64 v45, v45, v9, s0
	v_cmp_gt_f32_e64 s1, v26, v44
	s_delay_alu instid0(VALU_DEP_1) | instskip(NEXT) | instid1(VALU_DEP_4)
	v_cndmask_b32_e64 v44, v44, v26, s1
	v_cndmask_b32_e64 v43, v43, 0x102, s1
	s_delay_alu instid0(VALU_DEP_4) | instskip(NEXT) | instid1(VALU_DEP_3)
	v_cndmask_b32_e64 v45, v45, v10, s1
	v_cmp_gt_f32_e64 s3, v27, v44
	s_delay_alu instid0(VALU_DEP_1) | instskip(NEXT) | instid1(VALU_DEP_4)
	v_cndmask_b32_e64 v44, v44, v27, s3
	v_cndmask_b32_e64 v43, v43, 0x103, s3
	s_delay_alu instid0(VALU_DEP_4) | instskip(NEXT) | instid1(VALU_DEP_3)
	v_cndmask_b32_e64 v45, v45, v11, s3
	v_cmp_gt_f32_e64 s4, v28, v44
	s_delay_alu instid0(VALU_DEP_1) | instskip(NEXT) | instid1(VALU_DEP_4)
	v_cndmask_b32_e64 v44, v44, v28, s4
	v_cndmask_b32_e64 v43, v43, 0x104, s4
	s_delay_alu instid0(VALU_DEP_4) | instskip(SKIP_1) | instid1(VALU_DEP_3)
	v_cndmask_b32_e64 v45, v45, v12, s4
	s_mov_b32 s4, exec_lo
	v_cmp_gt_f32_e64 s0, v29, v44
	s_delay_alu instid0(VALU_DEP_1) | instskip(SKIP_2) | instid1(VALU_DEP_3)
	v_cndmask_b32_e64 v44, v44, v29, s0
	v_cndmask_b32_e64 v43, v43, 0x105, s0
	;; [unrolled: 1-line block ×3, first 2 shown]
	v_cmp_gt_f32_e64 s1, v30, v44
	s_delay_alu instid0(VALU_DEP_1) | instskip(NEXT) | instid1(VALU_DEP_4)
	v_cndmask_b32_e64 v44, v44, v30, s1
	v_cndmask_b32_e64 v43, v43, 0x106, s1
	s_waitcnt lgkmcnt(0)
	v_cndmask_b32_e64 v46, v45, v14, s1
	s_delay_alu instid0(VALU_DEP_3) | instskip(NEXT) | instid1(VALU_DEP_1)
	v_cmp_gt_f32_e64 s0, v31, v44
	v_cndmask_b32_e64 v43, v43, 0x107, s0
	v_cndmask_b32_e64 v45, v44, v31, s0
	s_delay_alu instid0(VALU_DEP_4) | instskip(NEXT) | instid1(VALU_DEP_3)
	v_cndmask_b32_e64 v44, v46, v15, s0
	v_or_b32_e32 v43, v34, v43
	ds_bpermute_b32 v46, v37, v45
	ds_bpermute_b32 v48, v37, v44
	;; [unrolled: 1-line block ×3, first 2 shown]
	s_waitcnt lgkmcnt(0)
	v_cmp_lt_f32_e64 s3, v45, v46
	v_cmpx_nlt_f32_e32 v45, v46
; %bb.11:                               ;   in Loop: Header=BB268_10 Depth=1
	v_cmp_eq_f32_e64 s0, v45, v46
	v_cmp_lt_i32_e64 s1, v47, v43
	s_delay_alu instid0(VALU_DEP_1) | instskip(SKIP_2) | instid1(SALU_CYCLE_1)
	s_and_b32 s0, s0, s1
	s_and_not1_b32 s1, s3, exec_lo
	s_and_b32 s0, s0, exec_lo
	s_or_b32 s3, s1, s0
; %bb.12:                               ;   in Loop: Header=BB268_10 Depth=1
	s_or_b32 exec_lo, exec_lo, s4
	s_and_saveexec_b32 s0, s3
; %bb.13:                               ;   in Loop: Header=BB268_10 Depth=1
	v_dual_mov_b32 v44, v48 :: v_dual_mov_b32 v45, v46
	v_mov_b32_e32 v43, v47
; %bb.14:                               ;   in Loop: Header=BB268_10 Depth=1
	s_or_b32 exec_lo, exec_lo, s0
	ds_bpermute_b32 v46, v38, v45
	ds_bpermute_b32 v48, v38, v44
	ds_bpermute_b32 v47, v38, v43
	s_mov_b32 s4, exec_lo
	s_waitcnt lgkmcnt(2)
	v_cmp_lt_f32_e64 s3, v45, v46
	v_cmpx_nlt_f32_e32 v45, v46
	s_cbranch_execz .LBB268_16
; %bb.15:                               ;   in Loop: Header=BB268_10 Depth=1
	v_cmp_eq_f32_e64 s0, v45, v46
	s_waitcnt lgkmcnt(0)
	v_cmp_lt_i32_e64 s1, v47, v43
	s_delay_alu instid0(VALU_DEP_1) | instskip(SKIP_2) | instid1(SALU_CYCLE_1)
	s_and_b32 s0, s0, s1
	s_and_not1_b32 s1, s3, exec_lo
	s_and_b32 s0, s0, exec_lo
	s_or_b32 s3, s1, s0
.LBB268_16:                             ;   in Loop: Header=BB268_10 Depth=1
	s_or_b32 exec_lo, exec_lo, s4
	s_delay_alu instid0(VALU_DEP_2)
	s_and_saveexec_b32 s0, s3
	s_cbranch_execz .LBB268_18
; %bb.17:                               ;   in Loop: Header=BB268_10 Depth=1
	s_waitcnt lgkmcnt(1)
	v_dual_mov_b32 v44, v48 :: v_dual_mov_b32 v45, v46
	s_waitcnt lgkmcnt(0)
	v_mov_b32_e32 v43, v47
.LBB268_18:                             ;   in Loop: Header=BB268_10 Depth=1
	s_or_b32 exec_lo, exec_lo, s0
	ds_bpermute_b32 v46, v39, v45
	s_waitcnt lgkmcnt(2)
	ds_bpermute_b32 v48, v39, v44
	s_waitcnt lgkmcnt(2)
	ds_bpermute_b32 v47, v39, v43
	s_mov_b32 s4, exec_lo
	s_waitcnt lgkmcnt(2)
	v_cmp_lt_f32_e64 s3, v45, v46
	v_cmpx_nlt_f32_e32 v45, v46
	s_cbranch_execz .LBB268_20
; %bb.19:                               ;   in Loop: Header=BB268_10 Depth=1
	v_cmp_eq_f32_e64 s0, v45, v46
	s_waitcnt lgkmcnt(0)
	v_cmp_lt_i32_e64 s1, v47, v43
	s_delay_alu instid0(VALU_DEP_1) | instskip(SKIP_2) | instid1(SALU_CYCLE_1)
	s_and_b32 s0, s0, s1
	s_and_not1_b32 s1, s3, exec_lo
	s_and_b32 s0, s0, exec_lo
	s_or_b32 s3, s1, s0
.LBB268_20:                             ;   in Loop: Header=BB268_10 Depth=1
	s_or_b32 exec_lo, exec_lo, s4
	s_delay_alu instid0(VALU_DEP_2)
	s_and_saveexec_b32 s0, s3
	s_cbranch_execz .LBB268_22
; %bb.21:                               ;   in Loop: Header=BB268_10 Depth=1
	s_waitcnt lgkmcnt(1)
	v_dual_mov_b32 v44, v48 :: v_dual_mov_b32 v45, v46
	s_waitcnt lgkmcnt(0)
	v_mov_b32_e32 v43, v47
.LBB268_22:                             ;   in Loop: Header=BB268_10 Depth=1
	s_or_b32 exec_lo, exec_lo, s0
	ds_bpermute_b32 v46, v40, v45
	s_waitcnt lgkmcnt(2)
	ds_bpermute_b32 v48, v40, v44
	s_waitcnt lgkmcnt(2)
	ds_bpermute_b32 v47, v40, v43
	s_mov_b32 s4, exec_lo
	s_waitcnt lgkmcnt(2)
	v_cmp_lt_f32_e64 s3, v45, v46
	v_cmpx_nlt_f32_e32 v45, v46
	s_cbranch_execz .LBB268_24
; %bb.23:                               ;   in Loop: Header=BB268_10 Depth=1
	v_cmp_eq_f32_e64 s0, v45, v46
	s_waitcnt lgkmcnt(0)
	v_cmp_lt_i32_e64 s1, v47, v43
	s_delay_alu instid0(VALU_DEP_1) | instskip(SKIP_2) | instid1(SALU_CYCLE_1)
	s_and_b32 s0, s0, s1
	s_and_not1_b32 s1, s3, exec_lo
	s_and_b32 s0, s0, exec_lo
	s_or_b32 s3, s1, s0
.LBB268_24:                             ;   in Loop: Header=BB268_10 Depth=1
	s_or_b32 exec_lo, exec_lo, s4
	s_delay_alu instid0(VALU_DEP_2)
	s_and_saveexec_b32 s0, s3
	s_cbranch_execz .LBB268_26
; %bb.25:                               ;   in Loop: Header=BB268_10 Depth=1
	s_waitcnt lgkmcnt(1)
	v_dual_mov_b32 v44, v48 :: v_dual_mov_b32 v45, v46
	s_waitcnt lgkmcnt(0)
	v_mov_b32_e32 v43, v47
.LBB268_26:                             ;   in Loop: Header=BB268_10 Depth=1
	s_or_b32 exec_lo, exec_lo, s0
	s_waitcnt lgkmcnt(1)
	ds_bpermute_b32 v48, v41, v45
	ds_bpermute_b32 v46, v41, v44
	s_waitcnt lgkmcnt(2)
	ds_bpermute_b32 v47, v41, v43
	s_mov_b32 s4, exec_lo
	s_waitcnt lgkmcnt(2)
	v_cmp_lt_f32_e64 s3, v45, v48
	v_cmpx_nlt_f32_e32 v45, v48
	s_cbranch_execnz .LBB268_30
; %bb.27:                               ;   in Loop: Header=BB268_10 Depth=1
	s_or_b32 exec_lo, exec_lo, s4
	s_delay_alu instid0(VALU_DEP_2)
	s_and_saveexec_b32 s0, s3
	s_cbranch_execnz .LBB268_31
.LBB268_28:                             ;   in Loop: Header=BB268_10 Depth=1
	s_or_b32 exec_lo, exec_lo, s0
	s_and_saveexec_b32 s3, s2
	s_cbranch_execnz .LBB268_32
.LBB268_29:                             ;   in Loop: Header=BB268_10 Depth=1
	s_or_b32 exec_lo, exec_lo, s3
	s_add_i32 s10, s10, 1
	s_delay_alu instid0(SALU_CYCLE_1)
	s_cmp_ge_i32 s10, s12
	s_cbranch_scc1 .LBB268_9
	s_branch .LBB268_33
.LBB268_30:                             ;   in Loop: Header=BB268_10 Depth=1
	v_cmp_eq_f32_e64 s0, v45, v48
	s_waitcnt lgkmcnt(0)
	v_cmp_lt_i32_e64 s1, v47, v43
	s_delay_alu instid0(VALU_DEP_1) | instskip(SKIP_2) | instid1(SALU_CYCLE_1)
	s_and_b32 s0, s0, s1
	s_and_not1_b32 s1, s3, exec_lo
	s_and_b32 s0, s0, exec_lo
	s_or_b32 s3, s1, s0
	s_or_b32 exec_lo, exec_lo, s4
	s_and_saveexec_b32 s0, s3
	s_cbranch_execz .LBB268_28
.LBB268_31:                             ;   in Loop: Header=BB268_10 Depth=1
	s_waitcnt lgkmcnt(0)
	v_dual_mov_b32 v43, v47 :: v_dual_mov_b32 v44, v46
	s_or_b32 exec_lo, exec_lo, s0
	s_and_saveexec_b32 s3, s2
	s_cbranch_execz .LBB268_29
.LBB268_32:                             ;   in Loop: Header=BB268_10 Depth=1
	s_delay_alu instid0(VALU_DEP_1)
	v_dual_add_f32 v52, v36, v44 :: v_dual_add_nc_u32 v45, s10, v35
	v_cmp_le_i32_e64 s0, s13, v43
	v_cmp_gt_i32_e64 s1, s14, v43
	s_waitcnt lgkmcnt(0)
	v_subrev_nc_u32_e32 v47, s13, v43
	v_ashrrev_i32_e32 v46, 31, v45
	v_cndmask_b32_e32 v36, v36, v52, vcc_lo
	s_and_b32 s0, s0, s1
	s_delay_alu instid0(SALU_CYCLE_1) | instskip(NEXT) | instid1(VALU_DEP_2)
	s_and_b32 s0, s23, s0
	v_lshlrev_b64 v[45:46], 2, v[45:46]
	v_cndmask_b32_e64 v51, 0x200, v47, s0
	s_delay_alu instid0(VALU_DEP_2) | instskip(NEXT) | instid1(VALU_DEP_1)
	v_add_co_u32 v47, s0, s20, v45
	v_add_co_ci_u32_e64 v48, s0, s21, v46, s0
	v_add_co_u32 v49, s0, s16, v45
	s_delay_alu instid0(VALU_DEP_1) | instskip(SKIP_1) | instid1(VALU_DEP_1)
	v_add_co_ci_u32_e64 v50, s0, s17, v46, s0
	v_add_co_u32 v45, s0, s18, v45
	v_add_co_ci_u32_e64 v46, s0, s19, v46, s0
	global_store_b32 v[47:48], v44, off
	global_store_b32 v[49:50], v51, off
	;; [unrolled: 1-line block ×3, first 2 shown]
	s_or_b32 exec_lo, exec_lo, s3
	s_add_i32 s10, s10, 1
	s_delay_alu instid0(SALU_CYCLE_1)
	s_cmp_ge_i32 s10, s12
	s_cbranch_scc1 .LBB268_9
.LBB268_33:                             ;   in Loop: Header=BB268_10 Depth=1
	v_ashrrev_i32_e32 v44, 31, v43
	s_mov_b32 s1, exec_lo
	s_delay_alu instid0(VALU_DEP_1) | instskip(NEXT) | instid1(VALU_DEP_1)
	v_lshrrev_b32_e32 v45, 29, v44
	v_add_nc_u32_e32 v45, v43, v45
	s_waitcnt lgkmcnt(1)
	s_delay_alu instid0(VALU_DEP_1) | instskip(SKIP_1) | instid1(VALU_DEP_2)
	v_ashrrev_i32_e32 v46, 31, v45
	v_ashrrev_i32_e32 v45, 3, v45
	v_lshrrev_b32_e32 v46, 27, v46
	s_delay_alu instid0(VALU_DEP_1) | instskip(NEXT) | instid1(VALU_DEP_1)
	v_add_nc_u32_e32 v46, v45, v46
	v_and_b32_e32 v46, 0xffffffe0, v46
	s_delay_alu instid0(VALU_DEP_1) | instskip(NEXT) | instid1(VALU_DEP_1)
	v_sub_nc_u32_e32 v46, v45, v46
	v_cmpx_eq_u32_e64 v33, v46
	s_cbranch_execz .LBB268_8
; %bb.34:                               ;   in Loop: Header=BB268_10 Depth=1
	v_lshrrev_b32_e32 v44, 24, v44
	v_lshlrev_b32_e32 v45, 3, v45
	s_delay_alu instid0(VALU_DEP_2) | instskip(NEXT) | instid1(VALU_DEP_2)
	v_add_nc_u32_e32 v44, v43, v44
	v_sub_nc_u32_e32 v43, v43, v45
	s_delay_alu instid0(VALU_DEP_2) | instskip(NEXT) | instid1(VALU_DEP_1)
	v_ashrrev_i32_e32 v44, 8, v44
	v_lshl_add_u32 v43, v44, 3, v43
	s_delay_alu instid0(VALU_DEP_1) | instskip(NEXT) | instid1(VALU_DEP_1)
	v_cmp_ne_u32_e64 s0, 15, v43
	v_cndmask_b32_e64 v31, 0xc61c4000, v31, s0
	v_cmp_ne_u32_e64 s0, 14, v43
	s_delay_alu instid0(VALU_DEP_1) | instskip(SKIP_1) | instid1(VALU_DEP_1)
	v_cndmask_b32_e64 v30, 0xc61c4000, v30, s0
	v_cmp_ne_u32_e64 s0, 13, v43
	v_cndmask_b32_e64 v29, 0xc61c4000, v29, s0
	v_cmp_ne_u32_e64 s0, 12, v43
	s_delay_alu instid0(VALU_DEP_1) | instskip(SKIP_1) | instid1(VALU_DEP_1)
	v_cndmask_b32_e64 v28, 0xc61c4000, v28, s0
	;; [unrolled: 5-line block ×7, first 2 shown]
	v_cmp_ne_u32_e64 s0, 1, v43
	v_cndmask_b32_e64 v17, 0xc61c4000, v17, s0
	v_cmp_ne_u32_e64 s0, 0, v43
	s_delay_alu instid0(VALU_DEP_1)
	v_cndmask_b32_e64 v16, 0xc61c4000, v16, s0
	s_branch .LBB268_8
.LBB268_35:
                                        ; implicit-def: $vgpr16_vgpr17_vgpr18_vgpr19_vgpr20_vgpr21_vgpr22_vgpr23_vgpr24_vgpr25_vgpr26_vgpr27_vgpr28_vgpr29_vgpr30_vgpr31
	s_and_not1_b32 vcc_lo, exec_lo, s17
	s_cbranch_vccz .LBB268_5
	s_branch .LBB268_6
.LBB268_36:
	v_mov_b32_e32 v36, 0
.LBB268_37:
	v_cmp_eq_u32_e64 s0, 0, v33
	s_delay_alu instid0(VALU_DEP_1) | instskip(NEXT) | instid1(SALU_CYCLE_1)
	s_and_b32 s0, s0, vcc_lo
	s_and_b32 exec_lo, exec_lo, s0
	s_cbranch_execz .LBB268_41
; %bb.38:
	s_and_not1_b32 vcc_lo, exec_lo, s9
	s_cbranch_vccnz .LBB268_41
; %bb.39:
	v_mul_lo_u32 v0, v32, s12
	v_cmp_lt_f32_e32 vcc_lo, 0, v36
	v_cndmask_b32_e32 v2, 1.0, v36, vcc_lo
	s_delay_alu instid0(VALU_DEP_3) | instskip(NEXT) | instid1(VALU_DEP_1)
	v_ashrrev_i32_e32 v1, 31, v0
	v_lshlrev_b64 v[0:1], 2, v[0:1]
	s_delay_alu instid0(VALU_DEP_1) | instskip(NEXT) | instid1(VALU_DEP_2)
	v_add_co_u32 v0, vcc_lo, s20, v0
	v_add_co_ci_u32_e32 v1, vcc_lo, s21, v1, vcc_lo
	.p2align	6
.LBB268_40:                             ; =>This Inner Loop Header: Depth=1
	global_load_b32 v3, v[0:1], off
	s_add_i32 s12, s12, -1
	s_delay_alu instid0(SALU_CYCLE_1) | instskip(SKIP_3) | instid1(VALU_DEP_2)
	s_cmp_lg_u32 s12, 0
	s_waitcnt vmcnt(0)
	v_div_scale_f32 v4, null, v2, v2, v3
	v_div_scale_f32 v7, vcc_lo, v3, v2, v3
	v_rcp_f32_e32 v5, v4
	s_waitcnt_depctr 0xfff
	v_fma_f32 v6, -v4, v5, 1.0
	s_delay_alu instid0(VALU_DEP_1) | instskip(NEXT) | instid1(VALU_DEP_1)
	v_fmac_f32_e32 v5, v6, v5
	v_mul_f32_e32 v6, v7, v5
	s_delay_alu instid0(VALU_DEP_1) | instskip(NEXT) | instid1(VALU_DEP_1)
	v_fma_f32 v8, -v4, v6, v7
	v_fmac_f32_e32 v6, v8, v5
	s_delay_alu instid0(VALU_DEP_1) | instskip(NEXT) | instid1(VALU_DEP_1)
	v_fma_f32 v4, -v4, v6, v7
	v_div_fmas_f32 v4, v4, v5, v6
	s_delay_alu instid0(VALU_DEP_1)
	v_div_fixup_f32 v3, v4, v2, v3
	global_store_b32 v[0:1], v3, off
	v_add_co_u32 v0, vcc_lo, v0, 4
	v_add_co_ci_u32_e32 v1, vcc_lo, 0, v1, vcc_lo
	s_cbranch_scc1 .LBB268_40
.LBB268_41:
	s_nop 0
	s_sendmsg sendmsg(MSG_DEALLOC_VGPRS)
	s_endpgm
	.section	.rodata,"a",@progbits
	.p2align	6, 0x0
	.amdhsa_kernel _ZN4vllm3moe10topkGatingILi16ELi512ELi4ELi16ELi32Ei6__halfLNS0_11ScoringFuncE1EEEvPKT5_PKbPfiPT4_PiiiibPKf
		.amdhsa_group_segment_fixed_size 0
		.amdhsa_private_segment_fixed_size 0
		.amdhsa_kernarg_size 72
		.amdhsa_user_sgpr_count 15
		.amdhsa_user_sgpr_dispatch_ptr 0
		.amdhsa_user_sgpr_queue_ptr 0
		.amdhsa_user_sgpr_kernarg_segment_ptr 1
		.amdhsa_user_sgpr_dispatch_id 0
		.amdhsa_user_sgpr_private_segment_size 0
		.amdhsa_wavefront_size32 1
		.amdhsa_uses_dynamic_stack 0
		.amdhsa_enable_private_segment 0
		.amdhsa_system_sgpr_workgroup_id_x 1
		.amdhsa_system_sgpr_workgroup_id_y 0
		.amdhsa_system_sgpr_workgroup_id_z 0
		.amdhsa_system_sgpr_workgroup_info 0
		.amdhsa_system_vgpr_workitem_id 1
		.amdhsa_next_free_vgpr 91
		.amdhsa_next_free_sgpr 24
		.amdhsa_reserve_vcc 1
		.amdhsa_float_round_mode_32 0
		.amdhsa_float_round_mode_16_64 0
		.amdhsa_float_denorm_mode_32 3
		.amdhsa_float_denorm_mode_16_64 3
		.amdhsa_dx10_clamp 1
		.amdhsa_ieee_mode 1
		.amdhsa_fp16_overflow 0
		.amdhsa_workgroup_processor_mode 1
		.amdhsa_memory_ordered 1
		.amdhsa_forward_progress 0
		.amdhsa_shared_vgpr_count 0
		.amdhsa_exception_fp_ieee_invalid_op 0
		.amdhsa_exception_fp_denorm_src 0
		.amdhsa_exception_fp_ieee_div_zero 0
		.amdhsa_exception_fp_ieee_overflow 0
		.amdhsa_exception_fp_ieee_underflow 0
		.amdhsa_exception_fp_ieee_inexact 0
		.amdhsa_exception_int_div_zero 0
	.end_amdhsa_kernel
	.section	.text._ZN4vllm3moe10topkGatingILi16ELi512ELi4ELi16ELi32Ei6__halfLNS0_11ScoringFuncE1EEEvPKT5_PKbPfiPT4_PiiiibPKf,"axG",@progbits,_ZN4vllm3moe10topkGatingILi16ELi512ELi4ELi16ELi32Ei6__halfLNS0_11ScoringFuncE1EEEvPKT5_PKbPfiPT4_PiiiibPKf,comdat
.Lfunc_end268:
	.size	_ZN4vllm3moe10topkGatingILi16ELi512ELi4ELi16ELi32Ei6__halfLNS0_11ScoringFuncE1EEEvPKT5_PKbPfiPT4_PiiiibPKf, .Lfunc_end268-_ZN4vllm3moe10topkGatingILi16ELi512ELi4ELi16ELi32Ei6__halfLNS0_11ScoringFuncE1EEEvPKT5_PKbPfiPT4_PiiiibPKf
                                        ; -- End function
	.section	.AMDGPU.csdata,"",@progbits
; Kernel info:
; codeLenInByte = 4804
; NumSgprs: 26
; NumVgprs: 91
; ScratchSize: 0
; MemoryBound: 0
; FloatMode: 240
; IeeeMode: 1
; LDSByteSize: 0 bytes/workgroup (compile time only)
; SGPRBlocks: 3
; VGPRBlocks: 11
; NumSGPRsForWavesPerEU: 26
; NumVGPRsForWavesPerEU: 91
; Occupancy: 16
; WaveLimiterHint : 1
; COMPUTE_PGM_RSRC2:SCRATCH_EN: 0
; COMPUTE_PGM_RSRC2:USER_SGPR: 15
; COMPUTE_PGM_RSRC2:TRAP_HANDLER: 0
; COMPUTE_PGM_RSRC2:TGID_X_EN: 1
; COMPUTE_PGM_RSRC2:TGID_Y_EN: 0
; COMPUTE_PGM_RSRC2:TGID_Z_EN: 0
; COMPUTE_PGM_RSRC2:TIDIG_COMP_CNT: 1
	.section	.text._ZN4vllm3moe10moeSigmoidILi256E6__halfEEvPKT0_PKbPfi,"axG",@progbits,_ZN4vllm3moe10moeSigmoidILi256E6__halfEEvPKT0_PKbPfi,comdat
	.protected	_ZN4vllm3moe10moeSigmoidILi256E6__halfEEvPKT0_PKbPfi ; -- Begin function _ZN4vllm3moe10moeSigmoidILi256E6__halfEEvPKT0_PKbPfi
	.globl	_ZN4vllm3moe10moeSigmoidILi256E6__halfEEvPKT0_PKbPfi
	.p2align	8
	.type	_ZN4vllm3moe10moeSigmoidILi256E6__halfEEvPKT0_PKbPfi,@function
_ZN4vllm3moe10moeSigmoidILi256E6__halfEEvPKT0_PKbPfi: ; @_ZN4vllm3moe10moeSigmoidILi256E6__halfEEvPKT0_PKbPfi
; %bb.0:
	s_clause 0x1
	s_load_b32 s3, s[0:1], 0x18
	s_load_b128 s[4:7], s[0:1], 0x0
	s_waitcnt lgkmcnt(0)
	v_cmp_gt_i32_e32 vcc_lo, s3, v0
	s_cmp_eq_u64 s[6:7], 0
	s_cbranch_scc1 .LBB269_7
; %bb.1:
	v_mov_b32_e32 v1, s15
	global_load_u8 v1, v1, s[6:7]
	s_waitcnt vmcnt(0)
	v_and_b32_e32 v1, 1, v1
	s_delay_alu instid0(VALU_DEP_1) | instskip(NEXT) | instid1(VALU_DEP_1)
	v_cmp_eq_u32_e64 s2, 1, v1
	s_xor_b32 s2, s2, -1
	s_delay_alu instid0(SALU_CYCLE_1) | instskip(NEXT) | instid1(SALU_CYCLE_1)
	s_and_b32 s2, vcc_lo, s2
	s_and_b32 s2, s2, exec_lo
	s_cbranch_execnz .LBB269_3
.LBB269_2:
	v_cmp_gt_i32_e32 vcc_lo, s3, v0
	s_and_not1_b32 s2, s2, exec_lo
	s_and_b32 s6, vcc_lo, exec_lo
	s_delay_alu instid0(SALU_CYCLE_1)
	s_or_b32 s2, s2, s6
.LBB269_3:
	s_delay_alu instid0(SALU_CYCLE_1)
	s_and_saveexec_b32 s6, s2
	s_cbranch_execz .LBB269_6
; %bb.4:
	s_load_b64 s[0:1], s[0:1], 0x10
	s_mul_i32 s15, s15, s3
	s_delay_alu instid0(SALU_CYCLE_1) | instskip(SKIP_1) | instid1(VALU_DEP_1)
	s_ashr_i32 s2, s15, 31
	v_add_co_u32 v1, s6, s15, v0
	v_add_co_ci_u32_e64 v2, null, s2, 0, s6
	s_delay_alu instid0(VALU_DEP_1) | instskip(SKIP_1) | instid1(VALU_DEP_2)
	v_lshlrev_b64 v[3:4], 1, v[1:2]
	v_lshlrev_b64 v[5:6], 2, v[1:2]
	v_add_co_u32 v1, vcc_lo, s4, v3
	s_delay_alu instid0(VALU_DEP_3) | instskip(SKIP_1) | instid1(VALU_DEP_3)
	v_add_co_ci_u32_e32 v2, vcc_lo, s5, v4, vcc_lo
	s_waitcnt lgkmcnt(0)
	v_add_co_u32 v3, vcc_lo, s0, v5
	s_delay_alu instid0(VALU_DEP_4)
	v_add_co_ci_u32_e32 v4, vcc_lo, s1, v6, vcc_lo
	s_mov_b32 s1, 0
	s_set_inst_prefetch_distance 0x1
	.p2align	6
.LBB269_5:                              ; =>This Inner Loop Header: Depth=1
	global_load_u16 v5, v[1:2], off
	v_add_co_u32 v1, vcc_lo, 0x200, v1
	v_add_co_ci_u32_e32 v2, vcc_lo, 0, v2, vcc_lo
	s_waitcnt vmcnt(0)
	v_cvt_f32_f16_e32 v5, v5
	s_delay_alu instid0(VALU_DEP_1) | instskip(NEXT) | instid1(VALU_DEP_1)
	v_mul_f32_e32 v5, 0xbfb8aa3b, v5
	v_exp_f32_e32 v5, v5
	s_waitcnt_depctr 0xfff
	v_dual_add_f32 v5, 1.0, v5 :: v_dual_add_nc_u32 v0, 0x100, v0
	s_delay_alu instid0(VALU_DEP_1) | instskip(NEXT) | instid1(VALU_DEP_2)
	v_cmp_le_i32_e64 s0, s3, v0
	v_div_scale_f32 v6, null, v5, v5, 1.0
	v_div_scale_f32 v8, vcc_lo, 1.0, v5, 1.0
	s_delay_alu instid0(VALU_DEP_3) | instskip(NEXT) | instid1(VALU_DEP_2)
	s_or_b32 s1, s0, s1
	v_rcp_f32_e32 v7, v6
	s_waitcnt_depctr 0xfff
	v_fma_f32 v9, -v6, v7, 1.0
	s_delay_alu instid0(VALU_DEP_1) | instskip(NEXT) | instid1(VALU_DEP_1)
	v_fmac_f32_e32 v7, v9, v7
	v_mul_f32_e32 v9, v8, v7
	s_delay_alu instid0(VALU_DEP_1) | instskip(NEXT) | instid1(VALU_DEP_1)
	v_fma_f32 v10, -v6, v9, v8
	v_fmac_f32_e32 v9, v10, v7
	s_delay_alu instid0(VALU_DEP_1) | instskip(NEXT) | instid1(VALU_DEP_1)
	v_fma_f32 v6, -v6, v9, v8
	v_div_fmas_f32 v6, v6, v7, v9
	s_delay_alu instid0(VALU_DEP_1) | instskip(NEXT) | instid1(VALU_DEP_1)
	v_div_fixup_f32 v5, v6, v5, 1.0
	v_cmp_class_f32_e64 vcc_lo, v5, 0x1f8
	v_cndmask_b32_e32 v5, 0, v5, vcc_lo
	global_store_b32 v[3:4], v5, off
	v_add_co_u32 v3, vcc_lo, 0x400, v3
	v_add_co_ci_u32_e32 v4, vcc_lo, 0, v4, vcc_lo
	s_and_not1_b32 exec_lo, exec_lo, s1
	s_cbranch_execnz .LBB269_5
.LBB269_6:
	s_set_inst_prefetch_distance 0x2
	s_nop 0
	s_sendmsg sendmsg(MSG_DEALLOC_VGPRS)
	s_endpgm
.LBB269_7:
	s_mov_b32 s2, 0
	s_branch .LBB269_2
	.section	.rodata,"a",@progbits
	.p2align	6, 0x0
	.amdhsa_kernel _ZN4vllm3moe10moeSigmoidILi256E6__halfEEvPKT0_PKbPfi
		.amdhsa_group_segment_fixed_size 0
		.amdhsa_private_segment_fixed_size 0
		.amdhsa_kernarg_size 28
		.amdhsa_user_sgpr_count 15
		.amdhsa_user_sgpr_dispatch_ptr 0
		.amdhsa_user_sgpr_queue_ptr 0
		.amdhsa_user_sgpr_kernarg_segment_ptr 1
		.amdhsa_user_sgpr_dispatch_id 0
		.amdhsa_user_sgpr_private_segment_size 0
		.amdhsa_wavefront_size32 1
		.amdhsa_uses_dynamic_stack 0
		.amdhsa_enable_private_segment 0
		.amdhsa_system_sgpr_workgroup_id_x 1
		.amdhsa_system_sgpr_workgroup_id_y 0
		.amdhsa_system_sgpr_workgroup_id_z 0
		.amdhsa_system_sgpr_workgroup_info 0
		.amdhsa_system_vgpr_workitem_id 0
		.amdhsa_next_free_vgpr 11
		.amdhsa_next_free_sgpr 16
		.amdhsa_reserve_vcc 1
		.amdhsa_float_round_mode_32 0
		.amdhsa_float_round_mode_16_64 0
		.amdhsa_float_denorm_mode_32 3
		.amdhsa_float_denorm_mode_16_64 3
		.amdhsa_dx10_clamp 1
		.amdhsa_ieee_mode 1
		.amdhsa_fp16_overflow 0
		.amdhsa_workgroup_processor_mode 1
		.amdhsa_memory_ordered 1
		.amdhsa_forward_progress 0
		.amdhsa_shared_vgpr_count 0
		.amdhsa_exception_fp_ieee_invalid_op 0
		.amdhsa_exception_fp_denorm_src 0
		.amdhsa_exception_fp_ieee_div_zero 0
		.amdhsa_exception_fp_ieee_overflow 0
		.amdhsa_exception_fp_ieee_underflow 0
		.amdhsa_exception_fp_ieee_inexact 0
		.amdhsa_exception_int_div_zero 0
	.end_amdhsa_kernel
	.section	.text._ZN4vllm3moe10moeSigmoidILi256E6__halfEEvPKT0_PKbPfi,"axG",@progbits,_ZN4vllm3moe10moeSigmoidILi256E6__halfEEvPKT0_PKbPfi,comdat
.Lfunc_end269:
	.size	_ZN4vllm3moe10moeSigmoidILi256E6__halfEEvPKT0_PKbPfi, .Lfunc_end269-_ZN4vllm3moe10moeSigmoidILi256E6__halfEEvPKT0_PKbPfi
                                        ; -- End function
	.section	.AMDGPU.csdata,"",@progbits
; Kernel info:
; codeLenInByte = 468
; NumSgprs: 18
; NumVgprs: 11
; ScratchSize: 0
; MemoryBound: 0
; FloatMode: 240
; IeeeMode: 1
; LDSByteSize: 0 bytes/workgroup (compile time only)
; SGPRBlocks: 2
; VGPRBlocks: 1
; NumSGPRsForWavesPerEU: 18
; NumVGPRsForWavesPerEU: 11
; Occupancy: 16
; WaveLimiterHint : 0
; COMPUTE_PGM_RSRC2:SCRATCH_EN: 0
; COMPUTE_PGM_RSRC2:USER_SGPR: 15
; COMPUTE_PGM_RSRC2:TRAP_HANDLER: 0
; COMPUTE_PGM_RSRC2:TGID_X_EN: 1
; COMPUTE_PGM_RSRC2:TGID_Y_EN: 0
; COMPUTE_PGM_RSRC2:TGID_Z_EN: 0
; COMPUTE_PGM_RSRC2:TIDIG_COMP_CNT: 0
	.section	.text._ZN4vllm3moe10topkGatingILi1ELi1ELi4ELi2ELi64Ej6__halfLNS0_11ScoringFuncE1EEEvPKT5_PKbPfiPT4_PiiiibPKf,"axG",@progbits,_ZN4vllm3moe10topkGatingILi1ELi1ELi4ELi2ELi64Ej6__halfLNS0_11ScoringFuncE1EEEvPKT5_PKbPfiPT4_PiiiibPKf,comdat
	.protected	_ZN4vllm3moe10topkGatingILi1ELi1ELi4ELi2ELi64Ej6__halfLNS0_11ScoringFuncE1EEEvPKT5_PKbPfiPT4_PiiiibPKf ; -- Begin function _ZN4vllm3moe10topkGatingILi1ELi1ELi4ELi2ELi64Ej6__halfLNS0_11ScoringFuncE1EEEvPKT5_PKbPfiPT4_PiiiibPKf
	.globl	_ZN4vllm3moe10topkGatingILi1ELi1ELi4ELi2ELi64Ej6__halfLNS0_11ScoringFuncE1EEEvPKT5_PKbPfiPT4_PiiiibPKf
	.p2align	8
	.type	_ZN4vllm3moe10topkGatingILi1ELi1ELi4ELi2ELi64Ej6__halfLNS0_11ScoringFuncE1EEEvPKT5_PKbPfiPT4_PiiiibPKf,@function
_ZN4vllm3moe10topkGatingILi1ELi1ELi4ELi2ELi64Ej6__halfLNS0_11ScoringFuncE1EEEvPKT5_PKbPfiPT4_PiiiibPKf: ; @_ZN4vllm3moe10topkGatingILi1ELi1ELi4ELi2ELi64Ej6__halfLNS0_11ScoringFuncE1EEEvPKT5_PKbPfiPT4_PiiiibPKf
; %bb.0:
	s_load_b32 s3, s[0:1], 0x18
	v_bfe_u32 v1, v0, 10, 10
	v_and_b32_e32 v0, 0x3ff, v0
	s_lshl_b32 s2, s15, 8
	s_delay_alu instid0(VALU_DEP_2) | instskip(NEXT) | instid1(VALU_DEP_1)
	v_lshlrev_b32_e32 v1, 6, v1
	v_add3_u32 v0, v1, v0, s2
	s_mov_b32 s2, exec_lo
	s_waitcnt lgkmcnt(0)
	s_delay_alu instid0(VALU_DEP_1)
	v_cmpx_gt_i32_e64 s3, v0
	s_cbranch_execz .LBB270_12
; %bb.1:
	s_clause 0x1
	s_load_b128 s[8:11], s[0:1], 0x0
	s_load_b64 s[12:13], s[0:1], 0x10
	v_ashrrev_i32_e32 v1, 31, v0
	s_waitcnt lgkmcnt(0)
	s_cmp_eq_u64 s[10:11], 0
	s_cbranch_scc1 .LBB270_3
; %bb.2:
	v_add_co_u32 v2, vcc_lo, s10, v0
	v_add_co_ci_u32_e32 v3, vcc_lo, s11, v1, vcc_lo
	global_load_u8 v2, v[2:3], off
	s_waitcnt vmcnt(0)
	v_and_b32_e32 v2, 1, v2
	s_delay_alu instid0(VALU_DEP_1) | instskip(SKIP_1) | instid1(SALU_CYCLE_1)
	v_cmp_eq_u32_e32 vcc_lo, 1, v2
	s_xor_b32 s2, vcc_lo, -1
	s_or_not1_b32 s10, s2, exec_lo
	s_branch .LBB270_4
.LBB270_3:
	s_mov_b32 s10, -1
.LBB270_4:
	s_load_b128 s[4:7], s[0:1], 0x30
	s_waitcnt lgkmcnt(0)
	s_bitcmp1_b32 s7, 0
	s_cselect_b32 s2, -1, 0
	s_cmp_gt_i32 s4, 0
	s_cselect_b32 s7, -1, 0
	s_cmp_lt_i32 s4, 1
	s_cbranch_scc1 .LBB270_8
; %bb.5:
	v_lshlrev_b64 v[1:2], 1, v[0:1]
	s_load_b128 s[16:19], s[0:1], 0x20
	s_cmp_lt_i32 s5, 1
	v_mov_b32_e32 v7, 0
	s_cselect_b32 s0, -1, 0
	s_cmp_gt_i32 s6, 0
	v_add_co_u32 v1, vcc_lo, s8, v1
	v_add_co_ci_u32_e32 v2, vcc_lo, s9, v2, vcc_lo
	s_cselect_b32 s1, -1, 0
	s_delay_alu instid0(SALU_CYCLE_1) | instskip(SKIP_3) | instid1(SALU_CYCLE_1)
	s_and_b32 s0, s0, s1
	global_load_u16 v1, v[1:2], off
	s_sub_i32 s1, 0, s5
	s_and_b32 s0, s10, s0
	v_cndmask_b32_e64 v8, 1, s1, s0
	s_waitcnt vmcnt(0)
	v_cvt_f32_f16_e32 v1, v1
	s_delay_alu instid0(VALU_DEP_1) | instskip(NEXT) | instid1(VALU_DEP_1)
	v_mul_f32_e32 v1, 0xbfb8aa3b, v1
	v_exp_f32_e32 v1, v1
	s_waitcnt_depctr 0xfff
	v_add_f32_e32 v9, 1.0, v1
	s_delay_alu instid0(VALU_DEP_1) | instskip(NEXT) | instid1(VALU_DEP_1)
	v_div_scale_f32 v3, null, v9, v9, 1.0
	v_rcp_f32_e32 v4, v3
	s_waitcnt_depctr 0xfff
	v_fma_f32 v1, -v3, v4, 1.0
	s_delay_alu instid0(VALU_DEP_1) | instskip(SKIP_2) | instid1(VALU_DEP_2)
	v_fmac_f32_e32 v4, v1, v4
	v_div_scale_f32 v10, vcc_lo, 1.0, v9, 1.0
	v_mul_lo_u32 v1, v0, s4
	v_mul_f32_e32 v11, v10, v4
	s_delay_alu instid0(VALU_DEP_2) | instskip(NEXT) | instid1(VALU_DEP_2)
	v_ashrrev_i32_e32 v2, 31, v1
	v_fma_f32 v5, -v3, v11, v10
	s_delay_alu instid0(VALU_DEP_1) | instskip(NEXT) | instid1(VALU_DEP_3)
	v_fmac_f32_e32 v11, v5, v4
	v_lshlrev_b64 v[5:6], 2, v[1:2]
	s_delay_alu instid0(VALU_DEP_2) | instskip(NEXT) | instid1(VALU_DEP_2)
	v_fma_f32 v3, -v3, v11, v10
	v_add_co_u32 v1, s0, s12, v5
	s_delay_alu instid0(VALU_DEP_1) | instskip(NEXT) | instid1(VALU_DEP_3)
	v_add_co_ci_u32_e64 v2, s0, s13, v6, s0
	v_div_fmas_f32 v10, v3, v4, v11
	s_waitcnt lgkmcnt(0)
	v_add_co_u32 v3, vcc_lo, s16, v5
	v_add_co_ci_u32_e32 v4, vcc_lo, s17, v6, vcc_lo
	s_delay_alu instid0(VALU_DEP_3) | instskip(SKIP_2) | instid1(VALU_DEP_3)
	v_div_fixup_f32 v9, v10, v9, 1.0
	v_add_co_u32 v5, vcc_lo, s18, v5
	v_add_co_ci_u32_e32 v6, vcc_lo, s19, v6, vcc_lo
	v_cmp_class_f32_e64 vcc_lo, v9, 0x1f8
	v_mov_b32_e32 v10, v0
	s_mov_b32 s0, s4
	v_cndmask_b32_e32 v9, 0, v9, vcc_lo
	.p2align	6
.LBB270_6:                              ; =>This Inner Loop Header: Depth=1
	global_store_b32 v[1:2], v9, off
	global_store_b32 v[3:4], v8, off
	;; [unrolled: 1-line block ×3, first 2 shown]
	v_add_co_u32 v1, vcc_lo, v1, 4
	v_add_co_ci_u32_e32 v2, vcc_lo, 0, v2, vcc_lo
	v_dual_add_f32 v11, v7, v9 :: v_dual_add_nc_u32 v10, s3, v10
	v_add_co_u32 v3, vcc_lo, v3, 4
	v_add_co_ci_u32_e32 v4, vcc_lo, 0, v4, vcc_lo
	v_add_co_u32 v5, vcc_lo, v5, 4
	s_delay_alu instid0(VALU_DEP_4) | instskip(SKIP_2) | instid1(SALU_CYCLE_1)
	v_cndmask_b32_e64 v7, v7, v11, s2
	v_add_co_ci_u32_e32 v6, vcc_lo, 0, v6, vcc_lo
	s_add_i32 s0, s0, -1
	s_cmp_lg_u32 s0, 0
	s_cbranch_scc1 .LBB270_6
; %bb.7:
	s_and_not1_b32 vcc_lo, exec_lo, s2
	s_cbranch_vccz .LBB270_9
	s_branch .LBB270_12
.LBB270_8:
	v_mov_b32_e32 v7, 0
	s_and_not1_b32 vcc_lo, exec_lo, s2
	s_cbranch_vccnz .LBB270_12
.LBB270_9:
	s_and_not1_b32 vcc_lo, exec_lo, s7
	s_cbranch_vccnz .LBB270_12
; %bb.10:
	v_mul_lo_u32 v0, v0, s4
	v_cmp_lt_f32_e32 vcc_lo, 0, v7
	v_cndmask_b32_e32 v2, 1.0, v7, vcc_lo
	s_delay_alu instid0(VALU_DEP_3) | instskip(NEXT) | instid1(VALU_DEP_1)
	v_ashrrev_i32_e32 v1, 31, v0
	v_lshlrev_b64 v[0:1], 2, v[0:1]
	s_delay_alu instid0(VALU_DEP_1) | instskip(NEXT) | instid1(VALU_DEP_2)
	v_add_co_u32 v0, vcc_lo, s12, v0
	v_add_co_ci_u32_e32 v1, vcc_lo, s13, v1, vcc_lo
	.p2align	6
.LBB270_11:                             ; =>This Inner Loop Header: Depth=1
	global_load_b32 v3, v[0:1], off
	s_add_i32 s4, s4, -1
	s_delay_alu instid0(SALU_CYCLE_1) | instskip(SKIP_3) | instid1(VALU_DEP_2)
	s_cmp_lg_u32 s4, 0
	s_waitcnt vmcnt(0)
	v_div_scale_f32 v4, null, v2, v2, v3
	v_div_scale_f32 v7, vcc_lo, v3, v2, v3
	v_rcp_f32_e32 v5, v4
	s_waitcnt_depctr 0xfff
	v_fma_f32 v6, -v4, v5, 1.0
	s_delay_alu instid0(VALU_DEP_1) | instskip(NEXT) | instid1(VALU_DEP_1)
	v_fmac_f32_e32 v5, v6, v5
	v_mul_f32_e32 v6, v7, v5
	s_delay_alu instid0(VALU_DEP_1) | instskip(NEXT) | instid1(VALU_DEP_1)
	v_fma_f32 v8, -v4, v6, v7
	v_fmac_f32_e32 v6, v8, v5
	s_delay_alu instid0(VALU_DEP_1) | instskip(NEXT) | instid1(VALU_DEP_1)
	v_fma_f32 v4, -v4, v6, v7
	v_div_fmas_f32 v4, v4, v5, v6
	s_delay_alu instid0(VALU_DEP_1)
	v_div_fixup_f32 v3, v4, v2, v3
	global_store_b32 v[0:1], v3, off
	v_add_co_u32 v0, vcc_lo, v0, 4
	v_add_co_ci_u32_e32 v1, vcc_lo, 0, v1, vcc_lo
	s_cbranch_scc1 .LBB270_11
.LBB270_12:
	s_nop 0
	s_sendmsg sendmsg(MSG_DEALLOC_VGPRS)
	s_endpgm
	.section	.rodata,"a",@progbits
	.p2align	6, 0x0
	.amdhsa_kernel _ZN4vllm3moe10topkGatingILi1ELi1ELi4ELi2ELi64Ej6__halfLNS0_11ScoringFuncE1EEEvPKT5_PKbPfiPT4_PiiiibPKf
		.amdhsa_group_segment_fixed_size 0
		.amdhsa_private_segment_fixed_size 0
		.amdhsa_kernarg_size 72
		.amdhsa_user_sgpr_count 15
		.amdhsa_user_sgpr_dispatch_ptr 0
		.amdhsa_user_sgpr_queue_ptr 0
		.amdhsa_user_sgpr_kernarg_segment_ptr 1
		.amdhsa_user_sgpr_dispatch_id 0
		.amdhsa_user_sgpr_private_segment_size 0
		.amdhsa_wavefront_size32 1
		.amdhsa_uses_dynamic_stack 0
		.amdhsa_enable_private_segment 0
		.amdhsa_system_sgpr_workgroup_id_x 1
		.amdhsa_system_sgpr_workgroup_id_y 0
		.amdhsa_system_sgpr_workgroup_id_z 0
		.amdhsa_system_sgpr_workgroup_info 0
		.amdhsa_system_vgpr_workitem_id 1
		.amdhsa_next_free_vgpr 12
		.amdhsa_next_free_sgpr 20
		.amdhsa_reserve_vcc 1
		.amdhsa_float_round_mode_32 0
		.amdhsa_float_round_mode_16_64 0
		.amdhsa_float_denorm_mode_32 3
		.amdhsa_float_denorm_mode_16_64 3
		.amdhsa_dx10_clamp 1
		.amdhsa_ieee_mode 1
		.amdhsa_fp16_overflow 0
		.amdhsa_workgroup_processor_mode 1
		.amdhsa_memory_ordered 1
		.amdhsa_forward_progress 0
		.amdhsa_shared_vgpr_count 0
		.amdhsa_exception_fp_ieee_invalid_op 0
		.amdhsa_exception_fp_denorm_src 0
		.amdhsa_exception_fp_ieee_div_zero 0
		.amdhsa_exception_fp_ieee_overflow 0
		.amdhsa_exception_fp_ieee_underflow 0
		.amdhsa_exception_fp_ieee_inexact 0
		.amdhsa_exception_int_div_zero 0
	.end_amdhsa_kernel
	.section	.text._ZN4vllm3moe10topkGatingILi1ELi1ELi4ELi2ELi64Ej6__halfLNS0_11ScoringFuncE1EEEvPKT5_PKbPfiPT4_PiiiibPKf,"axG",@progbits,_ZN4vllm3moe10topkGatingILi1ELi1ELi4ELi2ELi64Ej6__halfLNS0_11ScoringFuncE1EEEvPKT5_PKbPfiPT4_PiiiibPKf,comdat
.Lfunc_end270:
	.size	_ZN4vllm3moe10topkGatingILi1ELi1ELi4ELi2ELi64Ej6__halfLNS0_11ScoringFuncE1EEEvPKT5_PKbPfiPT4_PiiiibPKf, .Lfunc_end270-_ZN4vllm3moe10topkGatingILi1ELi1ELi4ELi2ELi64Ej6__halfLNS0_11ScoringFuncE1EEEvPKT5_PKbPfiPT4_PiiiibPKf
                                        ; -- End function
	.section	.AMDGPU.csdata,"",@progbits
; Kernel info:
; codeLenInByte = 820
; NumSgprs: 22
; NumVgprs: 12
; ScratchSize: 0
; MemoryBound: 0
; FloatMode: 240
; IeeeMode: 1
; LDSByteSize: 0 bytes/workgroup (compile time only)
; SGPRBlocks: 2
; VGPRBlocks: 1
; NumSGPRsForWavesPerEU: 22
; NumVGPRsForWavesPerEU: 12
; Occupancy: 16
; WaveLimiterHint : 0
; COMPUTE_PGM_RSRC2:SCRATCH_EN: 0
; COMPUTE_PGM_RSRC2:USER_SGPR: 15
; COMPUTE_PGM_RSRC2:TRAP_HANDLER: 0
; COMPUTE_PGM_RSRC2:TGID_X_EN: 1
; COMPUTE_PGM_RSRC2:TGID_Y_EN: 0
; COMPUTE_PGM_RSRC2:TGID_Z_EN: 0
; COMPUTE_PGM_RSRC2:TIDIG_COMP_CNT: 1
	.section	.text._ZN4vllm3moe10topkGatingILi1ELi1ELi4ELi2ELi32Ej6__halfLNS0_11ScoringFuncE1EEEvPKT5_PKbPfiPT4_PiiiibPKf,"axG",@progbits,_ZN4vllm3moe10topkGatingILi1ELi1ELi4ELi2ELi32Ej6__halfLNS0_11ScoringFuncE1EEEvPKT5_PKbPfiPT4_PiiiibPKf,comdat
	.protected	_ZN4vllm3moe10topkGatingILi1ELi1ELi4ELi2ELi32Ej6__halfLNS0_11ScoringFuncE1EEEvPKT5_PKbPfiPT4_PiiiibPKf ; -- Begin function _ZN4vllm3moe10topkGatingILi1ELi1ELi4ELi2ELi32Ej6__halfLNS0_11ScoringFuncE1EEEvPKT5_PKbPfiPT4_PiiiibPKf
	.globl	_ZN4vllm3moe10topkGatingILi1ELi1ELi4ELi2ELi32Ej6__halfLNS0_11ScoringFuncE1EEEvPKT5_PKbPfiPT4_PiiiibPKf
	.p2align	8
	.type	_ZN4vllm3moe10topkGatingILi1ELi1ELi4ELi2ELi32Ej6__halfLNS0_11ScoringFuncE1EEEvPKT5_PKbPfiPT4_PiiiibPKf,@function
_ZN4vllm3moe10topkGatingILi1ELi1ELi4ELi2ELi32Ej6__halfLNS0_11ScoringFuncE1EEEvPKT5_PKbPfiPT4_PiiiibPKf: ; @_ZN4vllm3moe10topkGatingILi1ELi1ELi4ELi2ELi32Ej6__halfLNS0_11ScoringFuncE1EEEvPKT5_PKbPfiPT4_PiiiibPKf
; %bb.0:
	s_load_b32 s3, s[0:1], 0x18
	v_bfe_u32 v1, v0, 10, 10
	v_and_b32_e32 v0, 0x3ff, v0
	s_lshl_b32 s2, s15, 7
	s_delay_alu instid0(VALU_DEP_2) | instskip(NEXT) | instid1(VALU_DEP_1)
	v_lshlrev_b32_e32 v1, 5, v1
	v_add3_u32 v0, v1, v0, s2
	s_mov_b32 s2, exec_lo
	s_waitcnt lgkmcnt(0)
	s_delay_alu instid0(VALU_DEP_1)
	v_cmpx_gt_i32_e64 s3, v0
	s_cbranch_execz .LBB271_12
; %bb.1:
	s_clause 0x1
	s_load_b128 s[8:11], s[0:1], 0x0
	s_load_b64 s[12:13], s[0:1], 0x10
	v_ashrrev_i32_e32 v1, 31, v0
	s_waitcnt lgkmcnt(0)
	s_cmp_eq_u64 s[10:11], 0
	s_cbranch_scc1 .LBB271_3
; %bb.2:
	v_add_co_u32 v2, vcc_lo, s10, v0
	v_add_co_ci_u32_e32 v3, vcc_lo, s11, v1, vcc_lo
	global_load_u8 v2, v[2:3], off
	s_waitcnt vmcnt(0)
	v_and_b32_e32 v2, 1, v2
	s_delay_alu instid0(VALU_DEP_1) | instskip(SKIP_1) | instid1(SALU_CYCLE_1)
	v_cmp_eq_u32_e32 vcc_lo, 1, v2
	s_xor_b32 s2, vcc_lo, -1
	s_or_not1_b32 s10, s2, exec_lo
	s_branch .LBB271_4
.LBB271_3:
	s_mov_b32 s10, -1
.LBB271_4:
	s_load_b128 s[4:7], s[0:1], 0x30
	s_waitcnt lgkmcnt(0)
	s_bitcmp1_b32 s7, 0
	s_cselect_b32 s2, -1, 0
	s_cmp_gt_i32 s4, 0
	s_cselect_b32 s7, -1, 0
	s_cmp_lt_i32 s4, 1
	s_cbranch_scc1 .LBB271_8
; %bb.5:
	v_lshlrev_b64 v[1:2], 1, v[0:1]
	s_load_b128 s[16:19], s[0:1], 0x20
	s_cmp_lt_i32 s5, 1
	v_mov_b32_e32 v7, 0
	s_cselect_b32 s0, -1, 0
	s_cmp_gt_i32 s6, 0
	v_add_co_u32 v1, vcc_lo, s8, v1
	v_add_co_ci_u32_e32 v2, vcc_lo, s9, v2, vcc_lo
	s_cselect_b32 s1, -1, 0
	s_delay_alu instid0(SALU_CYCLE_1) | instskip(SKIP_3) | instid1(SALU_CYCLE_1)
	s_and_b32 s0, s0, s1
	global_load_u16 v1, v[1:2], off
	s_sub_i32 s1, 0, s5
	s_and_b32 s0, s10, s0
	v_cndmask_b32_e64 v8, 1, s1, s0
	s_waitcnt vmcnt(0)
	v_cvt_f32_f16_e32 v1, v1
	s_delay_alu instid0(VALU_DEP_1) | instskip(NEXT) | instid1(VALU_DEP_1)
	v_mul_f32_e32 v1, 0xbfb8aa3b, v1
	v_exp_f32_e32 v1, v1
	s_waitcnt_depctr 0xfff
	v_add_f32_e32 v9, 1.0, v1
	s_delay_alu instid0(VALU_DEP_1) | instskip(NEXT) | instid1(VALU_DEP_1)
	v_div_scale_f32 v3, null, v9, v9, 1.0
	v_rcp_f32_e32 v4, v3
	s_waitcnt_depctr 0xfff
	v_fma_f32 v1, -v3, v4, 1.0
	s_delay_alu instid0(VALU_DEP_1) | instskip(SKIP_2) | instid1(VALU_DEP_2)
	v_fmac_f32_e32 v4, v1, v4
	v_div_scale_f32 v10, vcc_lo, 1.0, v9, 1.0
	v_mul_lo_u32 v1, v0, s4
	v_mul_f32_e32 v11, v10, v4
	s_delay_alu instid0(VALU_DEP_2) | instskip(NEXT) | instid1(VALU_DEP_2)
	v_ashrrev_i32_e32 v2, 31, v1
	v_fma_f32 v5, -v3, v11, v10
	s_delay_alu instid0(VALU_DEP_1) | instskip(NEXT) | instid1(VALU_DEP_3)
	v_fmac_f32_e32 v11, v5, v4
	v_lshlrev_b64 v[5:6], 2, v[1:2]
	s_delay_alu instid0(VALU_DEP_2) | instskip(NEXT) | instid1(VALU_DEP_2)
	v_fma_f32 v3, -v3, v11, v10
	v_add_co_u32 v1, s0, s12, v5
	s_delay_alu instid0(VALU_DEP_1) | instskip(NEXT) | instid1(VALU_DEP_3)
	v_add_co_ci_u32_e64 v2, s0, s13, v6, s0
	v_div_fmas_f32 v10, v3, v4, v11
	s_waitcnt lgkmcnt(0)
	v_add_co_u32 v3, vcc_lo, s16, v5
	v_add_co_ci_u32_e32 v4, vcc_lo, s17, v6, vcc_lo
	s_delay_alu instid0(VALU_DEP_3) | instskip(SKIP_2) | instid1(VALU_DEP_3)
	v_div_fixup_f32 v9, v10, v9, 1.0
	v_add_co_u32 v5, vcc_lo, s18, v5
	v_add_co_ci_u32_e32 v6, vcc_lo, s19, v6, vcc_lo
	v_cmp_class_f32_e64 vcc_lo, v9, 0x1f8
	v_mov_b32_e32 v10, v0
	s_mov_b32 s0, s4
	v_cndmask_b32_e32 v9, 0, v9, vcc_lo
	.p2align	6
.LBB271_6:                              ; =>This Inner Loop Header: Depth=1
	global_store_b32 v[1:2], v9, off
	global_store_b32 v[3:4], v8, off
	;; [unrolled: 1-line block ×3, first 2 shown]
	v_add_co_u32 v1, vcc_lo, v1, 4
	v_add_co_ci_u32_e32 v2, vcc_lo, 0, v2, vcc_lo
	v_dual_add_f32 v11, v7, v9 :: v_dual_add_nc_u32 v10, s3, v10
	v_add_co_u32 v3, vcc_lo, v3, 4
	v_add_co_ci_u32_e32 v4, vcc_lo, 0, v4, vcc_lo
	v_add_co_u32 v5, vcc_lo, v5, 4
	s_delay_alu instid0(VALU_DEP_4) | instskip(SKIP_2) | instid1(SALU_CYCLE_1)
	v_cndmask_b32_e64 v7, v7, v11, s2
	v_add_co_ci_u32_e32 v6, vcc_lo, 0, v6, vcc_lo
	s_add_i32 s0, s0, -1
	s_cmp_lg_u32 s0, 0
	s_cbranch_scc1 .LBB271_6
; %bb.7:
	s_and_not1_b32 vcc_lo, exec_lo, s2
	s_cbranch_vccz .LBB271_9
	s_branch .LBB271_12
.LBB271_8:
	v_mov_b32_e32 v7, 0
	s_and_not1_b32 vcc_lo, exec_lo, s2
	s_cbranch_vccnz .LBB271_12
.LBB271_9:
	s_and_not1_b32 vcc_lo, exec_lo, s7
	s_cbranch_vccnz .LBB271_12
; %bb.10:
	v_mul_lo_u32 v0, v0, s4
	v_cmp_lt_f32_e32 vcc_lo, 0, v7
	v_cndmask_b32_e32 v2, 1.0, v7, vcc_lo
	s_delay_alu instid0(VALU_DEP_3) | instskip(NEXT) | instid1(VALU_DEP_1)
	v_ashrrev_i32_e32 v1, 31, v0
	v_lshlrev_b64 v[0:1], 2, v[0:1]
	s_delay_alu instid0(VALU_DEP_1) | instskip(NEXT) | instid1(VALU_DEP_2)
	v_add_co_u32 v0, vcc_lo, s12, v0
	v_add_co_ci_u32_e32 v1, vcc_lo, s13, v1, vcc_lo
	.p2align	6
.LBB271_11:                             ; =>This Inner Loop Header: Depth=1
	global_load_b32 v3, v[0:1], off
	s_add_i32 s4, s4, -1
	s_delay_alu instid0(SALU_CYCLE_1) | instskip(SKIP_3) | instid1(VALU_DEP_2)
	s_cmp_lg_u32 s4, 0
	s_waitcnt vmcnt(0)
	v_div_scale_f32 v4, null, v2, v2, v3
	v_div_scale_f32 v7, vcc_lo, v3, v2, v3
	v_rcp_f32_e32 v5, v4
	s_waitcnt_depctr 0xfff
	v_fma_f32 v6, -v4, v5, 1.0
	s_delay_alu instid0(VALU_DEP_1) | instskip(NEXT) | instid1(VALU_DEP_1)
	v_fmac_f32_e32 v5, v6, v5
	v_mul_f32_e32 v6, v7, v5
	s_delay_alu instid0(VALU_DEP_1) | instskip(NEXT) | instid1(VALU_DEP_1)
	v_fma_f32 v8, -v4, v6, v7
	v_fmac_f32_e32 v6, v8, v5
	s_delay_alu instid0(VALU_DEP_1) | instskip(NEXT) | instid1(VALU_DEP_1)
	v_fma_f32 v4, -v4, v6, v7
	v_div_fmas_f32 v4, v4, v5, v6
	s_delay_alu instid0(VALU_DEP_1)
	v_div_fixup_f32 v3, v4, v2, v3
	global_store_b32 v[0:1], v3, off
	v_add_co_u32 v0, vcc_lo, v0, 4
	v_add_co_ci_u32_e32 v1, vcc_lo, 0, v1, vcc_lo
	s_cbranch_scc1 .LBB271_11
.LBB271_12:
	s_nop 0
	s_sendmsg sendmsg(MSG_DEALLOC_VGPRS)
	s_endpgm
	.section	.rodata,"a",@progbits
	.p2align	6, 0x0
	.amdhsa_kernel _ZN4vllm3moe10topkGatingILi1ELi1ELi4ELi2ELi32Ej6__halfLNS0_11ScoringFuncE1EEEvPKT5_PKbPfiPT4_PiiiibPKf
		.amdhsa_group_segment_fixed_size 0
		.amdhsa_private_segment_fixed_size 0
		.amdhsa_kernarg_size 72
		.amdhsa_user_sgpr_count 15
		.amdhsa_user_sgpr_dispatch_ptr 0
		.amdhsa_user_sgpr_queue_ptr 0
		.amdhsa_user_sgpr_kernarg_segment_ptr 1
		.amdhsa_user_sgpr_dispatch_id 0
		.amdhsa_user_sgpr_private_segment_size 0
		.amdhsa_wavefront_size32 1
		.amdhsa_uses_dynamic_stack 0
		.amdhsa_enable_private_segment 0
		.amdhsa_system_sgpr_workgroup_id_x 1
		.amdhsa_system_sgpr_workgroup_id_y 0
		.amdhsa_system_sgpr_workgroup_id_z 0
		.amdhsa_system_sgpr_workgroup_info 0
		.amdhsa_system_vgpr_workitem_id 1
		.amdhsa_next_free_vgpr 12
		.amdhsa_next_free_sgpr 20
		.amdhsa_reserve_vcc 1
		.amdhsa_float_round_mode_32 0
		.amdhsa_float_round_mode_16_64 0
		.amdhsa_float_denorm_mode_32 3
		.amdhsa_float_denorm_mode_16_64 3
		.amdhsa_dx10_clamp 1
		.amdhsa_ieee_mode 1
		.amdhsa_fp16_overflow 0
		.amdhsa_workgroup_processor_mode 1
		.amdhsa_memory_ordered 1
		.amdhsa_forward_progress 0
		.amdhsa_shared_vgpr_count 0
		.amdhsa_exception_fp_ieee_invalid_op 0
		.amdhsa_exception_fp_denorm_src 0
		.amdhsa_exception_fp_ieee_div_zero 0
		.amdhsa_exception_fp_ieee_overflow 0
		.amdhsa_exception_fp_ieee_underflow 0
		.amdhsa_exception_fp_ieee_inexact 0
		.amdhsa_exception_int_div_zero 0
	.end_amdhsa_kernel
	.section	.text._ZN4vllm3moe10topkGatingILi1ELi1ELi4ELi2ELi32Ej6__halfLNS0_11ScoringFuncE1EEEvPKT5_PKbPfiPT4_PiiiibPKf,"axG",@progbits,_ZN4vllm3moe10topkGatingILi1ELi1ELi4ELi2ELi32Ej6__halfLNS0_11ScoringFuncE1EEEvPKT5_PKbPfiPT4_PiiiibPKf,comdat
.Lfunc_end271:
	.size	_ZN4vllm3moe10topkGatingILi1ELi1ELi4ELi2ELi32Ej6__halfLNS0_11ScoringFuncE1EEEvPKT5_PKbPfiPT4_PiiiibPKf, .Lfunc_end271-_ZN4vllm3moe10topkGatingILi1ELi1ELi4ELi2ELi32Ej6__halfLNS0_11ScoringFuncE1EEEvPKT5_PKbPfiPT4_PiiiibPKf
                                        ; -- End function
	.section	.AMDGPU.csdata,"",@progbits
; Kernel info:
; codeLenInByte = 820
; NumSgprs: 22
; NumVgprs: 12
; ScratchSize: 0
; MemoryBound: 0
; FloatMode: 240
; IeeeMode: 1
; LDSByteSize: 0 bytes/workgroup (compile time only)
; SGPRBlocks: 2
; VGPRBlocks: 1
; NumSGPRsForWavesPerEU: 22
; NumVGPRsForWavesPerEU: 12
; Occupancy: 16
; WaveLimiterHint : 0
; COMPUTE_PGM_RSRC2:SCRATCH_EN: 0
; COMPUTE_PGM_RSRC2:USER_SGPR: 15
; COMPUTE_PGM_RSRC2:TRAP_HANDLER: 0
; COMPUTE_PGM_RSRC2:TGID_X_EN: 1
; COMPUTE_PGM_RSRC2:TGID_Y_EN: 0
; COMPUTE_PGM_RSRC2:TGID_Z_EN: 0
; COMPUTE_PGM_RSRC2:TIDIG_COMP_CNT: 1
	.section	.text._ZN4vllm3moe10topkGatingILi2ELi2ELi4ELi4ELi64Ej6__halfLNS0_11ScoringFuncE1EEEvPKT5_PKbPfiPT4_PiiiibPKf,"axG",@progbits,_ZN4vllm3moe10topkGatingILi2ELi2ELi4ELi4ELi64Ej6__halfLNS0_11ScoringFuncE1EEEvPKT5_PKbPfiPT4_PiiiibPKf,comdat
	.protected	_ZN4vllm3moe10topkGatingILi2ELi2ELi4ELi4ELi64Ej6__halfLNS0_11ScoringFuncE1EEEvPKT5_PKbPfiPT4_PiiiibPKf ; -- Begin function _ZN4vllm3moe10topkGatingILi2ELi2ELi4ELi4ELi64Ej6__halfLNS0_11ScoringFuncE1EEEvPKT5_PKbPfiPT4_PiiiibPKf
	.globl	_ZN4vllm3moe10topkGatingILi2ELi2ELi4ELi4ELi64Ej6__halfLNS0_11ScoringFuncE1EEEvPKT5_PKbPfiPT4_PiiiibPKf
	.p2align	8
	.type	_ZN4vllm3moe10topkGatingILi2ELi2ELi4ELi4ELi64Ej6__halfLNS0_11ScoringFuncE1EEEvPKT5_PKbPfiPT4_PiiiibPKf,@function
_ZN4vllm3moe10topkGatingILi2ELi2ELi4ELi4ELi64Ej6__halfLNS0_11ScoringFuncE1EEEvPKT5_PKbPfiPT4_PiiiibPKf: ; @_ZN4vllm3moe10topkGatingILi2ELi2ELi4ELi4ELi64Ej6__halfLNS0_11ScoringFuncE1EEEvPKT5_PKbPfiPT4_PiiiibPKf
; %bb.0:
	s_load_b32 s3, s[0:1], 0x18
	v_bfe_u32 v1, v0, 10, 10
	v_and_b32_e32 v0, 0x3ff, v0
	s_lshl_b32 s2, s15, 8
	s_delay_alu instid0(VALU_DEP_2) | instskip(NEXT) | instid1(VALU_DEP_1)
	v_lshlrev_b32_e32 v1, 6, v1
	v_add3_u32 v10, v1, v0, s2
	s_mov_b32 s2, exec_lo
	s_waitcnt lgkmcnt(0)
	s_delay_alu instid0(VALU_DEP_1)
	v_cmpx_gt_i32_e64 s3, v10
	s_cbranch_execz .LBB272_14
; %bb.1:
	s_clause 0x1
	s_load_b128 s[4:7], s[0:1], 0x0
	s_load_b64 s[8:9], s[0:1], 0x10
	s_waitcnt lgkmcnt(0)
	s_cmp_eq_u64 s[6:7], 0
	s_cbranch_scc1 .LBB272_3
; %bb.2:
	v_ashrrev_i32_e32 v1, 31, v10
	v_add_co_u32 v0, vcc_lo, s6, v10
	s_delay_alu instid0(VALU_DEP_2) | instskip(SKIP_3) | instid1(VALU_DEP_1)
	v_add_co_ci_u32_e32 v1, vcc_lo, s7, v1, vcc_lo
	global_load_u8 v0, v[0:1], off
	s_waitcnt vmcnt(0)
	v_and_b32_e32 v0, 1, v0
	v_cmp_eq_u32_e32 vcc_lo, 1, v0
	s_xor_b32 s2, vcc_lo, -1
	s_delay_alu instid0(SALU_CYCLE_1)
	s_or_not1_b32 s10, s2, exec_lo
	s_branch .LBB272_4
.LBB272_3:
	s_mov_b32 s10, -1
.LBB272_4:
	v_lshlrev_b32_e32 v0, 1, v10
	s_delay_alu instid0(VALU_DEP_1) | instskip(NEXT) | instid1(VALU_DEP_1)
	v_ashrrev_i32_e32 v1, 31, v0
	v_lshlrev_b64 v[0:1], 1, v[0:1]
	s_delay_alu instid0(VALU_DEP_1) | instskip(NEXT) | instid1(VALU_DEP_2)
	v_add_co_u32 v0, vcc_lo, s4, v0
	v_add_co_ci_u32_e32 v1, vcc_lo, s5, v1, vcc_lo
	s_load_b64 s[4:5], s[0:1], 0x40
	global_load_b32 v0, v[0:1], off
	s_waitcnt lgkmcnt(0)
	s_cmp_eq_u64 s[4:5], 0
	s_waitcnt vmcnt(0)
	v_lshrrev_b32_e32 v1, 16, v0
	v_cvt_f32_f16_e32 v0, v0
	s_delay_alu instid0(VALU_DEP_2) | instskip(NEXT) | instid1(VALU_DEP_1)
	v_cvt_f32_f16_e32 v1, v1
	v_mul_f32_e32 v1, 0xbfb8aa3b, v1
	s_delay_alu instid0(VALU_DEP_1) | instskip(SKIP_2) | instid1(VALU_DEP_1)
	v_exp_f32_e32 v1, v1
	s_waitcnt_depctr 0xfff
	v_dual_mul_f32 v0, 0xbfb8aa3b, v0 :: v_dual_add_f32 v1, 1.0, v1
	v_exp_f32_e32 v0, v0
	s_delay_alu instid0(VALU_DEP_1) | instskip(NEXT) | instid1(VALU_DEP_1)
	v_div_scale_f32 v3, null, v1, v1, 1.0
	v_rcp_f32_e32 v5, v3
	s_waitcnt_depctr 0xfff
	v_fma_f32 v7, -v3, v5, 1.0
	s_delay_alu instid0(VALU_DEP_1) | instskip(NEXT) | instid1(VALU_DEP_1)
	v_dual_add_f32 v0, 1.0, v0 :: v_dual_fmac_f32 v5, v7, v5
	v_div_scale_f32 v2, null, v0, v0, 1.0
	v_div_scale_f32 v8, vcc_lo, 1.0, v0, 1.0
	s_delay_alu instid0(VALU_DEP_2) | instskip(SKIP_2) | instid1(VALU_DEP_1)
	v_rcp_f32_e32 v4, v2
	s_waitcnt_depctr 0xfff
	v_fma_f32 v6, -v2, v4, 1.0
	v_fmac_f32_e32 v4, v6, v4
	v_div_scale_f32 v6, s2, 1.0, v1, 1.0
	s_delay_alu instid0(VALU_DEP_1) | instskip(NEXT) | instid1(VALU_DEP_1)
	v_mul_f32_e32 v9, v6, v5
	v_fma_f32 v12, -v3, v9, v6
	s_delay_alu instid0(VALU_DEP_1) | instskip(SKIP_1) | instid1(VALU_DEP_2)
	v_fmac_f32_e32 v9, v12, v5
	v_mul_f32_e32 v7, v8, v4
	v_fma_f32 v3, -v3, v9, v6
	s_delay_alu instid0(VALU_DEP_2) | instskip(NEXT) | instid1(VALU_DEP_1)
	v_fma_f32 v11, -v2, v7, v8
	v_fmac_f32_e32 v7, v11, v4
	s_delay_alu instid0(VALU_DEP_1) | instskip(NEXT) | instid1(VALU_DEP_1)
	v_fma_f32 v2, -v2, v7, v8
	v_div_fmas_f32 v2, v2, v4, v7
	s_mov_b32 vcc_lo, s2
	v_div_fmas_f32 v3, v3, v5, v9
	s_delay_alu instid0(VALU_DEP_2) | instskip(NEXT) | instid1(VALU_DEP_2)
	v_div_fixup_f32 v0, v2, v0, 1.0
	v_div_fixup_f32 v1, v3, v1, 1.0
	s_delay_alu instid0(VALU_DEP_2) | instskip(SKIP_1) | instid1(VALU_DEP_3)
	v_cmp_class_f32_e64 vcc_lo, v0, 0x1f8
	v_cndmask_b32_e32 v0, 0, v0, vcc_lo
	v_cmp_class_f32_e64 vcc_lo, v1, 0x1f8
	v_cndmask_b32_e32 v1, 0, v1, vcc_lo
	s_delay_alu instid0(VALU_DEP_1)
	v_dual_mov_b32 v3, v1 :: v_dual_mov_b32 v2, v0
	s_cbranch_scc1 .LBB272_6
; %bb.5:
	s_load_b64 s[4:5], s[4:5], 0x0
	s_waitcnt lgkmcnt(0)
	v_dual_add_f32 v2, s4, v0 :: v_dual_add_f32 v3, s5, v1
.LBB272_6:
	s_load_b128 s[4:7], s[0:1], 0x30
	s_waitcnt lgkmcnt(0)
	s_bitcmp1_b32 s7, 0
	s_cselect_b32 vcc_lo, -1, 0
	s_cmp_gt_i32 s4, 0
	s_cselect_b32 s7, -1, 0
	s_cmp_lt_i32 s4, 1
	s_cbranch_scc1 .LBB272_10
; %bb.7:
	v_mul_lo_u32 v4, v10, s4
	s_load_b128 s[12:15], s[0:1], 0x20
	v_dual_mov_b32 v11, 0 :: v_dual_mov_b32 v12, v10
	s_mov_b32 s11, 0
	s_delay_alu instid0(VALU_DEP_2) | instskip(NEXT) | instid1(VALU_DEP_1)
	v_ashrrev_i32_e32 v5, 31, v4
	v_lshlrev_b64 v[8:9], 2, v[4:5]
	s_delay_alu instid0(VALU_DEP_1) | instskip(NEXT) | instid1(VALU_DEP_1)
	v_add_co_u32 v4, s0, s8, v8
	v_add_co_ci_u32_e64 v5, s0, s9, v9, s0
	s_waitcnt lgkmcnt(0)
	v_add_co_u32 v6, s0, s12, v8
	s_delay_alu instid0(VALU_DEP_1) | instskip(SKIP_1) | instid1(VALU_DEP_1)
	v_add_co_ci_u32_e64 v7, s0, s13, v9, s0
	v_add_co_u32 v8, s0, s14, v8
	v_add_co_ci_u32_e64 v9, s0, s15, v9, s0
.LBB272_8:                              ; =>This Inner Loop Header: Depth=1
	v_cmp_gt_f32_e64 s0, v3, v2
	s_add_i32 s11, s11, 1
	s_delay_alu instid0(VALU_DEP_1) | instskip(SKIP_3) | instid1(VALU_DEP_4)
	v_cndmask_b32_e64 v13, 0, 1, s0
	v_cndmask_b32_e64 v14, v0, v1, s0
	;; [unrolled: 1-line block ×4, first 2 shown]
	v_cmp_le_i32_e64 s1, s5, v13
	v_cmp_gt_i32_e64 s2, s6, v13
	v_subrev_nc_u32_e32 v13, s5, v13
	global_store_b32 v[4:5], v14, off
	v_add_f32_e32 v16, v11, v14
	s_and_b32 s1, s1, s2
	s_delay_alu instid0(SALU_CYCLE_1)
	s_and_b32 s1, s10, s1
	s_cmp_lt_i32 s11, s4
	v_cndmask_b32_e64 v13, 2, v13, s1
	s_cselect_b32 s0, -1, 0
	v_cndmask_b32_e32 v11, v11, v16, vcc_lo
	v_cndmask_b32_e64 v3, v3, v17, s0
	v_cndmask_b32_e64 v2, v2, v15, s0
	v_add_co_u32 v4, s0, v4, 4
	s_delay_alu instid0(VALU_DEP_1) | instskip(SKIP_3) | instid1(VALU_DEP_1)
	v_add_co_ci_u32_e64 v5, s0, 0, v5, s0
	global_store_b32 v[6:7], v13, off
	global_store_b32 v[8:9], v12, off
	v_add_co_u32 v6, s0, v6, 4
	v_add_co_ci_u32_e64 v7, s0, 0, v7, s0
	v_add_co_u32 v8, s0, v8, 4
	v_add_nc_u32_e32 v12, s3, v12
	v_add_co_ci_u32_e64 v9, s0, 0, v9, s0
	s_cmp_eq_u32 s4, s11
	s_cbranch_scc0 .LBB272_8
; %bb.9:
	s_and_b32 vcc_lo, exec_lo, vcc_lo
	s_cbranch_vccnz .LBB272_11
	s_branch .LBB272_14
.LBB272_10:
	v_mov_b32_e32 v11, 0
	s_and_b32 vcc_lo, exec_lo, vcc_lo
	s_cbranch_vccz .LBB272_14
.LBB272_11:
	s_and_not1_b32 vcc_lo, exec_lo, s7
	s_cbranch_vccnz .LBB272_14
; %bb.12:
	v_mul_lo_u32 v0, v10, s4
	v_cmp_lt_f32_e32 vcc_lo, 0, v11
	v_cndmask_b32_e32 v2, 1.0, v11, vcc_lo
	s_delay_alu instid0(VALU_DEP_3) | instskip(NEXT) | instid1(VALU_DEP_1)
	v_ashrrev_i32_e32 v1, 31, v0
	v_lshlrev_b64 v[0:1], 2, v[0:1]
	s_delay_alu instid0(VALU_DEP_1) | instskip(NEXT) | instid1(VALU_DEP_2)
	v_add_co_u32 v0, vcc_lo, s8, v0
	v_add_co_ci_u32_e32 v1, vcc_lo, s9, v1, vcc_lo
	.p2align	6
.LBB272_13:                             ; =>This Inner Loop Header: Depth=1
	global_load_b32 v3, v[0:1], off
	s_add_i32 s4, s4, -1
	s_delay_alu instid0(SALU_CYCLE_1) | instskip(SKIP_3) | instid1(VALU_DEP_2)
	s_cmp_lg_u32 s4, 0
	s_waitcnt vmcnt(0)
	v_div_scale_f32 v4, null, v2, v2, v3
	v_div_scale_f32 v7, vcc_lo, v3, v2, v3
	v_rcp_f32_e32 v5, v4
	s_waitcnt_depctr 0xfff
	v_fma_f32 v6, -v4, v5, 1.0
	s_delay_alu instid0(VALU_DEP_1) | instskip(NEXT) | instid1(VALU_DEP_1)
	v_fmac_f32_e32 v5, v6, v5
	v_mul_f32_e32 v6, v7, v5
	s_delay_alu instid0(VALU_DEP_1) | instskip(NEXT) | instid1(VALU_DEP_1)
	v_fma_f32 v8, -v4, v6, v7
	v_fmac_f32_e32 v6, v8, v5
	s_delay_alu instid0(VALU_DEP_1) | instskip(NEXT) | instid1(VALU_DEP_1)
	v_fma_f32 v4, -v4, v6, v7
	v_div_fmas_f32 v4, v4, v5, v6
	s_delay_alu instid0(VALU_DEP_1)
	v_div_fixup_f32 v3, v4, v2, v3
	global_store_b32 v[0:1], v3, off
	v_add_co_u32 v0, vcc_lo, v0, 4
	v_add_co_ci_u32_e32 v1, vcc_lo, 0, v1, vcc_lo
	s_cbranch_scc1 .LBB272_13
.LBB272_14:
	s_nop 0
	s_sendmsg sendmsg(MSG_DEALLOC_VGPRS)
	s_endpgm
	.section	.rodata,"a",@progbits
	.p2align	6, 0x0
	.amdhsa_kernel _ZN4vllm3moe10topkGatingILi2ELi2ELi4ELi4ELi64Ej6__halfLNS0_11ScoringFuncE1EEEvPKT5_PKbPfiPT4_PiiiibPKf
		.amdhsa_group_segment_fixed_size 0
		.amdhsa_private_segment_fixed_size 0
		.amdhsa_kernarg_size 72
		.amdhsa_user_sgpr_count 15
		.amdhsa_user_sgpr_dispatch_ptr 0
		.amdhsa_user_sgpr_queue_ptr 0
		.amdhsa_user_sgpr_kernarg_segment_ptr 1
		.amdhsa_user_sgpr_dispatch_id 0
		.amdhsa_user_sgpr_private_segment_size 0
		.amdhsa_wavefront_size32 1
		.amdhsa_uses_dynamic_stack 0
		.amdhsa_enable_private_segment 0
		.amdhsa_system_sgpr_workgroup_id_x 1
		.amdhsa_system_sgpr_workgroup_id_y 0
		.amdhsa_system_sgpr_workgroup_id_z 0
		.amdhsa_system_sgpr_workgroup_info 0
		.amdhsa_system_vgpr_workitem_id 1
		.amdhsa_next_free_vgpr 18
		.amdhsa_next_free_sgpr 16
		.amdhsa_reserve_vcc 1
		.amdhsa_float_round_mode_32 0
		.amdhsa_float_round_mode_16_64 0
		.amdhsa_float_denorm_mode_32 3
		.amdhsa_float_denorm_mode_16_64 3
		.amdhsa_dx10_clamp 1
		.amdhsa_ieee_mode 1
		.amdhsa_fp16_overflow 0
		.amdhsa_workgroup_processor_mode 1
		.amdhsa_memory_ordered 1
		.amdhsa_forward_progress 0
		.amdhsa_shared_vgpr_count 0
		.amdhsa_exception_fp_ieee_invalid_op 0
		.amdhsa_exception_fp_denorm_src 0
		.amdhsa_exception_fp_ieee_div_zero 0
		.amdhsa_exception_fp_ieee_overflow 0
		.amdhsa_exception_fp_ieee_underflow 0
		.amdhsa_exception_fp_ieee_inexact 0
		.amdhsa_exception_int_div_zero 0
	.end_amdhsa_kernel
	.section	.text._ZN4vllm3moe10topkGatingILi2ELi2ELi4ELi4ELi64Ej6__halfLNS0_11ScoringFuncE1EEEvPKT5_PKbPfiPT4_PiiiibPKf,"axG",@progbits,_ZN4vllm3moe10topkGatingILi2ELi2ELi4ELi4ELi64Ej6__halfLNS0_11ScoringFuncE1EEEvPKT5_PKbPfiPT4_PiiiibPKf,comdat
.Lfunc_end272:
	.size	_ZN4vllm3moe10topkGatingILi2ELi2ELi4ELi4ELi64Ej6__halfLNS0_11ScoringFuncE1EEEvPKT5_PKbPfiPT4_PiiiibPKf, .Lfunc_end272-_ZN4vllm3moe10topkGatingILi2ELi2ELi4ELi4ELi64Ej6__halfLNS0_11ScoringFuncE1EEEvPKT5_PKbPfiPT4_PiiiibPKf
                                        ; -- End function
	.section	.AMDGPU.csdata,"",@progbits
; Kernel info:
; codeLenInByte = 1128
; NumSgprs: 18
; NumVgprs: 18
; ScratchSize: 0
; MemoryBound: 0
; FloatMode: 240
; IeeeMode: 1
; LDSByteSize: 0 bytes/workgroup (compile time only)
; SGPRBlocks: 2
; VGPRBlocks: 2
; NumSGPRsForWavesPerEU: 18
; NumVGPRsForWavesPerEU: 18
; Occupancy: 16
; WaveLimiterHint : 0
; COMPUTE_PGM_RSRC2:SCRATCH_EN: 0
; COMPUTE_PGM_RSRC2:USER_SGPR: 15
; COMPUTE_PGM_RSRC2:TRAP_HANDLER: 0
; COMPUTE_PGM_RSRC2:TGID_X_EN: 1
; COMPUTE_PGM_RSRC2:TGID_Y_EN: 0
; COMPUTE_PGM_RSRC2:TGID_Z_EN: 0
; COMPUTE_PGM_RSRC2:TIDIG_COMP_CNT: 1
	.section	.text._ZN4vllm3moe10topkGatingILi2ELi2ELi4ELi4ELi32Ej6__halfLNS0_11ScoringFuncE1EEEvPKT5_PKbPfiPT4_PiiiibPKf,"axG",@progbits,_ZN4vllm3moe10topkGatingILi2ELi2ELi4ELi4ELi32Ej6__halfLNS0_11ScoringFuncE1EEEvPKT5_PKbPfiPT4_PiiiibPKf,comdat
	.protected	_ZN4vllm3moe10topkGatingILi2ELi2ELi4ELi4ELi32Ej6__halfLNS0_11ScoringFuncE1EEEvPKT5_PKbPfiPT4_PiiiibPKf ; -- Begin function _ZN4vllm3moe10topkGatingILi2ELi2ELi4ELi4ELi32Ej6__halfLNS0_11ScoringFuncE1EEEvPKT5_PKbPfiPT4_PiiiibPKf
	.globl	_ZN4vllm3moe10topkGatingILi2ELi2ELi4ELi4ELi32Ej6__halfLNS0_11ScoringFuncE1EEEvPKT5_PKbPfiPT4_PiiiibPKf
	.p2align	8
	.type	_ZN4vllm3moe10topkGatingILi2ELi2ELi4ELi4ELi32Ej6__halfLNS0_11ScoringFuncE1EEEvPKT5_PKbPfiPT4_PiiiibPKf,@function
_ZN4vllm3moe10topkGatingILi2ELi2ELi4ELi4ELi32Ej6__halfLNS0_11ScoringFuncE1EEEvPKT5_PKbPfiPT4_PiiiibPKf: ; @_ZN4vllm3moe10topkGatingILi2ELi2ELi4ELi4ELi32Ej6__halfLNS0_11ScoringFuncE1EEEvPKT5_PKbPfiPT4_PiiiibPKf
; %bb.0:
	s_load_b32 s3, s[0:1], 0x18
	v_bfe_u32 v1, v0, 10, 10
	v_and_b32_e32 v0, 0x3ff, v0
	s_lshl_b32 s2, s15, 7
	s_delay_alu instid0(VALU_DEP_2) | instskip(NEXT) | instid1(VALU_DEP_1)
	v_lshlrev_b32_e32 v1, 5, v1
	v_add3_u32 v10, v1, v0, s2
	s_mov_b32 s2, exec_lo
	s_waitcnt lgkmcnt(0)
	s_delay_alu instid0(VALU_DEP_1)
	v_cmpx_gt_i32_e64 s3, v10
	s_cbranch_execz .LBB273_14
; %bb.1:
	s_clause 0x1
	s_load_b128 s[4:7], s[0:1], 0x0
	s_load_b64 s[8:9], s[0:1], 0x10
	s_waitcnt lgkmcnt(0)
	s_cmp_eq_u64 s[6:7], 0
	s_cbranch_scc1 .LBB273_3
; %bb.2:
	v_ashrrev_i32_e32 v1, 31, v10
	v_add_co_u32 v0, vcc_lo, s6, v10
	s_delay_alu instid0(VALU_DEP_2) | instskip(SKIP_3) | instid1(VALU_DEP_1)
	v_add_co_ci_u32_e32 v1, vcc_lo, s7, v1, vcc_lo
	global_load_u8 v0, v[0:1], off
	s_waitcnt vmcnt(0)
	v_and_b32_e32 v0, 1, v0
	v_cmp_eq_u32_e32 vcc_lo, 1, v0
	s_xor_b32 s2, vcc_lo, -1
	s_delay_alu instid0(SALU_CYCLE_1)
	s_or_not1_b32 s10, s2, exec_lo
	s_branch .LBB273_4
.LBB273_3:
	s_mov_b32 s10, -1
.LBB273_4:
	v_lshlrev_b32_e32 v0, 1, v10
	s_delay_alu instid0(VALU_DEP_1) | instskip(NEXT) | instid1(VALU_DEP_1)
	v_ashrrev_i32_e32 v1, 31, v0
	v_lshlrev_b64 v[0:1], 1, v[0:1]
	s_delay_alu instid0(VALU_DEP_1) | instskip(NEXT) | instid1(VALU_DEP_2)
	v_add_co_u32 v0, vcc_lo, s4, v0
	v_add_co_ci_u32_e32 v1, vcc_lo, s5, v1, vcc_lo
	s_load_b64 s[4:5], s[0:1], 0x40
	global_load_b32 v0, v[0:1], off
	s_waitcnt lgkmcnt(0)
	s_cmp_eq_u64 s[4:5], 0
	s_waitcnt vmcnt(0)
	v_lshrrev_b32_e32 v1, 16, v0
	v_cvt_f32_f16_e32 v0, v0
	s_delay_alu instid0(VALU_DEP_2) | instskip(NEXT) | instid1(VALU_DEP_1)
	v_cvt_f32_f16_e32 v1, v1
	v_mul_f32_e32 v1, 0xbfb8aa3b, v1
	s_delay_alu instid0(VALU_DEP_1) | instskip(SKIP_2) | instid1(VALU_DEP_1)
	v_exp_f32_e32 v1, v1
	s_waitcnt_depctr 0xfff
	v_dual_mul_f32 v0, 0xbfb8aa3b, v0 :: v_dual_add_f32 v1, 1.0, v1
	v_exp_f32_e32 v0, v0
	s_delay_alu instid0(VALU_DEP_1) | instskip(NEXT) | instid1(VALU_DEP_1)
	v_div_scale_f32 v3, null, v1, v1, 1.0
	v_rcp_f32_e32 v5, v3
	s_waitcnt_depctr 0xfff
	v_fma_f32 v7, -v3, v5, 1.0
	s_delay_alu instid0(VALU_DEP_1) | instskip(NEXT) | instid1(VALU_DEP_1)
	v_dual_add_f32 v0, 1.0, v0 :: v_dual_fmac_f32 v5, v7, v5
	v_div_scale_f32 v2, null, v0, v0, 1.0
	v_div_scale_f32 v8, vcc_lo, 1.0, v0, 1.0
	s_delay_alu instid0(VALU_DEP_2) | instskip(SKIP_2) | instid1(VALU_DEP_1)
	v_rcp_f32_e32 v4, v2
	s_waitcnt_depctr 0xfff
	v_fma_f32 v6, -v2, v4, 1.0
	v_fmac_f32_e32 v4, v6, v4
	v_div_scale_f32 v6, s2, 1.0, v1, 1.0
	s_delay_alu instid0(VALU_DEP_1) | instskip(NEXT) | instid1(VALU_DEP_1)
	v_mul_f32_e32 v9, v6, v5
	v_fma_f32 v12, -v3, v9, v6
	s_delay_alu instid0(VALU_DEP_1) | instskip(SKIP_1) | instid1(VALU_DEP_2)
	v_fmac_f32_e32 v9, v12, v5
	v_mul_f32_e32 v7, v8, v4
	v_fma_f32 v3, -v3, v9, v6
	s_delay_alu instid0(VALU_DEP_2) | instskip(NEXT) | instid1(VALU_DEP_1)
	v_fma_f32 v11, -v2, v7, v8
	v_fmac_f32_e32 v7, v11, v4
	s_delay_alu instid0(VALU_DEP_1) | instskip(NEXT) | instid1(VALU_DEP_1)
	v_fma_f32 v2, -v2, v7, v8
	v_div_fmas_f32 v2, v2, v4, v7
	s_mov_b32 vcc_lo, s2
	v_div_fmas_f32 v3, v3, v5, v9
	s_delay_alu instid0(VALU_DEP_2) | instskip(NEXT) | instid1(VALU_DEP_2)
	v_div_fixup_f32 v0, v2, v0, 1.0
	v_div_fixup_f32 v1, v3, v1, 1.0
	s_delay_alu instid0(VALU_DEP_2) | instskip(SKIP_1) | instid1(VALU_DEP_3)
	v_cmp_class_f32_e64 vcc_lo, v0, 0x1f8
	v_cndmask_b32_e32 v0, 0, v0, vcc_lo
	v_cmp_class_f32_e64 vcc_lo, v1, 0x1f8
	v_cndmask_b32_e32 v1, 0, v1, vcc_lo
	s_delay_alu instid0(VALU_DEP_1)
	v_dual_mov_b32 v3, v1 :: v_dual_mov_b32 v2, v0
	s_cbranch_scc1 .LBB273_6
; %bb.5:
	s_load_b64 s[4:5], s[4:5], 0x0
	s_waitcnt lgkmcnt(0)
	v_dual_add_f32 v2, s4, v0 :: v_dual_add_f32 v3, s5, v1
.LBB273_6:
	s_load_b128 s[4:7], s[0:1], 0x30
	s_waitcnt lgkmcnt(0)
	s_bitcmp1_b32 s7, 0
	s_cselect_b32 vcc_lo, -1, 0
	s_cmp_gt_i32 s4, 0
	s_cselect_b32 s7, -1, 0
	s_cmp_lt_i32 s4, 1
	s_cbranch_scc1 .LBB273_10
; %bb.7:
	v_mul_lo_u32 v4, v10, s4
	s_load_b128 s[12:15], s[0:1], 0x20
	v_dual_mov_b32 v11, 0 :: v_dual_mov_b32 v12, v10
	s_mov_b32 s11, 0
	s_delay_alu instid0(VALU_DEP_2) | instskip(NEXT) | instid1(VALU_DEP_1)
	v_ashrrev_i32_e32 v5, 31, v4
	v_lshlrev_b64 v[8:9], 2, v[4:5]
	s_delay_alu instid0(VALU_DEP_1) | instskip(NEXT) | instid1(VALU_DEP_1)
	v_add_co_u32 v4, s0, s8, v8
	v_add_co_ci_u32_e64 v5, s0, s9, v9, s0
	s_waitcnt lgkmcnt(0)
	v_add_co_u32 v6, s0, s12, v8
	s_delay_alu instid0(VALU_DEP_1) | instskip(SKIP_1) | instid1(VALU_DEP_1)
	v_add_co_ci_u32_e64 v7, s0, s13, v9, s0
	v_add_co_u32 v8, s0, s14, v8
	v_add_co_ci_u32_e64 v9, s0, s15, v9, s0
.LBB273_8:                              ; =>This Inner Loop Header: Depth=1
	v_cmp_gt_f32_e64 s0, v3, v2
	s_add_i32 s11, s11, 1
	s_delay_alu instid0(VALU_DEP_1) | instskip(SKIP_3) | instid1(VALU_DEP_4)
	v_cndmask_b32_e64 v13, 0, 1, s0
	v_cndmask_b32_e64 v14, v0, v1, s0
	;; [unrolled: 1-line block ×4, first 2 shown]
	v_cmp_le_i32_e64 s1, s5, v13
	v_cmp_gt_i32_e64 s2, s6, v13
	v_subrev_nc_u32_e32 v13, s5, v13
	global_store_b32 v[4:5], v14, off
	v_add_f32_e32 v16, v11, v14
	s_and_b32 s1, s1, s2
	s_delay_alu instid0(SALU_CYCLE_1)
	s_and_b32 s1, s10, s1
	s_cmp_lt_i32 s11, s4
	v_cndmask_b32_e64 v13, 2, v13, s1
	s_cselect_b32 s0, -1, 0
	v_cndmask_b32_e32 v11, v11, v16, vcc_lo
	v_cndmask_b32_e64 v3, v3, v17, s0
	v_cndmask_b32_e64 v2, v2, v15, s0
	v_add_co_u32 v4, s0, v4, 4
	s_delay_alu instid0(VALU_DEP_1) | instskip(SKIP_3) | instid1(VALU_DEP_1)
	v_add_co_ci_u32_e64 v5, s0, 0, v5, s0
	global_store_b32 v[6:7], v13, off
	global_store_b32 v[8:9], v12, off
	v_add_co_u32 v6, s0, v6, 4
	v_add_co_ci_u32_e64 v7, s0, 0, v7, s0
	v_add_co_u32 v8, s0, v8, 4
	v_add_nc_u32_e32 v12, s3, v12
	v_add_co_ci_u32_e64 v9, s0, 0, v9, s0
	s_cmp_eq_u32 s4, s11
	s_cbranch_scc0 .LBB273_8
; %bb.9:
	s_and_b32 vcc_lo, exec_lo, vcc_lo
	s_cbranch_vccnz .LBB273_11
	s_branch .LBB273_14
.LBB273_10:
	v_mov_b32_e32 v11, 0
	s_and_b32 vcc_lo, exec_lo, vcc_lo
	s_cbranch_vccz .LBB273_14
.LBB273_11:
	s_and_not1_b32 vcc_lo, exec_lo, s7
	s_cbranch_vccnz .LBB273_14
; %bb.12:
	v_mul_lo_u32 v0, v10, s4
	v_cmp_lt_f32_e32 vcc_lo, 0, v11
	v_cndmask_b32_e32 v2, 1.0, v11, vcc_lo
	s_delay_alu instid0(VALU_DEP_3) | instskip(NEXT) | instid1(VALU_DEP_1)
	v_ashrrev_i32_e32 v1, 31, v0
	v_lshlrev_b64 v[0:1], 2, v[0:1]
	s_delay_alu instid0(VALU_DEP_1) | instskip(NEXT) | instid1(VALU_DEP_2)
	v_add_co_u32 v0, vcc_lo, s8, v0
	v_add_co_ci_u32_e32 v1, vcc_lo, s9, v1, vcc_lo
	.p2align	6
.LBB273_13:                             ; =>This Inner Loop Header: Depth=1
	global_load_b32 v3, v[0:1], off
	s_add_i32 s4, s4, -1
	s_delay_alu instid0(SALU_CYCLE_1) | instskip(SKIP_3) | instid1(VALU_DEP_2)
	s_cmp_lg_u32 s4, 0
	s_waitcnt vmcnt(0)
	v_div_scale_f32 v4, null, v2, v2, v3
	v_div_scale_f32 v7, vcc_lo, v3, v2, v3
	v_rcp_f32_e32 v5, v4
	s_waitcnt_depctr 0xfff
	v_fma_f32 v6, -v4, v5, 1.0
	s_delay_alu instid0(VALU_DEP_1) | instskip(NEXT) | instid1(VALU_DEP_1)
	v_fmac_f32_e32 v5, v6, v5
	v_mul_f32_e32 v6, v7, v5
	s_delay_alu instid0(VALU_DEP_1) | instskip(NEXT) | instid1(VALU_DEP_1)
	v_fma_f32 v8, -v4, v6, v7
	v_fmac_f32_e32 v6, v8, v5
	s_delay_alu instid0(VALU_DEP_1) | instskip(NEXT) | instid1(VALU_DEP_1)
	v_fma_f32 v4, -v4, v6, v7
	v_div_fmas_f32 v4, v4, v5, v6
	s_delay_alu instid0(VALU_DEP_1)
	v_div_fixup_f32 v3, v4, v2, v3
	global_store_b32 v[0:1], v3, off
	v_add_co_u32 v0, vcc_lo, v0, 4
	v_add_co_ci_u32_e32 v1, vcc_lo, 0, v1, vcc_lo
	s_cbranch_scc1 .LBB273_13
.LBB273_14:
	s_nop 0
	s_sendmsg sendmsg(MSG_DEALLOC_VGPRS)
	s_endpgm
	.section	.rodata,"a",@progbits
	.p2align	6, 0x0
	.amdhsa_kernel _ZN4vllm3moe10topkGatingILi2ELi2ELi4ELi4ELi32Ej6__halfLNS0_11ScoringFuncE1EEEvPKT5_PKbPfiPT4_PiiiibPKf
		.amdhsa_group_segment_fixed_size 0
		.amdhsa_private_segment_fixed_size 0
		.amdhsa_kernarg_size 72
		.amdhsa_user_sgpr_count 15
		.amdhsa_user_sgpr_dispatch_ptr 0
		.amdhsa_user_sgpr_queue_ptr 0
		.amdhsa_user_sgpr_kernarg_segment_ptr 1
		.amdhsa_user_sgpr_dispatch_id 0
		.amdhsa_user_sgpr_private_segment_size 0
		.amdhsa_wavefront_size32 1
		.amdhsa_uses_dynamic_stack 0
		.amdhsa_enable_private_segment 0
		.amdhsa_system_sgpr_workgroup_id_x 1
		.amdhsa_system_sgpr_workgroup_id_y 0
		.amdhsa_system_sgpr_workgroup_id_z 0
		.amdhsa_system_sgpr_workgroup_info 0
		.amdhsa_system_vgpr_workitem_id 1
		.amdhsa_next_free_vgpr 18
		.amdhsa_next_free_sgpr 16
		.amdhsa_reserve_vcc 1
		.amdhsa_float_round_mode_32 0
		.amdhsa_float_round_mode_16_64 0
		.amdhsa_float_denorm_mode_32 3
		.amdhsa_float_denorm_mode_16_64 3
		.amdhsa_dx10_clamp 1
		.amdhsa_ieee_mode 1
		.amdhsa_fp16_overflow 0
		.amdhsa_workgroup_processor_mode 1
		.amdhsa_memory_ordered 1
		.amdhsa_forward_progress 0
		.amdhsa_shared_vgpr_count 0
		.amdhsa_exception_fp_ieee_invalid_op 0
		.amdhsa_exception_fp_denorm_src 0
		.amdhsa_exception_fp_ieee_div_zero 0
		.amdhsa_exception_fp_ieee_overflow 0
		.amdhsa_exception_fp_ieee_underflow 0
		.amdhsa_exception_fp_ieee_inexact 0
		.amdhsa_exception_int_div_zero 0
	.end_amdhsa_kernel
	.section	.text._ZN4vllm3moe10topkGatingILi2ELi2ELi4ELi4ELi32Ej6__halfLNS0_11ScoringFuncE1EEEvPKT5_PKbPfiPT4_PiiiibPKf,"axG",@progbits,_ZN4vllm3moe10topkGatingILi2ELi2ELi4ELi4ELi32Ej6__halfLNS0_11ScoringFuncE1EEEvPKT5_PKbPfiPT4_PiiiibPKf,comdat
.Lfunc_end273:
	.size	_ZN4vllm3moe10topkGatingILi2ELi2ELi4ELi4ELi32Ej6__halfLNS0_11ScoringFuncE1EEEvPKT5_PKbPfiPT4_PiiiibPKf, .Lfunc_end273-_ZN4vllm3moe10topkGatingILi2ELi2ELi4ELi4ELi32Ej6__halfLNS0_11ScoringFuncE1EEEvPKT5_PKbPfiPT4_PiiiibPKf
                                        ; -- End function
	.section	.AMDGPU.csdata,"",@progbits
; Kernel info:
; codeLenInByte = 1128
; NumSgprs: 18
; NumVgprs: 18
; ScratchSize: 0
; MemoryBound: 0
; FloatMode: 240
; IeeeMode: 1
; LDSByteSize: 0 bytes/workgroup (compile time only)
; SGPRBlocks: 2
; VGPRBlocks: 2
; NumSGPRsForWavesPerEU: 18
; NumVGPRsForWavesPerEU: 18
; Occupancy: 16
; WaveLimiterHint : 0
; COMPUTE_PGM_RSRC2:SCRATCH_EN: 0
; COMPUTE_PGM_RSRC2:USER_SGPR: 15
; COMPUTE_PGM_RSRC2:TRAP_HANDLER: 0
; COMPUTE_PGM_RSRC2:TGID_X_EN: 1
; COMPUTE_PGM_RSRC2:TGID_Y_EN: 0
; COMPUTE_PGM_RSRC2:TGID_Z_EN: 0
; COMPUTE_PGM_RSRC2:TIDIG_COMP_CNT: 1
	.section	.text._ZN4vllm3moe10topkGatingILi4ELi4ELi4ELi8ELi64Ej6__halfLNS0_11ScoringFuncE1EEEvPKT5_PKbPfiPT4_PiiiibPKf,"axG",@progbits,_ZN4vllm3moe10topkGatingILi4ELi4ELi4ELi8ELi64Ej6__halfLNS0_11ScoringFuncE1EEEvPKT5_PKbPfiPT4_PiiiibPKf,comdat
	.protected	_ZN4vllm3moe10topkGatingILi4ELi4ELi4ELi8ELi64Ej6__halfLNS0_11ScoringFuncE1EEEvPKT5_PKbPfiPT4_PiiiibPKf ; -- Begin function _ZN4vllm3moe10topkGatingILi4ELi4ELi4ELi8ELi64Ej6__halfLNS0_11ScoringFuncE1EEEvPKT5_PKbPfiPT4_PiiiibPKf
	.globl	_ZN4vllm3moe10topkGatingILi4ELi4ELi4ELi8ELi64Ej6__halfLNS0_11ScoringFuncE1EEEvPKT5_PKbPfiPT4_PiiiibPKf
	.p2align	8
	.type	_ZN4vllm3moe10topkGatingILi4ELi4ELi4ELi8ELi64Ej6__halfLNS0_11ScoringFuncE1EEEvPKT5_PKbPfiPT4_PiiiibPKf,@function
_ZN4vllm3moe10topkGatingILi4ELi4ELi4ELi8ELi64Ej6__halfLNS0_11ScoringFuncE1EEEvPKT5_PKbPfiPT4_PiiiibPKf: ; @_ZN4vllm3moe10topkGatingILi4ELi4ELi4ELi8ELi64Ej6__halfLNS0_11ScoringFuncE1EEEvPKT5_PKbPfiPT4_PiiiibPKf
; %bb.0:
	s_load_b32 s10, s[0:1], 0x18
	v_bfe_u32 v1, v0, 10, 10
	v_and_b32_e32 v0, 0x3ff, v0
	s_lshl_b32 s2, s15, 8
	s_delay_alu instid0(VALU_DEP_2) | instskip(NEXT) | instid1(VALU_DEP_1)
	v_lshlrev_b32_e32 v1, 6, v1
	v_add3_u32 v14, v1, v0, s2
	s_mov_b32 s2, exec_lo
	s_waitcnt lgkmcnt(0)
	s_delay_alu instid0(VALU_DEP_1)
	v_cmpx_gt_i32_e64 s10, v14
	s_cbranch_execz .LBB274_15
; %bb.1:
	s_clause 0x1
	s_load_b128 s[4:7], s[0:1], 0x0
	s_load_b64 s[8:9], s[0:1], 0x10
	s_mov_b32 s12, -1
	s_mov_b32 s11, -1
	s_waitcnt lgkmcnt(0)
	s_cmp_eq_u64 s[6:7], 0
	s_cbranch_scc1 .LBB274_3
; %bb.2:
	v_ashrrev_i32_e32 v1, 31, v14
	v_add_co_u32 v0, vcc_lo, s6, v14
	s_delay_alu instid0(VALU_DEP_2) | instskip(SKIP_3) | instid1(VALU_DEP_1)
	v_add_co_ci_u32_e32 v1, vcc_lo, s7, v1, vcc_lo
	global_load_u8 v0, v[0:1], off
	s_waitcnt vmcnt(0)
	v_and_b32_e32 v0, 1, v0
	v_cmp_eq_u32_e32 vcc_lo, 1, v0
	s_xor_b32 s2, vcc_lo, -1
	s_delay_alu instid0(SALU_CYCLE_1)
	s_or_not1_b32 s11, s2, exec_lo
.LBB274_3:
	v_lshlrev_b32_e32 v0, 2, v14
	s_load_b64 s[6:7], s[0:1], 0x40
	s_delay_alu instid0(VALU_DEP_1) | instskip(NEXT) | instid1(VALU_DEP_1)
	v_ashrrev_i32_e32 v1, 31, v0
	v_lshlrev_b64 v[0:1], 1, v[0:1]
	s_delay_alu instid0(VALU_DEP_1) | instskip(NEXT) | instid1(VALU_DEP_2)
	v_add_co_u32 v0, vcc_lo, s4, v0
	v_add_co_ci_u32_e32 v1, vcc_lo, s5, v1, vcc_lo
	s_waitcnt lgkmcnt(0)
	s_cmp_eq_u64 s[6:7], 0
	global_load_b64 v[0:1], v[0:1], off
	s_waitcnt vmcnt(0)
	v_cvt_f32_f16_e32 v3, v1
	v_cvt_f32_f16_e32 v2, v0
	v_lshrrev_b32_e32 v1, 16, v1
	v_lshrrev_b32_e32 v0, 16, v0
	s_delay_alu instid0(VALU_DEP_4) | instskip(NEXT) | instid1(VALU_DEP_3)
	v_mul_f32_e32 v3, 0xbfb8aa3b, v3
	v_cvt_f32_f16_e32 v1, v1
	v_mul_f32_e32 v2, 0xbfb8aa3b, v2
	s_delay_alu instid0(VALU_DEP_4) | instskip(NEXT) | instid1(VALU_DEP_4)
	v_cvt_f32_f16_e32 v0, v0
	v_exp_f32_e32 v3, v3
	s_delay_alu instid0(VALU_DEP_3) | instskip(NEXT) | instid1(VALU_DEP_3)
	v_mul_f32_e32 v1, 0xbfb8aa3b, v1
	v_exp_f32_e32 v2, v2
	s_delay_alu instid0(VALU_DEP_2) | instskip(NEXT) | instid1(VALU_DEP_2)
	v_mul_f32_e32 v0, 0xbfb8aa3b, v0
	v_exp_f32_e32 v1, v1
	s_delay_alu instid0(TRANS32_DEP_3) | instskip(NEXT) | instid1(VALU_DEP_2)
	v_add_f32_e32 v3, 1.0, v3
	v_exp_f32_e32 v0, v0
	s_delay_alu instid0(TRANS32_DEP_3) | instskip(NEXT) | instid1(VALU_DEP_2)
	v_add_f32_e32 v2, 1.0, v2
	v_div_scale_f32 v5, null, v3, v3, 1.0
	s_waitcnt_depctr 0xfff
	v_add_f32_e32 v1, 1.0, v1
	v_div_scale_f32 v4, null, v2, v2, 1.0
	v_rcp_f32_e32 v9, v5
	v_div_scale_f32 v12, vcc_lo, 1.0, v2, 1.0
	s_delay_alu instid0(VALU_DEP_2)
	v_rcp_f32_e32 v6, v4
	v_div_scale_f32 v8, null, v1, v1, 1.0
	v_div_scale_f32 v15, s2, 1.0, v3, 1.0
	v_div_scale_f32 v19, s4, 1.0, v1, 1.0
	s_waitcnt_depctr 0xfff
	v_fma_f32 v17, -v5, v9, 1.0
	v_add_f32_e32 v0, 1.0, v0
	v_rcp_f32_e32 v11, v8
	v_fma_f32 v13, -v4, v6, 1.0
	s_delay_alu instid0(VALU_DEP_3) | instskip(NEXT) | instid1(VALU_DEP_3)
	v_fmac_f32_e32 v9, v17, v9
	v_div_scale_f32 v7, null, v0, v0, 1.0
	v_div_scale_f32 v16, s3, 1.0, v0, 1.0
	s_delay_alu instid0(VALU_DEP_2) | instskip(SKIP_2) | instid1(VALU_DEP_1)
	v_rcp_f32_e32 v10, v7
	s_waitcnt_depctr 0xfff
	v_fma_f32 v18, -v8, v11, 1.0
	v_dual_fmac_f32 v6, v13, v6 :: v_dual_fmac_f32 v11, v18, v11
	s_delay_alu instid0(VALU_DEP_1) | instskip(SKIP_1) | instid1(VALU_DEP_3)
	v_mul_f32_e32 v17, v12, v6
	v_fma_f32 v13, -v7, v10, 1.0
	v_mul_f32_e32 v21, v19, v11
	s_delay_alu instid0(VALU_DEP_3) | instskip(NEXT) | instid1(VALU_DEP_3)
	v_fma_f32 v18, -v4, v17, v12
	v_dual_fmac_f32 v10, v13, v10 :: v_dual_mul_f32 v13, v15, v9
	s_delay_alu instid0(VALU_DEP_2) | instskip(NEXT) | instid1(VALU_DEP_4)
	v_fmac_f32_e32 v17, v18, v6
	v_fma_f32 v23, -v8, v21, v19
	s_delay_alu instid0(VALU_DEP_3) | instskip(NEXT) | instid1(VALU_DEP_4)
	v_mul_f32_e32 v20, v16, v10
	v_fma_f32 v22, -v5, v13, v15
	s_delay_alu instid0(VALU_DEP_4) | instskip(NEXT) | instid1(VALU_DEP_4)
	v_fma_f32 v4, -v4, v17, v12
	v_fmac_f32_e32 v21, v23, v11
	s_delay_alu instid0(VALU_DEP_4) | instskip(NEXT) | instid1(VALU_DEP_3)
	v_fma_f32 v18, -v7, v20, v16
	v_div_fmas_f32 v4, v4, v6, v17
	s_mov_b32 vcc_lo, s3
	s_delay_alu instid0(VALU_DEP_2) | instskip(NEXT) | instid1(VALU_DEP_2)
	v_fmac_f32_e32 v20, v18, v10
	v_div_fixup_f32 v2, v4, v2, 1.0
	v_fmac_f32_e32 v13, v22, v9
	s_delay_alu instid0(VALU_DEP_3) | instskip(SKIP_1) | instid1(VALU_DEP_3)
	v_fma_f32 v6, -v7, v20, v16
	v_fma_f32 v7, -v8, v21, v19
	;; [unrolled: 1-line block ×3, first 2 shown]
	s_delay_alu instid0(VALU_DEP_3) | instskip(SKIP_1) | instid1(VALU_DEP_2)
	v_div_fmas_f32 v4, v6, v10, v20
	s_mov_b32 vcc_lo, s2
	v_div_fmas_f32 v5, v5, v9, v13
	s_mov_b32 vcc_lo, s4
	s_delay_alu instid0(VALU_DEP_2) | instskip(SKIP_3) | instid1(VALU_DEP_3)
	v_div_fixup_f32 v4, v4, v0, 1.0
	v_div_fmas_f32 v6, v7, v11, v21
	v_cmp_class_f32_e64 vcc_lo, v2, 0x1f8
	v_div_fixup_f32 v3, v5, v3, 1.0
	v_div_fixup_f32 v5, v6, v1, 1.0
	v_cndmask_b32_e32 v0, 0, v2, vcc_lo
	v_cmp_class_f32_e64 vcc_lo, v4, 0x1f8
	v_cndmask_b32_e32 v1, 0, v4, vcc_lo
	v_cmp_class_f32_e64 vcc_lo, v3, 0x1f8
	;; [unrolled: 2-line block ×3, first 2 shown]
	v_cndmask_b32_e32 v3, 0, v5, vcc_lo
	s_cbranch_scc1 .LBB274_10
; %bb.4:
	s_load_b128 s[4:7], s[6:7], 0x0
	s_waitcnt lgkmcnt(0)
	v_dual_add_f32 v4, s4, v0 :: v_dual_add_f32 v5, s5, v1
	v_dual_add_f32 v6, s6, v2 :: v_dual_add_f32 v7, s7, v3
	s_cbranch_execnz .LBB274_6
.LBB274_5:
	v_dual_mov_b32 v7, v3 :: v_dual_mov_b32 v6, v2
	v_dual_mov_b32 v5, v1 :: v_dual_mov_b32 v4, v0
.LBB274_6:
	s_load_b128 s[4:7], s[0:1], 0x30
	s_waitcnt lgkmcnt(0)
	s_bitcmp1_b32 s7, 0
	s_mov_b32 s7, 0
	s_cselect_b32 vcc_lo, -1, 0
	s_cmp_gt_i32 s4, 0
	s_cselect_b32 s3, -1, 0
	s_cmp_lt_i32 s4, 1
	s_cbranch_scc1 .LBB274_11
; %bb.7:
	v_mul_lo_u32 v8, v14, s4
	s_load_b128 s[12:15], s[0:1], 0x20
	v_dual_mov_b32 v15, 0 :: v_dual_mov_b32 v16, v14
	s_delay_alu instid0(VALU_DEP_2) | instskip(NEXT) | instid1(VALU_DEP_1)
	v_ashrrev_i32_e32 v9, 31, v8
	v_lshlrev_b64 v[12:13], 2, v[8:9]
	s_delay_alu instid0(VALU_DEP_1) | instskip(NEXT) | instid1(VALU_DEP_1)
	v_add_co_u32 v8, s0, s8, v12
	v_add_co_ci_u32_e64 v9, s0, s9, v13, s0
	s_waitcnt lgkmcnt(0)
	v_add_co_u32 v10, s0, s12, v12
	s_delay_alu instid0(VALU_DEP_1) | instskip(SKIP_1) | instid1(VALU_DEP_1)
	v_add_co_ci_u32_e64 v11, s0, s13, v13, s0
	v_add_co_u32 v12, s0, s14, v12
	v_add_co_ci_u32_e64 v13, s0, s15, v13, s0
.LBB274_8:                              ; =>This Inner Loop Header: Depth=1
	v_cmp_gt_f32_e64 s0, v5, v4
	s_add_i32 s7, s7, 1
	s_delay_alu instid0(VALU_DEP_1) | instskip(SKIP_2) | instid1(VALU_DEP_3)
	v_cndmask_b32_e64 v18, v4, v5, s0
	v_cndmask_b32_e64 v17, 0, 1, s0
	;; [unrolled: 1-line block ×3, first 2 shown]
	v_cmp_gt_f32_e64 s1, v6, v18
	s_delay_alu instid0(VALU_DEP_1) | instskip(NEXT) | instid1(VALU_DEP_4)
	v_cndmask_b32_e64 v18, v18, v6, s1
	v_cndmask_b32_e64 v17, v17, 2, s1
	s_delay_alu instid0(VALU_DEP_4) | instskip(NEXT) | instid1(VALU_DEP_3)
	v_cndmask_b32_e64 v19, v19, v2, s1
	v_cmp_gt_f32_e64 s0, v7, v18
	s_delay_alu instid0(VALU_DEP_1) | instskip(NEXT) | instid1(VALU_DEP_3)
	v_cndmask_b32_e64 v17, v17, 3, s0
	v_cndmask_b32_e64 v18, v19, v3, s0
	s_delay_alu instid0(VALU_DEP_2)
	v_cmp_ne_u32_e64 s2, 0, v17
	v_cmp_le_i32_e64 s0, s5, v17
	v_cmp_gt_i32_e64 s1, s6, v17
	v_subrev_nc_u32_e32 v19, s5, v17
	v_add_f32_e32 v23, v15, v18
	v_cndmask_b32_e64 v20, 0xc61c4000, v4, s2
	v_cmp_ne_u32_e64 s2, 1, v17
	s_and_b32 s0, s0, s1
	global_store_b32 v[8:9], v18, off
	s_and_b32 s0, s11, s0
	s_cmp_lt_i32 s7, s4
	v_cndmask_b32_e64 v21, 0xc61c4000, v5, s2
	v_cmp_ne_u32_e64 s2, 2, v17
	v_cndmask_b32_e64 v18, 4, v19, s0
	s_cselect_b32 s0, -1, 0
	global_store_b32 v[10:11], v18, off
	global_store_b32 v[12:13], v16, off
	v_add_nc_u32_e32 v16, s10, v16
	v_cndmask_b32_e64 v22, 0xc61c4000, v6, s2
	v_cmp_ne_u32_e64 s2, 3, v17
	v_cndmask_b32_e64 v5, v5, v21, s0
	v_cndmask_b32_e64 v4, v4, v20, s0
	v_cndmask_b32_e32 v15, v15, v23, vcc_lo
	v_cndmask_b32_e64 v6, v6, v22, s0
	v_cndmask_b32_e64 v17, 0xc61c4000, v7, s2
	s_cmp_eq_u32 s4, s7
	s_delay_alu instid0(VALU_DEP_1) | instskip(SKIP_1) | instid1(VALU_DEP_1)
	v_cndmask_b32_e64 v7, v7, v17, s0
	v_add_co_u32 v8, s0, v8, 4
	v_add_co_ci_u32_e64 v9, s0, 0, v9, s0
	v_add_co_u32 v10, s0, v10, 4
	s_delay_alu instid0(VALU_DEP_1) | instskip(SKIP_1) | instid1(VALU_DEP_1)
	v_add_co_ci_u32_e64 v11, s0, 0, v11, s0
	v_add_co_u32 v12, s0, v12, 4
	v_add_co_ci_u32_e64 v13, s0, 0, v13, s0
	s_cbranch_scc0 .LBB274_8
; %bb.9:
	s_and_b32 vcc_lo, exec_lo, vcc_lo
	s_cbranch_vccnz .LBB274_12
	s_branch .LBB274_15
.LBB274_10:
                                        ; implicit-def: $vgpr4_vgpr5_vgpr6_vgpr7
	s_and_not1_b32 vcc_lo, exec_lo, s12
	s_cbranch_vccz .LBB274_5
	s_branch .LBB274_6
.LBB274_11:
	v_mov_b32_e32 v15, 0
	s_and_b32 vcc_lo, exec_lo, vcc_lo
	s_cbranch_vccz .LBB274_15
.LBB274_12:
	s_and_not1_b32 vcc_lo, exec_lo, s3
	s_cbranch_vccnz .LBB274_15
; %bb.13:
	v_mul_lo_u32 v0, v14, s4
	v_cmp_lt_f32_e32 vcc_lo, 0, v15
	v_cndmask_b32_e32 v2, 1.0, v15, vcc_lo
	s_delay_alu instid0(VALU_DEP_3) | instskip(NEXT) | instid1(VALU_DEP_1)
	v_ashrrev_i32_e32 v1, 31, v0
	v_lshlrev_b64 v[0:1], 2, v[0:1]
	s_delay_alu instid0(VALU_DEP_1) | instskip(NEXT) | instid1(VALU_DEP_2)
	v_add_co_u32 v0, vcc_lo, s8, v0
	v_add_co_ci_u32_e32 v1, vcc_lo, s9, v1, vcc_lo
	.p2align	6
.LBB274_14:                             ; =>This Inner Loop Header: Depth=1
	global_load_b32 v3, v[0:1], off
	s_add_i32 s4, s4, -1
	s_delay_alu instid0(SALU_CYCLE_1) | instskip(SKIP_3) | instid1(VALU_DEP_2)
	s_cmp_lg_u32 s4, 0
	s_waitcnt vmcnt(0)
	v_div_scale_f32 v4, null, v2, v2, v3
	v_div_scale_f32 v7, vcc_lo, v3, v2, v3
	v_rcp_f32_e32 v5, v4
	s_waitcnt_depctr 0xfff
	v_fma_f32 v6, -v4, v5, 1.0
	s_delay_alu instid0(VALU_DEP_1) | instskip(NEXT) | instid1(VALU_DEP_1)
	v_fmac_f32_e32 v5, v6, v5
	v_mul_f32_e32 v6, v7, v5
	s_delay_alu instid0(VALU_DEP_1) | instskip(NEXT) | instid1(VALU_DEP_1)
	v_fma_f32 v8, -v4, v6, v7
	v_fmac_f32_e32 v6, v8, v5
	s_delay_alu instid0(VALU_DEP_1) | instskip(NEXT) | instid1(VALU_DEP_1)
	v_fma_f32 v4, -v4, v6, v7
	v_div_fmas_f32 v4, v4, v5, v6
	s_delay_alu instid0(VALU_DEP_1)
	v_div_fixup_f32 v3, v4, v2, v3
	global_store_b32 v[0:1], v3, off
	v_add_co_u32 v0, vcc_lo, v0, 4
	v_add_co_ci_u32_e32 v1, vcc_lo, 0, v1, vcc_lo
	s_cbranch_scc1 .LBB274_14
.LBB274_15:
	s_nop 0
	s_sendmsg sendmsg(MSG_DEALLOC_VGPRS)
	s_endpgm
	.section	.rodata,"a",@progbits
	.p2align	6, 0x0
	.amdhsa_kernel _ZN4vllm3moe10topkGatingILi4ELi4ELi4ELi8ELi64Ej6__halfLNS0_11ScoringFuncE1EEEvPKT5_PKbPfiPT4_PiiiibPKf
		.amdhsa_group_segment_fixed_size 0
		.amdhsa_private_segment_fixed_size 0
		.amdhsa_kernarg_size 72
		.amdhsa_user_sgpr_count 15
		.amdhsa_user_sgpr_dispatch_ptr 0
		.amdhsa_user_sgpr_queue_ptr 0
		.amdhsa_user_sgpr_kernarg_segment_ptr 1
		.amdhsa_user_sgpr_dispatch_id 0
		.amdhsa_user_sgpr_private_segment_size 0
		.amdhsa_wavefront_size32 1
		.amdhsa_uses_dynamic_stack 0
		.amdhsa_enable_private_segment 0
		.amdhsa_system_sgpr_workgroup_id_x 1
		.amdhsa_system_sgpr_workgroup_id_y 0
		.amdhsa_system_sgpr_workgroup_id_z 0
		.amdhsa_system_sgpr_workgroup_info 0
		.amdhsa_system_vgpr_workitem_id 1
		.amdhsa_next_free_vgpr 24
		.amdhsa_next_free_sgpr 16
		.amdhsa_reserve_vcc 1
		.amdhsa_float_round_mode_32 0
		.amdhsa_float_round_mode_16_64 0
		.amdhsa_float_denorm_mode_32 3
		.amdhsa_float_denorm_mode_16_64 3
		.amdhsa_dx10_clamp 1
		.amdhsa_ieee_mode 1
		.amdhsa_fp16_overflow 0
		.amdhsa_workgroup_processor_mode 1
		.amdhsa_memory_ordered 1
		.amdhsa_forward_progress 0
		.amdhsa_shared_vgpr_count 0
		.amdhsa_exception_fp_ieee_invalid_op 0
		.amdhsa_exception_fp_denorm_src 0
		.amdhsa_exception_fp_ieee_div_zero 0
		.amdhsa_exception_fp_ieee_overflow 0
		.amdhsa_exception_fp_ieee_underflow 0
		.amdhsa_exception_fp_ieee_inexact 0
		.amdhsa_exception_int_div_zero 0
	.end_amdhsa_kernel
	.section	.text._ZN4vllm3moe10topkGatingILi4ELi4ELi4ELi8ELi64Ej6__halfLNS0_11ScoringFuncE1EEEvPKT5_PKbPfiPT4_PiiiibPKf,"axG",@progbits,_ZN4vllm3moe10topkGatingILi4ELi4ELi4ELi8ELi64Ej6__halfLNS0_11ScoringFuncE1EEEvPKT5_PKbPfiPT4_PiiiibPKf,comdat
.Lfunc_end274:
	.size	_ZN4vllm3moe10topkGatingILi4ELi4ELi4ELi8ELi64Ej6__halfLNS0_11ScoringFuncE1EEEvPKT5_PKbPfiPT4_PiiiibPKf, .Lfunc_end274-_ZN4vllm3moe10topkGatingILi4ELi4ELi4ELi8ELi64Ej6__halfLNS0_11ScoringFuncE1EEEvPKT5_PKbPfiPT4_PiiiibPKf
                                        ; -- End function
	.section	.AMDGPU.csdata,"",@progbits
; Kernel info:
; codeLenInByte = 1568
; NumSgprs: 18
; NumVgprs: 24
; ScratchSize: 0
; MemoryBound: 0
; FloatMode: 240
; IeeeMode: 1
; LDSByteSize: 0 bytes/workgroup (compile time only)
; SGPRBlocks: 2
; VGPRBlocks: 2
; NumSGPRsForWavesPerEU: 18
; NumVGPRsForWavesPerEU: 24
; Occupancy: 16
; WaveLimiterHint : 0
; COMPUTE_PGM_RSRC2:SCRATCH_EN: 0
; COMPUTE_PGM_RSRC2:USER_SGPR: 15
; COMPUTE_PGM_RSRC2:TRAP_HANDLER: 0
; COMPUTE_PGM_RSRC2:TGID_X_EN: 1
; COMPUTE_PGM_RSRC2:TGID_Y_EN: 0
; COMPUTE_PGM_RSRC2:TGID_Z_EN: 0
; COMPUTE_PGM_RSRC2:TIDIG_COMP_CNT: 1
	.section	.text._ZN4vllm3moe10topkGatingILi4ELi4ELi4ELi8ELi32Ej6__halfLNS0_11ScoringFuncE1EEEvPKT5_PKbPfiPT4_PiiiibPKf,"axG",@progbits,_ZN4vllm3moe10topkGatingILi4ELi4ELi4ELi8ELi32Ej6__halfLNS0_11ScoringFuncE1EEEvPKT5_PKbPfiPT4_PiiiibPKf,comdat
	.protected	_ZN4vllm3moe10topkGatingILi4ELi4ELi4ELi8ELi32Ej6__halfLNS0_11ScoringFuncE1EEEvPKT5_PKbPfiPT4_PiiiibPKf ; -- Begin function _ZN4vllm3moe10topkGatingILi4ELi4ELi4ELi8ELi32Ej6__halfLNS0_11ScoringFuncE1EEEvPKT5_PKbPfiPT4_PiiiibPKf
	.globl	_ZN4vllm3moe10topkGatingILi4ELi4ELi4ELi8ELi32Ej6__halfLNS0_11ScoringFuncE1EEEvPKT5_PKbPfiPT4_PiiiibPKf
	.p2align	8
	.type	_ZN4vllm3moe10topkGatingILi4ELi4ELi4ELi8ELi32Ej6__halfLNS0_11ScoringFuncE1EEEvPKT5_PKbPfiPT4_PiiiibPKf,@function
_ZN4vllm3moe10topkGatingILi4ELi4ELi4ELi8ELi32Ej6__halfLNS0_11ScoringFuncE1EEEvPKT5_PKbPfiPT4_PiiiibPKf: ; @_ZN4vllm3moe10topkGatingILi4ELi4ELi4ELi8ELi32Ej6__halfLNS0_11ScoringFuncE1EEEvPKT5_PKbPfiPT4_PiiiibPKf
; %bb.0:
	s_load_b32 s10, s[0:1], 0x18
	v_bfe_u32 v1, v0, 10, 10
	v_and_b32_e32 v0, 0x3ff, v0
	s_lshl_b32 s2, s15, 7
	s_delay_alu instid0(VALU_DEP_2) | instskip(NEXT) | instid1(VALU_DEP_1)
	v_lshlrev_b32_e32 v1, 5, v1
	v_add3_u32 v14, v1, v0, s2
	s_mov_b32 s2, exec_lo
	s_waitcnt lgkmcnt(0)
	s_delay_alu instid0(VALU_DEP_1)
	v_cmpx_gt_i32_e64 s10, v14
	s_cbranch_execz .LBB275_15
; %bb.1:
	s_clause 0x1
	s_load_b128 s[4:7], s[0:1], 0x0
	s_load_b64 s[8:9], s[0:1], 0x10
	s_mov_b32 s12, -1
	s_mov_b32 s11, -1
	s_waitcnt lgkmcnt(0)
	s_cmp_eq_u64 s[6:7], 0
	s_cbranch_scc1 .LBB275_3
; %bb.2:
	v_ashrrev_i32_e32 v1, 31, v14
	v_add_co_u32 v0, vcc_lo, s6, v14
	s_delay_alu instid0(VALU_DEP_2) | instskip(SKIP_3) | instid1(VALU_DEP_1)
	v_add_co_ci_u32_e32 v1, vcc_lo, s7, v1, vcc_lo
	global_load_u8 v0, v[0:1], off
	s_waitcnt vmcnt(0)
	v_and_b32_e32 v0, 1, v0
	v_cmp_eq_u32_e32 vcc_lo, 1, v0
	s_xor_b32 s2, vcc_lo, -1
	s_delay_alu instid0(SALU_CYCLE_1)
	s_or_not1_b32 s11, s2, exec_lo
.LBB275_3:
	v_lshlrev_b32_e32 v0, 2, v14
	s_load_b64 s[6:7], s[0:1], 0x40
	s_delay_alu instid0(VALU_DEP_1) | instskip(NEXT) | instid1(VALU_DEP_1)
	v_ashrrev_i32_e32 v1, 31, v0
	v_lshlrev_b64 v[0:1], 1, v[0:1]
	s_delay_alu instid0(VALU_DEP_1) | instskip(NEXT) | instid1(VALU_DEP_2)
	v_add_co_u32 v0, vcc_lo, s4, v0
	v_add_co_ci_u32_e32 v1, vcc_lo, s5, v1, vcc_lo
	s_waitcnt lgkmcnt(0)
	s_cmp_eq_u64 s[6:7], 0
	global_load_b64 v[0:1], v[0:1], off
	s_waitcnt vmcnt(0)
	v_cvt_f32_f16_e32 v3, v1
	v_cvt_f32_f16_e32 v2, v0
	v_lshrrev_b32_e32 v1, 16, v1
	v_lshrrev_b32_e32 v0, 16, v0
	s_delay_alu instid0(VALU_DEP_4) | instskip(NEXT) | instid1(VALU_DEP_3)
	v_mul_f32_e32 v3, 0xbfb8aa3b, v3
	v_cvt_f32_f16_e32 v1, v1
	v_mul_f32_e32 v2, 0xbfb8aa3b, v2
	s_delay_alu instid0(VALU_DEP_4) | instskip(NEXT) | instid1(VALU_DEP_4)
	v_cvt_f32_f16_e32 v0, v0
	v_exp_f32_e32 v3, v3
	s_delay_alu instid0(VALU_DEP_3) | instskip(NEXT) | instid1(VALU_DEP_3)
	v_mul_f32_e32 v1, 0xbfb8aa3b, v1
	v_exp_f32_e32 v2, v2
	s_delay_alu instid0(VALU_DEP_2) | instskip(NEXT) | instid1(VALU_DEP_2)
	v_mul_f32_e32 v0, 0xbfb8aa3b, v0
	v_exp_f32_e32 v1, v1
	s_delay_alu instid0(TRANS32_DEP_3) | instskip(NEXT) | instid1(VALU_DEP_2)
	v_add_f32_e32 v3, 1.0, v3
	v_exp_f32_e32 v0, v0
	s_delay_alu instid0(TRANS32_DEP_3) | instskip(NEXT) | instid1(VALU_DEP_2)
	v_add_f32_e32 v2, 1.0, v2
	v_div_scale_f32 v5, null, v3, v3, 1.0
	s_waitcnt_depctr 0xfff
	v_add_f32_e32 v1, 1.0, v1
	v_div_scale_f32 v4, null, v2, v2, 1.0
	v_rcp_f32_e32 v9, v5
	v_div_scale_f32 v12, vcc_lo, 1.0, v2, 1.0
	s_delay_alu instid0(VALU_DEP_2)
	v_rcp_f32_e32 v6, v4
	v_div_scale_f32 v8, null, v1, v1, 1.0
	v_div_scale_f32 v15, s2, 1.0, v3, 1.0
	v_div_scale_f32 v19, s4, 1.0, v1, 1.0
	s_waitcnt_depctr 0xfff
	v_fma_f32 v17, -v5, v9, 1.0
	v_add_f32_e32 v0, 1.0, v0
	v_rcp_f32_e32 v11, v8
	v_fma_f32 v13, -v4, v6, 1.0
	s_delay_alu instid0(VALU_DEP_3) | instskip(NEXT) | instid1(VALU_DEP_3)
	v_fmac_f32_e32 v9, v17, v9
	v_div_scale_f32 v7, null, v0, v0, 1.0
	v_div_scale_f32 v16, s3, 1.0, v0, 1.0
	s_delay_alu instid0(VALU_DEP_2) | instskip(SKIP_2) | instid1(VALU_DEP_1)
	v_rcp_f32_e32 v10, v7
	s_waitcnt_depctr 0xfff
	v_fma_f32 v18, -v8, v11, 1.0
	v_dual_fmac_f32 v6, v13, v6 :: v_dual_fmac_f32 v11, v18, v11
	s_delay_alu instid0(VALU_DEP_1) | instskip(SKIP_1) | instid1(VALU_DEP_3)
	v_mul_f32_e32 v17, v12, v6
	v_fma_f32 v13, -v7, v10, 1.0
	v_mul_f32_e32 v21, v19, v11
	s_delay_alu instid0(VALU_DEP_3) | instskip(NEXT) | instid1(VALU_DEP_3)
	v_fma_f32 v18, -v4, v17, v12
	v_dual_fmac_f32 v10, v13, v10 :: v_dual_mul_f32 v13, v15, v9
	s_delay_alu instid0(VALU_DEP_2) | instskip(NEXT) | instid1(VALU_DEP_4)
	v_fmac_f32_e32 v17, v18, v6
	v_fma_f32 v23, -v8, v21, v19
	s_delay_alu instid0(VALU_DEP_3) | instskip(NEXT) | instid1(VALU_DEP_4)
	v_mul_f32_e32 v20, v16, v10
	v_fma_f32 v22, -v5, v13, v15
	s_delay_alu instid0(VALU_DEP_4) | instskip(NEXT) | instid1(VALU_DEP_4)
	v_fma_f32 v4, -v4, v17, v12
	v_fmac_f32_e32 v21, v23, v11
	s_delay_alu instid0(VALU_DEP_4) | instskip(NEXT) | instid1(VALU_DEP_3)
	v_fma_f32 v18, -v7, v20, v16
	v_div_fmas_f32 v4, v4, v6, v17
	s_mov_b32 vcc_lo, s3
	s_delay_alu instid0(VALU_DEP_2) | instskip(NEXT) | instid1(VALU_DEP_2)
	v_fmac_f32_e32 v20, v18, v10
	v_div_fixup_f32 v2, v4, v2, 1.0
	v_fmac_f32_e32 v13, v22, v9
	s_delay_alu instid0(VALU_DEP_3) | instskip(SKIP_1) | instid1(VALU_DEP_3)
	v_fma_f32 v6, -v7, v20, v16
	v_fma_f32 v7, -v8, v21, v19
	;; [unrolled: 1-line block ×3, first 2 shown]
	s_delay_alu instid0(VALU_DEP_3) | instskip(SKIP_1) | instid1(VALU_DEP_2)
	v_div_fmas_f32 v4, v6, v10, v20
	s_mov_b32 vcc_lo, s2
	v_div_fmas_f32 v5, v5, v9, v13
	s_mov_b32 vcc_lo, s4
	s_delay_alu instid0(VALU_DEP_2) | instskip(SKIP_3) | instid1(VALU_DEP_3)
	v_div_fixup_f32 v4, v4, v0, 1.0
	v_div_fmas_f32 v6, v7, v11, v21
	v_cmp_class_f32_e64 vcc_lo, v2, 0x1f8
	v_div_fixup_f32 v3, v5, v3, 1.0
	v_div_fixup_f32 v5, v6, v1, 1.0
	v_cndmask_b32_e32 v0, 0, v2, vcc_lo
	v_cmp_class_f32_e64 vcc_lo, v4, 0x1f8
	v_cndmask_b32_e32 v1, 0, v4, vcc_lo
	v_cmp_class_f32_e64 vcc_lo, v3, 0x1f8
	;; [unrolled: 2-line block ×3, first 2 shown]
	v_cndmask_b32_e32 v3, 0, v5, vcc_lo
	s_cbranch_scc1 .LBB275_10
; %bb.4:
	s_load_b128 s[4:7], s[6:7], 0x0
	s_waitcnt lgkmcnt(0)
	v_dual_add_f32 v4, s4, v0 :: v_dual_add_f32 v5, s5, v1
	v_dual_add_f32 v6, s6, v2 :: v_dual_add_f32 v7, s7, v3
	s_cbranch_execnz .LBB275_6
.LBB275_5:
	v_dual_mov_b32 v7, v3 :: v_dual_mov_b32 v6, v2
	v_dual_mov_b32 v5, v1 :: v_dual_mov_b32 v4, v0
.LBB275_6:
	s_load_b128 s[4:7], s[0:1], 0x30
	s_waitcnt lgkmcnt(0)
	s_bitcmp1_b32 s7, 0
	s_mov_b32 s7, 0
	s_cselect_b32 vcc_lo, -1, 0
	s_cmp_gt_i32 s4, 0
	s_cselect_b32 s3, -1, 0
	s_cmp_lt_i32 s4, 1
	s_cbranch_scc1 .LBB275_11
; %bb.7:
	v_mul_lo_u32 v8, v14, s4
	s_load_b128 s[12:15], s[0:1], 0x20
	v_dual_mov_b32 v15, 0 :: v_dual_mov_b32 v16, v14
	s_delay_alu instid0(VALU_DEP_2) | instskip(NEXT) | instid1(VALU_DEP_1)
	v_ashrrev_i32_e32 v9, 31, v8
	v_lshlrev_b64 v[12:13], 2, v[8:9]
	s_delay_alu instid0(VALU_DEP_1) | instskip(NEXT) | instid1(VALU_DEP_1)
	v_add_co_u32 v8, s0, s8, v12
	v_add_co_ci_u32_e64 v9, s0, s9, v13, s0
	s_waitcnt lgkmcnt(0)
	v_add_co_u32 v10, s0, s12, v12
	s_delay_alu instid0(VALU_DEP_1) | instskip(SKIP_1) | instid1(VALU_DEP_1)
	v_add_co_ci_u32_e64 v11, s0, s13, v13, s0
	v_add_co_u32 v12, s0, s14, v12
	v_add_co_ci_u32_e64 v13, s0, s15, v13, s0
.LBB275_8:                              ; =>This Inner Loop Header: Depth=1
	v_cmp_gt_f32_e64 s0, v5, v4
	s_add_i32 s7, s7, 1
	s_delay_alu instid0(VALU_DEP_1) | instskip(SKIP_2) | instid1(VALU_DEP_3)
	v_cndmask_b32_e64 v18, v4, v5, s0
	v_cndmask_b32_e64 v17, 0, 1, s0
	v_cndmask_b32_e64 v19, v0, v1, s0
	v_cmp_gt_f32_e64 s1, v6, v18
	s_delay_alu instid0(VALU_DEP_1) | instskip(NEXT) | instid1(VALU_DEP_4)
	v_cndmask_b32_e64 v18, v18, v6, s1
	v_cndmask_b32_e64 v17, v17, 2, s1
	s_delay_alu instid0(VALU_DEP_4) | instskip(NEXT) | instid1(VALU_DEP_3)
	v_cndmask_b32_e64 v19, v19, v2, s1
	v_cmp_gt_f32_e64 s0, v7, v18
	s_delay_alu instid0(VALU_DEP_1) | instskip(NEXT) | instid1(VALU_DEP_3)
	v_cndmask_b32_e64 v17, v17, 3, s0
	v_cndmask_b32_e64 v18, v19, v3, s0
	s_delay_alu instid0(VALU_DEP_2)
	v_cmp_ne_u32_e64 s2, 0, v17
	v_cmp_le_i32_e64 s0, s5, v17
	v_cmp_gt_i32_e64 s1, s6, v17
	v_subrev_nc_u32_e32 v19, s5, v17
	v_add_f32_e32 v23, v15, v18
	v_cndmask_b32_e64 v20, 0xc61c4000, v4, s2
	v_cmp_ne_u32_e64 s2, 1, v17
	s_and_b32 s0, s0, s1
	global_store_b32 v[8:9], v18, off
	s_and_b32 s0, s11, s0
	s_cmp_lt_i32 s7, s4
	v_cndmask_b32_e64 v21, 0xc61c4000, v5, s2
	v_cmp_ne_u32_e64 s2, 2, v17
	v_cndmask_b32_e64 v18, 4, v19, s0
	s_cselect_b32 s0, -1, 0
	global_store_b32 v[10:11], v18, off
	global_store_b32 v[12:13], v16, off
	v_add_nc_u32_e32 v16, s10, v16
	v_cndmask_b32_e64 v22, 0xc61c4000, v6, s2
	v_cmp_ne_u32_e64 s2, 3, v17
	v_cndmask_b32_e64 v5, v5, v21, s0
	v_cndmask_b32_e64 v4, v4, v20, s0
	v_cndmask_b32_e32 v15, v15, v23, vcc_lo
	v_cndmask_b32_e64 v6, v6, v22, s0
	v_cndmask_b32_e64 v17, 0xc61c4000, v7, s2
	s_cmp_eq_u32 s4, s7
	s_delay_alu instid0(VALU_DEP_1) | instskip(SKIP_1) | instid1(VALU_DEP_1)
	v_cndmask_b32_e64 v7, v7, v17, s0
	v_add_co_u32 v8, s0, v8, 4
	v_add_co_ci_u32_e64 v9, s0, 0, v9, s0
	v_add_co_u32 v10, s0, v10, 4
	s_delay_alu instid0(VALU_DEP_1) | instskip(SKIP_1) | instid1(VALU_DEP_1)
	v_add_co_ci_u32_e64 v11, s0, 0, v11, s0
	v_add_co_u32 v12, s0, v12, 4
	v_add_co_ci_u32_e64 v13, s0, 0, v13, s0
	s_cbranch_scc0 .LBB275_8
; %bb.9:
	s_and_b32 vcc_lo, exec_lo, vcc_lo
	s_cbranch_vccnz .LBB275_12
	s_branch .LBB275_15
.LBB275_10:
                                        ; implicit-def: $vgpr4_vgpr5_vgpr6_vgpr7
	s_and_not1_b32 vcc_lo, exec_lo, s12
	s_cbranch_vccz .LBB275_5
	s_branch .LBB275_6
.LBB275_11:
	v_mov_b32_e32 v15, 0
	s_and_b32 vcc_lo, exec_lo, vcc_lo
	s_cbranch_vccz .LBB275_15
.LBB275_12:
	s_and_not1_b32 vcc_lo, exec_lo, s3
	s_cbranch_vccnz .LBB275_15
; %bb.13:
	v_mul_lo_u32 v0, v14, s4
	v_cmp_lt_f32_e32 vcc_lo, 0, v15
	v_cndmask_b32_e32 v2, 1.0, v15, vcc_lo
	s_delay_alu instid0(VALU_DEP_3) | instskip(NEXT) | instid1(VALU_DEP_1)
	v_ashrrev_i32_e32 v1, 31, v0
	v_lshlrev_b64 v[0:1], 2, v[0:1]
	s_delay_alu instid0(VALU_DEP_1) | instskip(NEXT) | instid1(VALU_DEP_2)
	v_add_co_u32 v0, vcc_lo, s8, v0
	v_add_co_ci_u32_e32 v1, vcc_lo, s9, v1, vcc_lo
	.p2align	6
.LBB275_14:                             ; =>This Inner Loop Header: Depth=1
	global_load_b32 v3, v[0:1], off
	s_add_i32 s4, s4, -1
	s_delay_alu instid0(SALU_CYCLE_1) | instskip(SKIP_3) | instid1(VALU_DEP_2)
	s_cmp_lg_u32 s4, 0
	s_waitcnt vmcnt(0)
	v_div_scale_f32 v4, null, v2, v2, v3
	v_div_scale_f32 v7, vcc_lo, v3, v2, v3
	v_rcp_f32_e32 v5, v4
	s_waitcnt_depctr 0xfff
	v_fma_f32 v6, -v4, v5, 1.0
	s_delay_alu instid0(VALU_DEP_1) | instskip(NEXT) | instid1(VALU_DEP_1)
	v_fmac_f32_e32 v5, v6, v5
	v_mul_f32_e32 v6, v7, v5
	s_delay_alu instid0(VALU_DEP_1) | instskip(NEXT) | instid1(VALU_DEP_1)
	v_fma_f32 v8, -v4, v6, v7
	v_fmac_f32_e32 v6, v8, v5
	s_delay_alu instid0(VALU_DEP_1) | instskip(NEXT) | instid1(VALU_DEP_1)
	v_fma_f32 v4, -v4, v6, v7
	v_div_fmas_f32 v4, v4, v5, v6
	s_delay_alu instid0(VALU_DEP_1)
	v_div_fixup_f32 v3, v4, v2, v3
	global_store_b32 v[0:1], v3, off
	v_add_co_u32 v0, vcc_lo, v0, 4
	v_add_co_ci_u32_e32 v1, vcc_lo, 0, v1, vcc_lo
	s_cbranch_scc1 .LBB275_14
.LBB275_15:
	s_nop 0
	s_sendmsg sendmsg(MSG_DEALLOC_VGPRS)
	s_endpgm
	.section	.rodata,"a",@progbits
	.p2align	6, 0x0
	.amdhsa_kernel _ZN4vllm3moe10topkGatingILi4ELi4ELi4ELi8ELi32Ej6__halfLNS0_11ScoringFuncE1EEEvPKT5_PKbPfiPT4_PiiiibPKf
		.amdhsa_group_segment_fixed_size 0
		.amdhsa_private_segment_fixed_size 0
		.amdhsa_kernarg_size 72
		.amdhsa_user_sgpr_count 15
		.amdhsa_user_sgpr_dispatch_ptr 0
		.amdhsa_user_sgpr_queue_ptr 0
		.amdhsa_user_sgpr_kernarg_segment_ptr 1
		.amdhsa_user_sgpr_dispatch_id 0
		.amdhsa_user_sgpr_private_segment_size 0
		.amdhsa_wavefront_size32 1
		.amdhsa_uses_dynamic_stack 0
		.amdhsa_enable_private_segment 0
		.amdhsa_system_sgpr_workgroup_id_x 1
		.amdhsa_system_sgpr_workgroup_id_y 0
		.amdhsa_system_sgpr_workgroup_id_z 0
		.amdhsa_system_sgpr_workgroup_info 0
		.amdhsa_system_vgpr_workitem_id 1
		.amdhsa_next_free_vgpr 24
		.amdhsa_next_free_sgpr 16
		.amdhsa_reserve_vcc 1
		.amdhsa_float_round_mode_32 0
		.amdhsa_float_round_mode_16_64 0
		.amdhsa_float_denorm_mode_32 3
		.amdhsa_float_denorm_mode_16_64 3
		.amdhsa_dx10_clamp 1
		.amdhsa_ieee_mode 1
		.amdhsa_fp16_overflow 0
		.amdhsa_workgroup_processor_mode 1
		.amdhsa_memory_ordered 1
		.amdhsa_forward_progress 0
		.amdhsa_shared_vgpr_count 0
		.amdhsa_exception_fp_ieee_invalid_op 0
		.amdhsa_exception_fp_denorm_src 0
		.amdhsa_exception_fp_ieee_div_zero 0
		.amdhsa_exception_fp_ieee_overflow 0
		.amdhsa_exception_fp_ieee_underflow 0
		.amdhsa_exception_fp_ieee_inexact 0
		.amdhsa_exception_int_div_zero 0
	.end_amdhsa_kernel
	.section	.text._ZN4vllm3moe10topkGatingILi4ELi4ELi4ELi8ELi32Ej6__halfLNS0_11ScoringFuncE1EEEvPKT5_PKbPfiPT4_PiiiibPKf,"axG",@progbits,_ZN4vllm3moe10topkGatingILi4ELi4ELi4ELi8ELi32Ej6__halfLNS0_11ScoringFuncE1EEEvPKT5_PKbPfiPT4_PiiiibPKf,comdat
.Lfunc_end275:
	.size	_ZN4vllm3moe10topkGatingILi4ELi4ELi4ELi8ELi32Ej6__halfLNS0_11ScoringFuncE1EEEvPKT5_PKbPfiPT4_PiiiibPKf, .Lfunc_end275-_ZN4vllm3moe10topkGatingILi4ELi4ELi4ELi8ELi32Ej6__halfLNS0_11ScoringFuncE1EEEvPKT5_PKbPfiPT4_PiiiibPKf
                                        ; -- End function
	.section	.AMDGPU.csdata,"",@progbits
; Kernel info:
; codeLenInByte = 1568
; NumSgprs: 18
; NumVgprs: 24
; ScratchSize: 0
; MemoryBound: 0
; FloatMode: 240
; IeeeMode: 1
; LDSByteSize: 0 bytes/workgroup (compile time only)
; SGPRBlocks: 2
; VGPRBlocks: 2
; NumSGPRsForWavesPerEU: 18
; NumVGPRsForWavesPerEU: 24
; Occupancy: 16
; WaveLimiterHint : 0
; COMPUTE_PGM_RSRC2:SCRATCH_EN: 0
; COMPUTE_PGM_RSRC2:USER_SGPR: 15
; COMPUTE_PGM_RSRC2:TRAP_HANDLER: 0
; COMPUTE_PGM_RSRC2:TGID_X_EN: 1
; COMPUTE_PGM_RSRC2:TGID_Y_EN: 0
; COMPUTE_PGM_RSRC2:TGID_Z_EN: 0
; COMPUTE_PGM_RSRC2:TIDIG_COMP_CNT: 1
	.section	.text._ZN4vllm3moe10topkGatingILi8ELi8ELi4ELi16ELi64Ej6__halfLNS0_11ScoringFuncE1EEEvPKT5_PKbPfiPT4_PiiiibPKf,"axG",@progbits,_ZN4vllm3moe10topkGatingILi8ELi8ELi4ELi16ELi64Ej6__halfLNS0_11ScoringFuncE1EEEvPKT5_PKbPfiPT4_PiiiibPKf,comdat
	.protected	_ZN4vllm3moe10topkGatingILi8ELi8ELi4ELi16ELi64Ej6__halfLNS0_11ScoringFuncE1EEEvPKT5_PKbPfiPT4_PiiiibPKf ; -- Begin function _ZN4vllm3moe10topkGatingILi8ELi8ELi4ELi16ELi64Ej6__halfLNS0_11ScoringFuncE1EEEvPKT5_PKbPfiPT4_PiiiibPKf
	.globl	_ZN4vllm3moe10topkGatingILi8ELi8ELi4ELi16ELi64Ej6__halfLNS0_11ScoringFuncE1EEEvPKT5_PKbPfiPT4_PiiiibPKf
	.p2align	8
	.type	_ZN4vllm3moe10topkGatingILi8ELi8ELi4ELi16ELi64Ej6__halfLNS0_11ScoringFuncE1EEEvPKT5_PKbPfiPT4_PiiiibPKf,@function
_ZN4vllm3moe10topkGatingILi8ELi8ELi4ELi16ELi64Ej6__halfLNS0_11ScoringFuncE1EEEvPKT5_PKbPfiPT4_PiiiibPKf: ; @_ZN4vllm3moe10topkGatingILi8ELi8ELi4ELi16ELi64Ej6__halfLNS0_11ScoringFuncE1EEEvPKT5_PKbPfiPT4_PiiiibPKf
; %bb.0:
	s_load_b32 s14, s[0:1], 0x18
	v_bfe_u32 v1, v0, 10, 10
	v_and_b32_e32 v0, 0x3ff, v0
	s_lshl_b32 s2, s15, 8
	s_delay_alu instid0(VALU_DEP_2) | instskip(NEXT) | instid1(VALU_DEP_1)
	v_lshlrev_b32_e32 v1, 6, v1
	v_add3_u32 v16, v1, v0, s2
	s_mov_b32 s2, exec_lo
	s_waitcnt lgkmcnt(0)
	s_delay_alu instid0(VALU_DEP_1)
	v_cmpx_gt_i32_e64 s14, v16
	s_cbranch_execz .LBB276_15
; %bb.1:
	s_clause 0x1
	s_load_b128 s[4:7], s[0:1], 0x0
	s_load_b64 s[12:13], s[0:1], 0x10
	s_mov_b32 s9, -1
	s_mov_b32 s15, -1
	s_waitcnt lgkmcnt(0)
	s_cmp_eq_u64 s[6:7], 0
	s_cbranch_scc1 .LBB276_3
; %bb.2:
	v_ashrrev_i32_e32 v1, 31, v16
	v_add_co_u32 v0, vcc_lo, s6, v16
	s_delay_alu instid0(VALU_DEP_2) | instskip(SKIP_3) | instid1(VALU_DEP_1)
	v_add_co_ci_u32_e32 v1, vcc_lo, s7, v1, vcc_lo
	global_load_u8 v0, v[0:1], off
	s_waitcnt vmcnt(0)
	v_and_b32_e32 v0, 1, v0
	v_cmp_eq_u32_e32 vcc_lo, 1, v0
	s_xor_b32 s2, vcc_lo, -1
	s_delay_alu instid0(SALU_CYCLE_1)
	s_or_not1_b32 s15, s2, exec_lo
.LBB276_3:
	v_lshlrev_b32_e32 v0, 3, v16
	s_load_b64 s[10:11], s[0:1], 0x40
	s_delay_alu instid0(VALU_DEP_1) | instskip(NEXT) | instid1(VALU_DEP_1)
	v_ashrrev_i32_e32 v1, 31, v0
	v_lshlrev_b64 v[0:1], 1, v[0:1]
	s_delay_alu instid0(VALU_DEP_1) | instskip(NEXT) | instid1(VALU_DEP_2)
	v_add_co_u32 v0, vcc_lo, s4, v0
	v_add_co_ci_u32_e32 v1, vcc_lo, s5, v1, vcc_lo
	s_waitcnt lgkmcnt(0)
	s_cmp_eq_u64 s[10:11], 0
	global_load_b128 v[0:3], v[0:1], off
	s_waitcnt vmcnt(0)
	v_cvt_f32_f16_e32 v4, v0
	v_lshrrev_b32_e32 v0, 16, v0
	v_cvt_f32_f16_e32 v7, v3
	v_lshrrev_b32_e32 v3, 16, v3
	v_cvt_f32_f16_e32 v5, v1
	v_mul_f32_e32 v4, 0xbfb8aa3b, v4
	v_cvt_f32_f16_e32 v0, v0
	v_mul_f32_e32 v7, 0xbfb8aa3b, v7
	v_cvt_f32_f16_e32 v3, v3
	v_lshrrev_b32_e32 v1, 16, v1
	v_exp_f32_e32 v4, v4
	v_cvt_f32_f16_e32 v6, v2
	v_lshrrev_b32_e32 v2, 16, v2
	v_dual_mul_f32 v5, 0xbfb8aa3b, v5 :: v_dual_mul_f32 v0, 0xbfb8aa3b, v0
	v_mul_f32_e32 v3, 0xbfb8aa3b, v3
	v_exp_f32_e32 v7, v7
	v_cvt_f32_f16_e32 v1, v1
	v_cvt_f32_f16_e32 v2, v2
	v_mul_f32_e32 v6, 0xbfb8aa3b, v6
	v_exp_f32_e32 v5, v5
	v_exp_f32_e32 v0, v0
	v_mul_f32_e32 v1, 0xbfb8aa3b, v1
	v_exp_f32_e32 v3, v3
	v_add_f32_e32 v4, 1.0, v4
	v_exp_f32_e32 v6, v6
	v_dual_add_f32 v7, 1.0, v7 :: v_dual_mul_f32 v2, 0xbfb8aa3b, v2
	v_exp_f32_e32 v1, v1
	s_delay_alu instid0(VALU_DEP_2) | instskip(SKIP_1) | instid1(VALU_DEP_3)
	v_div_scale_f32 v8, null, v4, v4, 1.0
	v_add_f32_e32 v5, 1.0, v5
	v_exp_f32_e32 v2, v2
	v_dual_add_f32 v0, 1.0, v0 :: v_dual_add_f32 v17, 1.0, v3
	s_delay_alu instid0(VALU_DEP_3) | instskip(SKIP_2) | instid1(TRANS32_DEP_3)
	v_rcp_f32_e32 v3, v8
	v_add_f32_e32 v6, 1.0, v6
	v_div_scale_f32 v10, null, v5, v5, 1.0
	v_add_f32_e32 v1, 1.0, v1
	v_div_scale_f32 v18, null, v0, v0, 1.0
	s_delay_alu instid0(VALU_DEP_4) | instskip(NEXT) | instid1(VALU_DEP_4)
	v_div_scale_f32 v12, null, v6, v6, 1.0
	v_rcp_f32_e32 v20, v10
	s_delay_alu instid0(TRANS32_DEP_2) | instskip(SKIP_3) | instid1(VALU_DEP_3)
	v_fma_f32 v32, -v8, v3, 1.0
	v_add_f32_e32 v14, 1.0, v2
	v_div_scale_f32 v2, null, v7, v7, 1.0
	v_rcp_f32_e32 v23, v12
	v_fmac_f32_e32 v3, v32, v3
	s_delay_alu instid0(VALU_DEP_3) | instskip(NEXT) | instid1(VALU_DEP_3)
	v_div_scale_f32 v24, null, v14, v14, 1.0
	v_rcp_f32_e32 v26, v2
	v_div_scale_f32 v27, null, v17, v17, 1.0
	v_rcp_f32_e32 v28, v18
	;; [unrolled: 2-line block ×3, first 2 shown]
	s_delay_alu instid0(VALU_DEP_2) | instskip(SKIP_1) | instid1(VALU_DEP_2)
	v_rcp_f32_e32 v33, v27
	v_div_scale_f32 v9, vcc_lo, 1.0, v4, 1.0
	v_rcp_f32_e32 v30, v21
	v_fma_f32 v34, -v10, v20, 1.0
	v_fma_f32 v35, -v12, v23, 1.0
	;; [unrolled: 1-line block ×4, first 2 shown]
	v_div_scale_f32 v11, s2, 1.0, v5, 1.0
	v_div_scale_f32 v19, s5, 1.0, v0, 1.0
	v_dual_fmac_f32 v20, v34, v20 :: v_dual_fmac_f32 v23, v35, v23
	v_fma_f32 v35, -v24, v31, 1.0
	v_dual_fmac_f32 v26, v36, v26 :: v_dual_mul_f32 v37, v9, v3
	v_fma_f32 v36, -v27, v33, 1.0
	s_delay_alu instid0(VALU_DEP_3) | instskip(SKIP_1) | instid1(VALU_DEP_3)
	v_dual_fmac_f32 v28, v32, v28 :: v_dual_fmac_f32 v31, v35, v31
	v_fma_f32 v34, -v21, v30, 1.0
	v_dual_mul_f32 v32, v11, v20 :: v_dual_fmac_f32 v33, v36, v33
	v_fma_f32 v36, -v8, v37, v9
	s_delay_alu instid0(VALU_DEP_4) | instskip(NEXT) | instid1(VALU_DEP_4)
	v_mul_f32_e32 v38, v19, v28
	v_fmac_f32_e32 v30, v34, v30
	v_div_scale_f32 v22, s6, 1.0, v1, 1.0
	s_delay_alu instid0(VALU_DEP_4) | instskip(NEXT) | instid1(VALU_DEP_4)
	v_fmac_f32_e32 v37, v36, v3
	v_fma_f32 v36, -v18, v38, v19
	v_div_scale_f32 v13, s3, 1.0, v6, 1.0
	v_div_scale_f32 v15, s4, 1.0, v7, 1.0
	s_delay_alu instid0(VALU_DEP_4) | instskip(NEXT) | instid1(VALU_DEP_4)
	v_fma_f32 v8, -v8, v37, v9
	v_fmac_f32_e32 v38, v36, v28
	v_fma_f32 v39, -v10, v32, v11
	v_div_scale_f32 v25, s7, 1.0, v14, 1.0
	s_delay_alu instid0(VALU_DEP_4) | instskip(NEXT) | instid1(VALU_DEP_4)
	v_div_fmas_f32 v3, v8, v3, v37
	v_fma_f32 v8, -v18, v38, v19
	s_mov_b32 vcc_lo, s5
	v_dual_mul_f32 v34, v13, v23 :: v_dual_mul_f32 v35, v15, v26
	s_delay_alu instid0(VALU_DEP_3) | instskip(NEXT) | instid1(VALU_DEP_3)
	v_div_fixup_f32 v3, v3, v4, 1.0
	v_div_fmas_f32 v4, v8, v28, v38
	v_fmac_f32_e32 v32, v39, v20
	s_delay_alu instid0(VALU_DEP_4)
	v_fma_f32 v41, -v12, v34, v13
	v_fma_f32 v43, -v2, v35, v15
	v_mul_f32_e32 v42, v25, v31
	v_div_fixup_f32 v4, v4, v0, 1.0
	v_mul_f32_e32 v40, v22, v30
	v_div_scale_f32 v29, s8, 1.0, v17, 1.0
	v_fma_f32 v9, -v10, v32, v11
	v_fmac_f32_e32 v34, v41, v23
	s_delay_alu instid0(VALU_DEP_4)
	v_fma_f32 v39, -v21, v40, v22
	v_fmac_f32_e32 v35, v43, v26
	v_fma_f32 v41, -v24, v42, v25
	s_mov_b32 vcc_lo, s2
	v_mul_f32_e32 v44, v29, v33
	v_fmac_f32_e32 v40, v39, v30
	v_div_fmas_f32 v8, v9, v20, v32
	s_mov_b32 vcc_lo, s6
	v_fmac_f32_e32 v42, v41, v31
	v_fma_f32 v10, -v12, v34, v13
	v_fma_f32 v11, -v21, v40, v22
	;; [unrolled: 1-line block ×5, first 2 shown]
	v_div_fixup_f32 v5, v8, v5, 1.0
	v_div_fmas_f32 v9, v11, v30, v40
	v_cmp_class_f32_e64 vcc_lo, v3, 0x1f8
	v_fmac_f32_e32 v44, v43, v33
	s_delay_alu instid0(VALU_DEP_3) | instskip(SKIP_2) | instid1(VALU_DEP_3)
	v_div_fixup_f32 v9, v9, v1, 1.0
	v_cndmask_b32_e32 v0, 0, v3, vcc_lo
	s_mov_b32 vcc_lo, s3
	v_fma_f32 v13, -v27, v44, v29
	v_div_fmas_f32 v3, v10, v23, v34
	s_mov_b32 vcc_lo, s7
	v_div_fmas_f32 v8, v12, v31, v42
	s_mov_b32 vcc_lo, s4
	v_div_fmas_f32 v10, v2, v26, v35
	v_cmp_class_f32_e64 vcc_lo, v4, 0x1f8
	s_delay_alu instid0(VALU_DEP_2)
	v_div_fixup_f32 v7, v10, v7, 1.0
	v_cndmask_b32_e32 v1, 0, v4, vcc_lo
	s_mov_b32 vcc_lo, s8
	v_div_fixup_f32 v4, v3, v6, 1.0
	v_div_fmas_f32 v6, v13, v33, v44
	v_cmp_class_f32_e64 vcc_lo, v5, 0x1f8
	v_cndmask_b32_e32 v2, 0, v5, vcc_lo
	v_cmp_class_f32_e64 vcc_lo, v9, 0x1f8
	v_div_fixup_f32 v5, v8, v14, 1.0
	v_div_fixup_f32 v8, v6, v17, 1.0
	v_cndmask_b32_e32 v3, 0, v9, vcc_lo
	v_cmp_class_f32_e64 vcc_lo, v4, 0x1f8
	v_cndmask_b32_e32 v4, 0, v4, vcc_lo
	v_cmp_class_f32_e64 vcc_lo, v5, 0x1f8
	;; [unrolled: 2-line block ×4, first 2 shown]
	v_cndmask_b32_e32 v7, 0, v8, vcc_lo
	s_cbranch_scc1 .LBB276_10
; %bb.4:
	s_load_b256 s[4:11], s[10:11], 0x0
	s_waitcnt lgkmcnt(0)
	v_dual_add_f32 v8, s4, v0 :: v_dual_add_f32 v9, s5, v1
	v_dual_add_f32 v10, s6, v2 :: v_dual_add_f32 v11, s7, v3
	;; [unrolled: 1-line block ×4, first 2 shown]
	s_cbranch_execnz .LBB276_6
.LBB276_5:
	v_dual_mov_b32 v15, v7 :: v_dual_mov_b32 v14, v6
	v_dual_mov_b32 v13, v5 :: v_dual_mov_b32 v12, v4
	;; [unrolled: 1-line block ×4, first 2 shown]
.LBB276_6:
	s_load_b128 s[4:7], s[0:1], 0x30
	s_mov_b32 s16, 0
	s_waitcnt lgkmcnt(0)
	s_bitcmp1_b32 s7, 0
	s_cselect_b32 vcc_lo, -1, 0
	s_cmp_gt_i32 s4, 0
	s_cselect_b32 s7, -1, 0
	s_cmp_lt_i32 s4, 1
	s_cbranch_scc1 .LBB276_11
; %bb.7:
	s_load_b128 s[8:11], s[0:1], 0x20
	v_mul_lo_u32 v18, v16, s4
	v_mov_b32_e32 v17, 0
	v_mov_b32_e32 v19, v16
.LBB276_8:                              ; =>This Inner Loop Header: Depth=1
	v_cmp_gt_f32_e64 s0, v9, v8
	s_delay_alu instid0(VALU_DEP_1) | instskip(SKIP_2) | instid1(VALU_DEP_3)
	v_cndmask_b32_e64 v21, v8, v9, s0
	v_cndmask_b32_e64 v20, 0, 1, s0
	;; [unrolled: 1-line block ×3, first 2 shown]
	v_cmp_gt_f32_e64 s1, v10, v21
	s_delay_alu instid0(VALU_DEP_1) | instskip(NEXT) | instid1(VALU_DEP_4)
	v_cndmask_b32_e64 v21, v21, v10, s1
	v_cndmask_b32_e64 v20, v20, 2, s1
	s_delay_alu instid0(VALU_DEP_4) | instskip(NEXT) | instid1(VALU_DEP_3)
	v_cndmask_b32_e64 v22, v22, v2, s1
	v_cmp_gt_f32_e64 s2, v11, v21
	s_delay_alu instid0(VALU_DEP_1) | instskip(NEXT) | instid1(VALU_DEP_4)
	v_cndmask_b32_e64 v21, v21, v11, s2
	v_cndmask_b32_e64 v20, v20, 3, s2
	s_delay_alu instid0(VALU_DEP_4) | instskip(NEXT) | instid1(VALU_DEP_3)
	v_cndmask_b32_e64 v22, v22, v3, s2
	v_cmp_gt_f32_e64 s3, v12, v21
	s_delay_alu instid0(VALU_DEP_1) | instskip(NEXT) | instid1(VALU_DEP_4)
	v_cndmask_b32_e64 v24, v21, v12, s3
	v_cndmask_b32_e64 v23, v20, 4, s3
	v_add_nc_u32_e32 v20, s16, v18
	v_cndmask_b32_e64 v26, v22, v4, s3
	s_add_i32 s16, s16, 1
	v_cmp_gt_f32_e64 s0, v13, v24
	s_delay_alu instid0(VALU_DEP_3) | instskip(NEXT) | instid1(VALU_DEP_2)
	v_ashrrev_i32_e32 v21, 31, v20
	v_cndmask_b32_e64 v24, v24, v13, s0
	v_cndmask_b32_e64 v25, v23, 5, s0
	s_delay_alu instid0(VALU_DEP_3) | instskip(SKIP_1) | instid1(VALU_DEP_4)
	v_lshlrev_b64 v[20:21], 2, v[20:21]
	v_cndmask_b32_e64 v26, v26, v5, s0
	v_cmp_gt_f32_e64 s1, v14, v24
	s_delay_alu instid0(VALU_DEP_3) | instskip(NEXT) | instid1(VALU_DEP_2)
	v_add_co_u32 v22, s2, s12, v20
	v_cndmask_b32_e64 v28, v24, v14, s1
	s_waitcnt lgkmcnt(0)
	v_add_co_u32 v24, s0, s8, v20
	v_cndmask_b32_e64 v27, v25, 6, s1
	v_add_co_ci_u32_e64 v25, s0, s9, v21, s0
	v_cmp_gt_f32_e64 s0, v15, v28
	v_add_co_ci_u32_e64 v23, s2, s13, v21, s2
	v_cndmask_b32_e64 v26, v26, v6, s1
	v_add_co_u32 v20, s1, s10, v20
	s_delay_alu instid0(VALU_DEP_4) | instskip(SKIP_1) | instid1(VALU_DEP_4)
	v_cndmask_b32_e64 v27, v27, 7, s0
	v_add_co_ci_u32_e64 v21, s1, s11, v21, s1
	v_cndmask_b32_e64 v26, v26, v7, s0
	s_delay_alu instid0(VALU_DEP_3)
	v_cmp_ne_u32_e64 s2, 0, v27
	v_cmp_le_i32_e64 s0, s5, v27
	v_cmp_gt_i32_e64 s1, s6, v27
	v_subrev_nc_u32_e32 v28, s5, v27
	v_add_f32_e32 v36, v17, v26
	v_cndmask_b32_e64 v29, 0xc61c4000, v8, s2
	v_cmp_ne_u32_e64 s2, 1, v27
	s_and_b32 s1, s0, s1
	v_cmp_ne_u32_e64 s0, 7, v27
	s_delay_alu instid0(VALU_DEP_2) | instskip(SKIP_1) | instid1(VALU_DEP_1)
	v_cndmask_b32_e64 v30, 0xc61c4000, v9, s2
	v_cmp_ne_u32_e64 s2, 2, v27
	v_cndmask_b32_e64 v31, 0xc61c4000, v10, s2
	v_cmp_ne_u32_e64 s2, 3, v27
	s_delay_alu instid0(VALU_DEP_1) | instskip(SKIP_1) | instid1(VALU_DEP_1)
	v_cndmask_b32_e64 v32, 0xc61c4000, v11, s2
	v_cmp_ne_u32_e64 s2, 4, v27
	v_cndmask_b32_e64 v33, 0xc61c4000, v12, s2
	v_cmp_ne_u32_e64 s2, 5, v27
	s_delay_alu instid0(VALU_DEP_1)
	v_cndmask_b32_e64 v34, 0xc61c4000, v13, s2
	v_cmp_ne_u32_e64 s2, 6, v27
	v_cndmask_b32_e64 v27, 0xc61c4000, v15, s0
	s_and_b32 s0, s15, s1
	s_cmp_lt_i32 s16, s4
	v_cndmask_b32_e64 v28, 8, v28, s0
	v_cndmask_b32_e64 v35, 0xc61c4000, v14, s2
	s_cselect_b32 s0, -1, 0
	global_store_b32 v[24:25], v28, off
	global_store_b32 v[20:21], v19, off
	v_add_nc_u32_e32 v19, s14, v19
	v_cndmask_b32_e32 v17, v17, v36, vcc_lo
	v_cndmask_b32_e64 v15, v15, v27, s0
	v_cndmask_b32_e64 v14, v14, v35, s0
	;; [unrolled: 1-line block ×8, first 2 shown]
	s_cmp_eq_u32 s4, s16
	global_store_b32 v[22:23], v26, off
	s_cbranch_scc0 .LBB276_8
; %bb.9:
	s_and_b32 vcc_lo, exec_lo, vcc_lo
	s_cbranch_vccnz .LBB276_12
	s_branch .LBB276_15
.LBB276_10:
                                        ; implicit-def: $vgpr8_vgpr9_vgpr10_vgpr11_vgpr12_vgpr13_vgpr14_vgpr15
	s_and_not1_b32 vcc_lo, exec_lo, s9
	s_cbranch_vccz .LBB276_5
	s_branch .LBB276_6
.LBB276_11:
	v_mov_b32_e32 v17, 0
	s_and_b32 vcc_lo, exec_lo, vcc_lo
	s_cbranch_vccz .LBB276_15
.LBB276_12:
	s_and_not1_b32 vcc_lo, exec_lo, s7
	s_cbranch_vccnz .LBB276_15
; %bb.13:
	v_mul_lo_u32 v0, v16, s4
	v_cmp_lt_f32_e32 vcc_lo, 0, v17
	v_cndmask_b32_e32 v2, 1.0, v17, vcc_lo
	s_delay_alu instid0(VALU_DEP_3) | instskip(NEXT) | instid1(VALU_DEP_1)
	v_ashrrev_i32_e32 v1, 31, v0
	v_lshlrev_b64 v[0:1], 2, v[0:1]
	s_delay_alu instid0(VALU_DEP_1) | instskip(NEXT) | instid1(VALU_DEP_2)
	v_add_co_u32 v0, vcc_lo, s12, v0
	v_add_co_ci_u32_e32 v1, vcc_lo, s13, v1, vcc_lo
	.p2align	6
.LBB276_14:                             ; =>This Inner Loop Header: Depth=1
	global_load_b32 v3, v[0:1], off
	s_add_i32 s4, s4, -1
	s_delay_alu instid0(SALU_CYCLE_1) | instskip(SKIP_3) | instid1(VALU_DEP_2)
	s_cmp_lg_u32 s4, 0
	s_waitcnt vmcnt(0)
	v_div_scale_f32 v4, null, v2, v2, v3
	v_div_scale_f32 v7, vcc_lo, v3, v2, v3
	v_rcp_f32_e32 v5, v4
	s_waitcnt_depctr 0xfff
	v_fma_f32 v6, -v4, v5, 1.0
	s_delay_alu instid0(VALU_DEP_1) | instskip(NEXT) | instid1(VALU_DEP_1)
	v_fmac_f32_e32 v5, v6, v5
	v_mul_f32_e32 v6, v7, v5
	s_delay_alu instid0(VALU_DEP_1) | instskip(NEXT) | instid1(VALU_DEP_1)
	v_fma_f32 v8, -v4, v6, v7
	v_fmac_f32_e32 v6, v8, v5
	s_delay_alu instid0(VALU_DEP_1) | instskip(NEXT) | instid1(VALU_DEP_1)
	v_fma_f32 v4, -v4, v6, v7
	v_div_fmas_f32 v4, v4, v5, v6
	s_delay_alu instid0(VALU_DEP_1)
	v_div_fixup_f32 v3, v4, v2, v3
	global_store_b32 v[0:1], v3, off
	v_add_co_u32 v0, vcc_lo, v0, 4
	v_add_co_ci_u32_e32 v1, vcc_lo, 0, v1, vcc_lo
	s_cbranch_scc1 .LBB276_14
.LBB276_15:
	s_nop 0
	s_sendmsg sendmsg(MSG_DEALLOC_VGPRS)
	s_endpgm
	.section	.rodata,"a",@progbits
	.p2align	6, 0x0
	.amdhsa_kernel _ZN4vllm3moe10topkGatingILi8ELi8ELi4ELi16ELi64Ej6__halfLNS0_11ScoringFuncE1EEEvPKT5_PKbPfiPT4_PiiiibPKf
		.amdhsa_group_segment_fixed_size 0
		.amdhsa_private_segment_fixed_size 0
		.amdhsa_kernarg_size 72
		.amdhsa_user_sgpr_count 15
		.amdhsa_user_sgpr_dispatch_ptr 0
		.amdhsa_user_sgpr_queue_ptr 0
		.amdhsa_user_sgpr_kernarg_segment_ptr 1
		.amdhsa_user_sgpr_dispatch_id 0
		.amdhsa_user_sgpr_private_segment_size 0
		.amdhsa_wavefront_size32 1
		.amdhsa_uses_dynamic_stack 0
		.amdhsa_enable_private_segment 0
		.amdhsa_system_sgpr_workgroup_id_x 1
		.amdhsa_system_sgpr_workgroup_id_y 0
		.amdhsa_system_sgpr_workgroup_id_z 0
		.amdhsa_system_sgpr_workgroup_info 0
		.amdhsa_system_vgpr_workitem_id 1
		.amdhsa_next_free_vgpr 45
		.amdhsa_next_free_sgpr 17
		.amdhsa_reserve_vcc 1
		.amdhsa_float_round_mode_32 0
		.amdhsa_float_round_mode_16_64 0
		.amdhsa_float_denorm_mode_32 3
		.amdhsa_float_denorm_mode_16_64 3
		.amdhsa_dx10_clamp 1
		.amdhsa_ieee_mode 1
		.amdhsa_fp16_overflow 0
		.amdhsa_workgroup_processor_mode 1
		.amdhsa_memory_ordered 1
		.amdhsa_forward_progress 0
		.amdhsa_shared_vgpr_count 0
		.amdhsa_exception_fp_ieee_invalid_op 0
		.amdhsa_exception_fp_denorm_src 0
		.amdhsa_exception_fp_ieee_div_zero 0
		.amdhsa_exception_fp_ieee_overflow 0
		.amdhsa_exception_fp_ieee_underflow 0
		.amdhsa_exception_fp_ieee_inexact 0
		.amdhsa_exception_int_div_zero 0
	.end_amdhsa_kernel
	.section	.text._ZN4vllm3moe10topkGatingILi8ELi8ELi4ELi16ELi64Ej6__halfLNS0_11ScoringFuncE1EEEvPKT5_PKbPfiPT4_PiiiibPKf,"axG",@progbits,_ZN4vllm3moe10topkGatingILi8ELi8ELi4ELi16ELi64Ej6__halfLNS0_11ScoringFuncE1EEEvPKT5_PKbPfiPT4_PiiiibPKf,comdat
.Lfunc_end276:
	.size	_ZN4vllm3moe10topkGatingILi8ELi8ELi4ELi16ELi64Ej6__halfLNS0_11ScoringFuncE1EEEvPKT5_PKbPfiPT4_PiiiibPKf, .Lfunc_end276-_ZN4vllm3moe10topkGatingILi8ELi8ELi4ELi16ELi64Ej6__halfLNS0_11ScoringFuncE1EEEvPKT5_PKbPfiPT4_PiiiibPKf
                                        ; -- End function
	.section	.AMDGPU.csdata,"",@progbits
; Kernel info:
; codeLenInByte = 2240
; NumSgprs: 19
; NumVgprs: 45
; ScratchSize: 0
; MemoryBound: 0
; FloatMode: 240
; IeeeMode: 1
; LDSByteSize: 0 bytes/workgroup (compile time only)
; SGPRBlocks: 2
; VGPRBlocks: 5
; NumSGPRsForWavesPerEU: 19
; NumVGPRsForWavesPerEU: 45
; Occupancy: 16
; WaveLimiterHint : 0
; COMPUTE_PGM_RSRC2:SCRATCH_EN: 0
; COMPUTE_PGM_RSRC2:USER_SGPR: 15
; COMPUTE_PGM_RSRC2:TRAP_HANDLER: 0
; COMPUTE_PGM_RSRC2:TGID_X_EN: 1
; COMPUTE_PGM_RSRC2:TGID_Y_EN: 0
; COMPUTE_PGM_RSRC2:TGID_Z_EN: 0
; COMPUTE_PGM_RSRC2:TIDIG_COMP_CNT: 1
	.section	.text._ZN4vllm3moe10topkGatingILi8ELi8ELi4ELi16ELi32Ej6__halfLNS0_11ScoringFuncE1EEEvPKT5_PKbPfiPT4_PiiiibPKf,"axG",@progbits,_ZN4vllm3moe10topkGatingILi8ELi8ELi4ELi16ELi32Ej6__halfLNS0_11ScoringFuncE1EEEvPKT5_PKbPfiPT4_PiiiibPKf,comdat
	.protected	_ZN4vllm3moe10topkGatingILi8ELi8ELi4ELi16ELi32Ej6__halfLNS0_11ScoringFuncE1EEEvPKT5_PKbPfiPT4_PiiiibPKf ; -- Begin function _ZN4vllm3moe10topkGatingILi8ELi8ELi4ELi16ELi32Ej6__halfLNS0_11ScoringFuncE1EEEvPKT5_PKbPfiPT4_PiiiibPKf
	.globl	_ZN4vllm3moe10topkGatingILi8ELi8ELi4ELi16ELi32Ej6__halfLNS0_11ScoringFuncE1EEEvPKT5_PKbPfiPT4_PiiiibPKf
	.p2align	8
	.type	_ZN4vllm3moe10topkGatingILi8ELi8ELi4ELi16ELi32Ej6__halfLNS0_11ScoringFuncE1EEEvPKT5_PKbPfiPT4_PiiiibPKf,@function
_ZN4vllm3moe10topkGatingILi8ELi8ELi4ELi16ELi32Ej6__halfLNS0_11ScoringFuncE1EEEvPKT5_PKbPfiPT4_PiiiibPKf: ; @_ZN4vllm3moe10topkGatingILi8ELi8ELi4ELi16ELi32Ej6__halfLNS0_11ScoringFuncE1EEEvPKT5_PKbPfiPT4_PiiiibPKf
; %bb.0:
	s_load_b32 s14, s[0:1], 0x18
	v_bfe_u32 v1, v0, 10, 10
	v_and_b32_e32 v0, 0x3ff, v0
	s_lshl_b32 s2, s15, 7
	s_delay_alu instid0(VALU_DEP_2) | instskip(NEXT) | instid1(VALU_DEP_1)
	v_lshlrev_b32_e32 v1, 5, v1
	v_add3_u32 v16, v1, v0, s2
	s_mov_b32 s2, exec_lo
	s_waitcnt lgkmcnt(0)
	s_delay_alu instid0(VALU_DEP_1)
	v_cmpx_gt_i32_e64 s14, v16
	s_cbranch_execz .LBB277_15
; %bb.1:
	s_clause 0x1
	s_load_b128 s[4:7], s[0:1], 0x0
	s_load_b64 s[12:13], s[0:1], 0x10
	s_mov_b32 s9, -1
	s_mov_b32 s15, -1
	s_waitcnt lgkmcnt(0)
	s_cmp_eq_u64 s[6:7], 0
	s_cbranch_scc1 .LBB277_3
; %bb.2:
	v_ashrrev_i32_e32 v1, 31, v16
	v_add_co_u32 v0, vcc_lo, s6, v16
	s_delay_alu instid0(VALU_DEP_2) | instskip(SKIP_3) | instid1(VALU_DEP_1)
	v_add_co_ci_u32_e32 v1, vcc_lo, s7, v1, vcc_lo
	global_load_u8 v0, v[0:1], off
	s_waitcnt vmcnt(0)
	v_and_b32_e32 v0, 1, v0
	v_cmp_eq_u32_e32 vcc_lo, 1, v0
	s_xor_b32 s2, vcc_lo, -1
	s_delay_alu instid0(SALU_CYCLE_1)
	s_or_not1_b32 s15, s2, exec_lo
.LBB277_3:
	v_lshlrev_b32_e32 v0, 3, v16
	s_load_b64 s[10:11], s[0:1], 0x40
	s_delay_alu instid0(VALU_DEP_1) | instskip(NEXT) | instid1(VALU_DEP_1)
	v_ashrrev_i32_e32 v1, 31, v0
	v_lshlrev_b64 v[0:1], 1, v[0:1]
	s_delay_alu instid0(VALU_DEP_1) | instskip(NEXT) | instid1(VALU_DEP_2)
	v_add_co_u32 v0, vcc_lo, s4, v0
	v_add_co_ci_u32_e32 v1, vcc_lo, s5, v1, vcc_lo
	s_waitcnt lgkmcnt(0)
	s_cmp_eq_u64 s[10:11], 0
	global_load_b128 v[0:3], v[0:1], off
	s_waitcnt vmcnt(0)
	v_cvt_f32_f16_e32 v4, v0
	v_lshrrev_b32_e32 v0, 16, v0
	v_cvt_f32_f16_e32 v7, v3
	v_lshrrev_b32_e32 v3, 16, v3
	v_cvt_f32_f16_e32 v5, v1
	v_mul_f32_e32 v4, 0xbfb8aa3b, v4
	v_cvt_f32_f16_e32 v0, v0
	v_mul_f32_e32 v7, 0xbfb8aa3b, v7
	v_cvt_f32_f16_e32 v3, v3
	v_lshrrev_b32_e32 v1, 16, v1
	v_exp_f32_e32 v4, v4
	v_cvt_f32_f16_e32 v6, v2
	v_lshrrev_b32_e32 v2, 16, v2
	v_dual_mul_f32 v5, 0xbfb8aa3b, v5 :: v_dual_mul_f32 v0, 0xbfb8aa3b, v0
	v_mul_f32_e32 v3, 0xbfb8aa3b, v3
	v_exp_f32_e32 v7, v7
	v_cvt_f32_f16_e32 v1, v1
	v_cvt_f32_f16_e32 v2, v2
	v_mul_f32_e32 v6, 0xbfb8aa3b, v6
	v_exp_f32_e32 v5, v5
	v_exp_f32_e32 v0, v0
	v_mul_f32_e32 v1, 0xbfb8aa3b, v1
	v_exp_f32_e32 v3, v3
	v_add_f32_e32 v4, 1.0, v4
	v_exp_f32_e32 v6, v6
	v_dual_add_f32 v7, 1.0, v7 :: v_dual_mul_f32 v2, 0xbfb8aa3b, v2
	v_exp_f32_e32 v1, v1
	s_delay_alu instid0(VALU_DEP_2) | instskip(SKIP_1) | instid1(VALU_DEP_3)
	v_div_scale_f32 v8, null, v4, v4, 1.0
	v_add_f32_e32 v5, 1.0, v5
	v_exp_f32_e32 v2, v2
	v_dual_add_f32 v0, 1.0, v0 :: v_dual_add_f32 v17, 1.0, v3
	s_delay_alu instid0(VALU_DEP_3) | instskip(SKIP_2) | instid1(TRANS32_DEP_3)
	v_rcp_f32_e32 v3, v8
	v_add_f32_e32 v6, 1.0, v6
	v_div_scale_f32 v10, null, v5, v5, 1.0
	v_add_f32_e32 v1, 1.0, v1
	v_div_scale_f32 v18, null, v0, v0, 1.0
	s_delay_alu instid0(VALU_DEP_4) | instskip(NEXT) | instid1(VALU_DEP_4)
	v_div_scale_f32 v12, null, v6, v6, 1.0
	v_rcp_f32_e32 v20, v10
	s_delay_alu instid0(TRANS32_DEP_2) | instskip(SKIP_3) | instid1(VALU_DEP_3)
	v_fma_f32 v32, -v8, v3, 1.0
	v_add_f32_e32 v14, 1.0, v2
	v_div_scale_f32 v2, null, v7, v7, 1.0
	v_rcp_f32_e32 v23, v12
	v_fmac_f32_e32 v3, v32, v3
	s_delay_alu instid0(VALU_DEP_3) | instskip(NEXT) | instid1(VALU_DEP_3)
	v_div_scale_f32 v24, null, v14, v14, 1.0
	v_rcp_f32_e32 v26, v2
	v_div_scale_f32 v27, null, v17, v17, 1.0
	v_rcp_f32_e32 v28, v18
	;; [unrolled: 2-line block ×3, first 2 shown]
	s_delay_alu instid0(VALU_DEP_2) | instskip(SKIP_1) | instid1(VALU_DEP_2)
	v_rcp_f32_e32 v33, v27
	v_div_scale_f32 v9, vcc_lo, 1.0, v4, 1.0
	v_rcp_f32_e32 v30, v21
	v_fma_f32 v34, -v10, v20, 1.0
	v_fma_f32 v35, -v12, v23, 1.0
	;; [unrolled: 1-line block ×4, first 2 shown]
	v_div_scale_f32 v11, s2, 1.0, v5, 1.0
	v_div_scale_f32 v19, s5, 1.0, v0, 1.0
	v_dual_fmac_f32 v20, v34, v20 :: v_dual_fmac_f32 v23, v35, v23
	v_fma_f32 v35, -v24, v31, 1.0
	v_dual_fmac_f32 v26, v36, v26 :: v_dual_mul_f32 v37, v9, v3
	v_fma_f32 v36, -v27, v33, 1.0
	s_delay_alu instid0(VALU_DEP_3) | instskip(SKIP_1) | instid1(VALU_DEP_3)
	v_dual_fmac_f32 v28, v32, v28 :: v_dual_fmac_f32 v31, v35, v31
	v_fma_f32 v34, -v21, v30, 1.0
	v_dual_mul_f32 v32, v11, v20 :: v_dual_fmac_f32 v33, v36, v33
	v_fma_f32 v36, -v8, v37, v9
	s_delay_alu instid0(VALU_DEP_4) | instskip(NEXT) | instid1(VALU_DEP_4)
	v_mul_f32_e32 v38, v19, v28
	v_fmac_f32_e32 v30, v34, v30
	v_div_scale_f32 v22, s6, 1.0, v1, 1.0
	s_delay_alu instid0(VALU_DEP_4) | instskip(NEXT) | instid1(VALU_DEP_4)
	v_fmac_f32_e32 v37, v36, v3
	v_fma_f32 v36, -v18, v38, v19
	v_div_scale_f32 v13, s3, 1.0, v6, 1.0
	v_div_scale_f32 v15, s4, 1.0, v7, 1.0
	s_delay_alu instid0(VALU_DEP_4) | instskip(NEXT) | instid1(VALU_DEP_4)
	v_fma_f32 v8, -v8, v37, v9
	v_fmac_f32_e32 v38, v36, v28
	v_fma_f32 v39, -v10, v32, v11
	v_div_scale_f32 v25, s7, 1.0, v14, 1.0
	s_delay_alu instid0(VALU_DEP_4) | instskip(NEXT) | instid1(VALU_DEP_4)
	v_div_fmas_f32 v3, v8, v3, v37
	v_fma_f32 v8, -v18, v38, v19
	s_mov_b32 vcc_lo, s5
	v_dual_mul_f32 v34, v13, v23 :: v_dual_mul_f32 v35, v15, v26
	s_delay_alu instid0(VALU_DEP_3) | instskip(NEXT) | instid1(VALU_DEP_3)
	v_div_fixup_f32 v3, v3, v4, 1.0
	v_div_fmas_f32 v4, v8, v28, v38
	v_fmac_f32_e32 v32, v39, v20
	s_delay_alu instid0(VALU_DEP_4)
	v_fma_f32 v41, -v12, v34, v13
	v_fma_f32 v43, -v2, v35, v15
	v_mul_f32_e32 v42, v25, v31
	v_div_fixup_f32 v4, v4, v0, 1.0
	v_mul_f32_e32 v40, v22, v30
	v_div_scale_f32 v29, s8, 1.0, v17, 1.0
	v_fma_f32 v9, -v10, v32, v11
	v_fmac_f32_e32 v34, v41, v23
	s_delay_alu instid0(VALU_DEP_4)
	v_fma_f32 v39, -v21, v40, v22
	v_fmac_f32_e32 v35, v43, v26
	v_fma_f32 v41, -v24, v42, v25
	s_mov_b32 vcc_lo, s2
	v_mul_f32_e32 v44, v29, v33
	v_fmac_f32_e32 v40, v39, v30
	v_div_fmas_f32 v8, v9, v20, v32
	s_mov_b32 vcc_lo, s6
	v_fmac_f32_e32 v42, v41, v31
	v_fma_f32 v10, -v12, v34, v13
	v_fma_f32 v11, -v21, v40, v22
	;; [unrolled: 1-line block ×5, first 2 shown]
	v_div_fixup_f32 v5, v8, v5, 1.0
	v_div_fmas_f32 v9, v11, v30, v40
	v_cmp_class_f32_e64 vcc_lo, v3, 0x1f8
	v_fmac_f32_e32 v44, v43, v33
	s_delay_alu instid0(VALU_DEP_3) | instskip(SKIP_2) | instid1(VALU_DEP_3)
	v_div_fixup_f32 v9, v9, v1, 1.0
	v_cndmask_b32_e32 v0, 0, v3, vcc_lo
	s_mov_b32 vcc_lo, s3
	v_fma_f32 v13, -v27, v44, v29
	v_div_fmas_f32 v3, v10, v23, v34
	s_mov_b32 vcc_lo, s7
	v_div_fmas_f32 v8, v12, v31, v42
	s_mov_b32 vcc_lo, s4
	v_div_fmas_f32 v10, v2, v26, v35
	v_cmp_class_f32_e64 vcc_lo, v4, 0x1f8
	s_delay_alu instid0(VALU_DEP_2)
	v_div_fixup_f32 v7, v10, v7, 1.0
	v_cndmask_b32_e32 v1, 0, v4, vcc_lo
	s_mov_b32 vcc_lo, s8
	v_div_fixup_f32 v4, v3, v6, 1.0
	v_div_fmas_f32 v6, v13, v33, v44
	v_cmp_class_f32_e64 vcc_lo, v5, 0x1f8
	v_cndmask_b32_e32 v2, 0, v5, vcc_lo
	v_cmp_class_f32_e64 vcc_lo, v9, 0x1f8
	v_div_fixup_f32 v5, v8, v14, 1.0
	v_div_fixup_f32 v8, v6, v17, 1.0
	v_cndmask_b32_e32 v3, 0, v9, vcc_lo
	v_cmp_class_f32_e64 vcc_lo, v4, 0x1f8
	v_cndmask_b32_e32 v4, 0, v4, vcc_lo
	v_cmp_class_f32_e64 vcc_lo, v5, 0x1f8
	;; [unrolled: 2-line block ×4, first 2 shown]
	v_cndmask_b32_e32 v7, 0, v8, vcc_lo
	s_cbranch_scc1 .LBB277_10
; %bb.4:
	s_load_b256 s[4:11], s[10:11], 0x0
	s_waitcnt lgkmcnt(0)
	v_dual_add_f32 v8, s4, v0 :: v_dual_add_f32 v9, s5, v1
	v_dual_add_f32 v10, s6, v2 :: v_dual_add_f32 v11, s7, v3
	;; [unrolled: 1-line block ×4, first 2 shown]
	s_cbranch_execnz .LBB277_6
.LBB277_5:
	v_dual_mov_b32 v15, v7 :: v_dual_mov_b32 v14, v6
	v_dual_mov_b32 v13, v5 :: v_dual_mov_b32 v12, v4
	;; [unrolled: 1-line block ×4, first 2 shown]
.LBB277_6:
	s_load_b128 s[4:7], s[0:1], 0x30
	s_mov_b32 s16, 0
	s_waitcnt lgkmcnt(0)
	s_bitcmp1_b32 s7, 0
	s_cselect_b32 vcc_lo, -1, 0
	s_cmp_gt_i32 s4, 0
	s_cselect_b32 s7, -1, 0
	s_cmp_lt_i32 s4, 1
	s_cbranch_scc1 .LBB277_11
; %bb.7:
	s_load_b128 s[8:11], s[0:1], 0x20
	v_mul_lo_u32 v18, v16, s4
	v_mov_b32_e32 v17, 0
	v_mov_b32_e32 v19, v16
.LBB277_8:                              ; =>This Inner Loop Header: Depth=1
	v_cmp_gt_f32_e64 s0, v9, v8
	s_delay_alu instid0(VALU_DEP_1) | instskip(SKIP_2) | instid1(VALU_DEP_3)
	v_cndmask_b32_e64 v21, v8, v9, s0
	v_cndmask_b32_e64 v20, 0, 1, s0
	;; [unrolled: 1-line block ×3, first 2 shown]
	v_cmp_gt_f32_e64 s1, v10, v21
	s_delay_alu instid0(VALU_DEP_1) | instskip(NEXT) | instid1(VALU_DEP_4)
	v_cndmask_b32_e64 v21, v21, v10, s1
	v_cndmask_b32_e64 v20, v20, 2, s1
	s_delay_alu instid0(VALU_DEP_4) | instskip(NEXT) | instid1(VALU_DEP_3)
	v_cndmask_b32_e64 v22, v22, v2, s1
	v_cmp_gt_f32_e64 s2, v11, v21
	s_delay_alu instid0(VALU_DEP_1) | instskip(NEXT) | instid1(VALU_DEP_4)
	v_cndmask_b32_e64 v21, v21, v11, s2
	v_cndmask_b32_e64 v20, v20, 3, s2
	s_delay_alu instid0(VALU_DEP_4) | instskip(NEXT) | instid1(VALU_DEP_3)
	v_cndmask_b32_e64 v22, v22, v3, s2
	v_cmp_gt_f32_e64 s3, v12, v21
	s_delay_alu instid0(VALU_DEP_1) | instskip(NEXT) | instid1(VALU_DEP_4)
	v_cndmask_b32_e64 v24, v21, v12, s3
	v_cndmask_b32_e64 v23, v20, 4, s3
	v_add_nc_u32_e32 v20, s16, v18
	v_cndmask_b32_e64 v26, v22, v4, s3
	s_add_i32 s16, s16, 1
	v_cmp_gt_f32_e64 s0, v13, v24
	s_delay_alu instid0(VALU_DEP_3) | instskip(NEXT) | instid1(VALU_DEP_2)
	v_ashrrev_i32_e32 v21, 31, v20
	v_cndmask_b32_e64 v24, v24, v13, s0
	v_cndmask_b32_e64 v25, v23, 5, s0
	s_delay_alu instid0(VALU_DEP_3) | instskip(SKIP_1) | instid1(VALU_DEP_4)
	v_lshlrev_b64 v[20:21], 2, v[20:21]
	v_cndmask_b32_e64 v26, v26, v5, s0
	v_cmp_gt_f32_e64 s1, v14, v24
	s_delay_alu instid0(VALU_DEP_3) | instskip(NEXT) | instid1(VALU_DEP_2)
	v_add_co_u32 v22, s2, s12, v20
	v_cndmask_b32_e64 v28, v24, v14, s1
	s_waitcnt lgkmcnt(0)
	v_add_co_u32 v24, s0, s8, v20
	v_cndmask_b32_e64 v27, v25, 6, s1
	v_add_co_ci_u32_e64 v25, s0, s9, v21, s0
	v_cmp_gt_f32_e64 s0, v15, v28
	v_add_co_ci_u32_e64 v23, s2, s13, v21, s2
	v_cndmask_b32_e64 v26, v26, v6, s1
	v_add_co_u32 v20, s1, s10, v20
	s_delay_alu instid0(VALU_DEP_4) | instskip(SKIP_1) | instid1(VALU_DEP_4)
	v_cndmask_b32_e64 v27, v27, 7, s0
	v_add_co_ci_u32_e64 v21, s1, s11, v21, s1
	v_cndmask_b32_e64 v26, v26, v7, s0
	s_delay_alu instid0(VALU_DEP_3)
	v_cmp_ne_u32_e64 s2, 0, v27
	v_cmp_le_i32_e64 s0, s5, v27
	v_cmp_gt_i32_e64 s1, s6, v27
	v_subrev_nc_u32_e32 v28, s5, v27
	v_add_f32_e32 v36, v17, v26
	v_cndmask_b32_e64 v29, 0xc61c4000, v8, s2
	v_cmp_ne_u32_e64 s2, 1, v27
	s_and_b32 s1, s0, s1
	v_cmp_ne_u32_e64 s0, 7, v27
	s_delay_alu instid0(VALU_DEP_2) | instskip(SKIP_1) | instid1(VALU_DEP_1)
	v_cndmask_b32_e64 v30, 0xc61c4000, v9, s2
	v_cmp_ne_u32_e64 s2, 2, v27
	v_cndmask_b32_e64 v31, 0xc61c4000, v10, s2
	v_cmp_ne_u32_e64 s2, 3, v27
	s_delay_alu instid0(VALU_DEP_1) | instskip(SKIP_1) | instid1(VALU_DEP_1)
	v_cndmask_b32_e64 v32, 0xc61c4000, v11, s2
	v_cmp_ne_u32_e64 s2, 4, v27
	v_cndmask_b32_e64 v33, 0xc61c4000, v12, s2
	v_cmp_ne_u32_e64 s2, 5, v27
	s_delay_alu instid0(VALU_DEP_1)
	v_cndmask_b32_e64 v34, 0xc61c4000, v13, s2
	v_cmp_ne_u32_e64 s2, 6, v27
	v_cndmask_b32_e64 v27, 0xc61c4000, v15, s0
	s_and_b32 s0, s15, s1
	s_cmp_lt_i32 s16, s4
	v_cndmask_b32_e64 v28, 8, v28, s0
	v_cndmask_b32_e64 v35, 0xc61c4000, v14, s2
	s_cselect_b32 s0, -1, 0
	global_store_b32 v[24:25], v28, off
	global_store_b32 v[20:21], v19, off
	v_add_nc_u32_e32 v19, s14, v19
	v_cndmask_b32_e32 v17, v17, v36, vcc_lo
	v_cndmask_b32_e64 v15, v15, v27, s0
	v_cndmask_b32_e64 v14, v14, v35, s0
	;; [unrolled: 1-line block ×8, first 2 shown]
	s_cmp_eq_u32 s4, s16
	global_store_b32 v[22:23], v26, off
	s_cbranch_scc0 .LBB277_8
; %bb.9:
	s_and_b32 vcc_lo, exec_lo, vcc_lo
	s_cbranch_vccnz .LBB277_12
	s_branch .LBB277_15
.LBB277_10:
                                        ; implicit-def: $vgpr8_vgpr9_vgpr10_vgpr11_vgpr12_vgpr13_vgpr14_vgpr15
	s_and_not1_b32 vcc_lo, exec_lo, s9
	s_cbranch_vccz .LBB277_5
	s_branch .LBB277_6
.LBB277_11:
	v_mov_b32_e32 v17, 0
	s_and_b32 vcc_lo, exec_lo, vcc_lo
	s_cbranch_vccz .LBB277_15
.LBB277_12:
	s_and_not1_b32 vcc_lo, exec_lo, s7
	s_cbranch_vccnz .LBB277_15
; %bb.13:
	v_mul_lo_u32 v0, v16, s4
	v_cmp_lt_f32_e32 vcc_lo, 0, v17
	v_cndmask_b32_e32 v2, 1.0, v17, vcc_lo
	s_delay_alu instid0(VALU_DEP_3) | instskip(NEXT) | instid1(VALU_DEP_1)
	v_ashrrev_i32_e32 v1, 31, v0
	v_lshlrev_b64 v[0:1], 2, v[0:1]
	s_delay_alu instid0(VALU_DEP_1) | instskip(NEXT) | instid1(VALU_DEP_2)
	v_add_co_u32 v0, vcc_lo, s12, v0
	v_add_co_ci_u32_e32 v1, vcc_lo, s13, v1, vcc_lo
	.p2align	6
.LBB277_14:                             ; =>This Inner Loop Header: Depth=1
	global_load_b32 v3, v[0:1], off
	s_add_i32 s4, s4, -1
	s_delay_alu instid0(SALU_CYCLE_1) | instskip(SKIP_3) | instid1(VALU_DEP_2)
	s_cmp_lg_u32 s4, 0
	s_waitcnt vmcnt(0)
	v_div_scale_f32 v4, null, v2, v2, v3
	v_div_scale_f32 v7, vcc_lo, v3, v2, v3
	v_rcp_f32_e32 v5, v4
	s_waitcnt_depctr 0xfff
	v_fma_f32 v6, -v4, v5, 1.0
	s_delay_alu instid0(VALU_DEP_1) | instskip(NEXT) | instid1(VALU_DEP_1)
	v_fmac_f32_e32 v5, v6, v5
	v_mul_f32_e32 v6, v7, v5
	s_delay_alu instid0(VALU_DEP_1) | instskip(NEXT) | instid1(VALU_DEP_1)
	v_fma_f32 v8, -v4, v6, v7
	v_fmac_f32_e32 v6, v8, v5
	s_delay_alu instid0(VALU_DEP_1) | instskip(NEXT) | instid1(VALU_DEP_1)
	v_fma_f32 v4, -v4, v6, v7
	v_div_fmas_f32 v4, v4, v5, v6
	s_delay_alu instid0(VALU_DEP_1)
	v_div_fixup_f32 v3, v4, v2, v3
	global_store_b32 v[0:1], v3, off
	v_add_co_u32 v0, vcc_lo, v0, 4
	v_add_co_ci_u32_e32 v1, vcc_lo, 0, v1, vcc_lo
	s_cbranch_scc1 .LBB277_14
.LBB277_15:
	s_nop 0
	s_sendmsg sendmsg(MSG_DEALLOC_VGPRS)
	s_endpgm
	.section	.rodata,"a",@progbits
	.p2align	6, 0x0
	.amdhsa_kernel _ZN4vllm3moe10topkGatingILi8ELi8ELi4ELi16ELi32Ej6__halfLNS0_11ScoringFuncE1EEEvPKT5_PKbPfiPT4_PiiiibPKf
		.amdhsa_group_segment_fixed_size 0
		.amdhsa_private_segment_fixed_size 0
		.amdhsa_kernarg_size 72
		.amdhsa_user_sgpr_count 15
		.amdhsa_user_sgpr_dispatch_ptr 0
		.amdhsa_user_sgpr_queue_ptr 0
		.amdhsa_user_sgpr_kernarg_segment_ptr 1
		.amdhsa_user_sgpr_dispatch_id 0
		.amdhsa_user_sgpr_private_segment_size 0
		.amdhsa_wavefront_size32 1
		.amdhsa_uses_dynamic_stack 0
		.amdhsa_enable_private_segment 0
		.amdhsa_system_sgpr_workgroup_id_x 1
		.amdhsa_system_sgpr_workgroup_id_y 0
		.amdhsa_system_sgpr_workgroup_id_z 0
		.amdhsa_system_sgpr_workgroup_info 0
		.amdhsa_system_vgpr_workitem_id 1
		.amdhsa_next_free_vgpr 45
		.amdhsa_next_free_sgpr 17
		.amdhsa_reserve_vcc 1
		.amdhsa_float_round_mode_32 0
		.amdhsa_float_round_mode_16_64 0
		.amdhsa_float_denorm_mode_32 3
		.amdhsa_float_denorm_mode_16_64 3
		.amdhsa_dx10_clamp 1
		.amdhsa_ieee_mode 1
		.amdhsa_fp16_overflow 0
		.amdhsa_workgroup_processor_mode 1
		.amdhsa_memory_ordered 1
		.amdhsa_forward_progress 0
		.amdhsa_shared_vgpr_count 0
		.amdhsa_exception_fp_ieee_invalid_op 0
		.amdhsa_exception_fp_denorm_src 0
		.amdhsa_exception_fp_ieee_div_zero 0
		.amdhsa_exception_fp_ieee_overflow 0
		.amdhsa_exception_fp_ieee_underflow 0
		.amdhsa_exception_fp_ieee_inexact 0
		.amdhsa_exception_int_div_zero 0
	.end_amdhsa_kernel
	.section	.text._ZN4vllm3moe10topkGatingILi8ELi8ELi4ELi16ELi32Ej6__halfLNS0_11ScoringFuncE1EEEvPKT5_PKbPfiPT4_PiiiibPKf,"axG",@progbits,_ZN4vllm3moe10topkGatingILi8ELi8ELi4ELi16ELi32Ej6__halfLNS0_11ScoringFuncE1EEEvPKT5_PKbPfiPT4_PiiiibPKf,comdat
.Lfunc_end277:
	.size	_ZN4vllm3moe10topkGatingILi8ELi8ELi4ELi16ELi32Ej6__halfLNS0_11ScoringFuncE1EEEvPKT5_PKbPfiPT4_PiiiibPKf, .Lfunc_end277-_ZN4vllm3moe10topkGatingILi8ELi8ELi4ELi16ELi32Ej6__halfLNS0_11ScoringFuncE1EEEvPKT5_PKbPfiPT4_PiiiibPKf
                                        ; -- End function
	.section	.AMDGPU.csdata,"",@progbits
; Kernel info:
; codeLenInByte = 2240
; NumSgprs: 19
; NumVgprs: 45
; ScratchSize: 0
; MemoryBound: 0
; FloatMode: 240
; IeeeMode: 1
; LDSByteSize: 0 bytes/workgroup (compile time only)
; SGPRBlocks: 2
; VGPRBlocks: 5
; NumSGPRsForWavesPerEU: 19
; NumVGPRsForWavesPerEU: 45
; Occupancy: 16
; WaveLimiterHint : 0
; COMPUTE_PGM_RSRC2:SCRATCH_EN: 0
; COMPUTE_PGM_RSRC2:USER_SGPR: 15
; COMPUTE_PGM_RSRC2:TRAP_HANDLER: 0
; COMPUTE_PGM_RSRC2:TGID_X_EN: 1
; COMPUTE_PGM_RSRC2:TGID_Y_EN: 0
; COMPUTE_PGM_RSRC2:TGID_Z_EN: 0
; COMPUTE_PGM_RSRC2:TIDIG_COMP_CNT: 1
	.section	.text._ZN4vllm3moe10topkGatingILi8ELi16ELi4ELi16ELi64Ej6__halfLNS0_11ScoringFuncE1EEEvPKT5_PKbPfiPT4_PiiiibPKf,"axG",@progbits,_ZN4vllm3moe10topkGatingILi8ELi16ELi4ELi16ELi64Ej6__halfLNS0_11ScoringFuncE1EEEvPKT5_PKbPfiPT4_PiiiibPKf,comdat
	.protected	_ZN4vllm3moe10topkGatingILi8ELi16ELi4ELi16ELi64Ej6__halfLNS0_11ScoringFuncE1EEEvPKT5_PKbPfiPT4_PiiiibPKf ; -- Begin function _ZN4vllm3moe10topkGatingILi8ELi16ELi4ELi16ELi64Ej6__halfLNS0_11ScoringFuncE1EEEvPKT5_PKbPfiPT4_PiiiibPKf
	.globl	_ZN4vllm3moe10topkGatingILi8ELi16ELi4ELi16ELi64Ej6__halfLNS0_11ScoringFuncE1EEEvPKT5_PKbPfiPT4_PiiiibPKf
	.p2align	8
	.type	_ZN4vllm3moe10topkGatingILi8ELi16ELi4ELi16ELi64Ej6__halfLNS0_11ScoringFuncE1EEEvPKT5_PKbPfiPT4_PiiiibPKf,@function
_ZN4vllm3moe10topkGatingILi8ELi16ELi4ELi16ELi64Ej6__halfLNS0_11ScoringFuncE1EEEvPKT5_PKbPfiPT4_PiiiibPKf: ; @_ZN4vllm3moe10topkGatingILi8ELi16ELi4ELi16ELi64Ej6__halfLNS0_11ScoringFuncE1EEEvPKT5_PKbPfiPT4_PiiiibPKf
; %bb.0:
	s_load_b32 s18, s[0:1], 0x18
	v_bfe_u32 v1, v0, 10, 10
	v_and_b32_e32 v0, 0x3ff, v0
	s_lshl_b32 s2, s15, 7
	s_delay_alu instid0(VALU_DEP_2) | instskip(NEXT) | instid1(VALU_DEP_2)
	v_lshlrev_b32_e32 v1, 5, v1
	v_lshrrev_b32_e32 v2, 1, v0
	s_delay_alu instid0(VALU_DEP_1) | instskip(SKIP_2) | instid1(VALU_DEP_1)
	v_add3_u32 v16, s2, v1, v2
	s_mov_b32 s2, exec_lo
	s_waitcnt lgkmcnt(0)
	v_cmpx_gt_i32_e64 s18, v16
	s_cbranch_execz .LBB278_25
; %bb.1:
	s_clause 0x1
	s_load_b128 s[4:7], s[0:1], 0x0
	s_load_b64 s[16:17], s[0:1], 0x10
	s_mov_b32 s9, -1
	s_mov_b32 s19, -1
	s_waitcnt lgkmcnt(0)
	s_cmp_eq_u64 s[6:7], 0
	s_cbranch_scc1 .LBB278_3
; %bb.2:
	v_ashrrev_i32_e32 v2, 31, v16
	v_add_co_u32 v1, vcc_lo, s6, v16
	s_delay_alu instid0(VALU_DEP_2) | instskip(SKIP_3) | instid1(VALU_DEP_1)
	v_add_co_ci_u32_e32 v2, vcc_lo, s7, v2, vcc_lo
	global_load_u8 v1, v[1:2], off
	s_waitcnt vmcnt(0)
	v_and_b32_e32 v1, 1, v1
	v_cmp_eq_u32_e32 vcc_lo, 1, v1
	s_xor_b32 s2, vcc_lo, -1
	s_delay_alu instid0(SALU_CYCLE_1)
	s_or_not1_b32 s19, s2, exec_lo
.LBB278_3:
	v_lshlrev_b32_e32 v1, 4, v16
	v_and_b32_e32 v17, 1, v0
	s_load_b64 s[10:11], s[0:1], 0x40
	s_delay_alu instid0(VALU_DEP_2) | instskip(NEXT) | instid1(VALU_DEP_1)
	v_ashrrev_i32_e32 v2, 31, v1
	v_lshlrev_b64 v[0:1], 1, v[1:2]
	s_delay_alu instid0(VALU_DEP_3) | instskip(NEXT) | instid1(VALU_DEP_2)
	v_lshlrev_b32_e32 v2, 4, v17
	v_add_co_u32 v0, vcc_lo, s4, v0
	s_delay_alu instid0(VALU_DEP_3) | instskip(NEXT) | instid1(VALU_DEP_2)
	v_add_co_ci_u32_e32 v1, vcc_lo, s5, v1, vcc_lo
	v_add_co_u32 v0, vcc_lo, v0, v2
	s_delay_alu instid0(VALU_DEP_2)
	v_add_co_ci_u32_e32 v1, vcc_lo, 0, v1, vcc_lo
	s_waitcnt lgkmcnt(0)
	s_cmp_eq_u64 s[10:11], 0
	global_load_b128 v[0:3], v[0:1], off
	s_waitcnt vmcnt(0)
	v_cvt_f32_f16_e32 v4, v0
	v_lshrrev_b32_e32 v0, 16, v0
	v_cvt_f32_f16_e32 v5, v1
	v_lshrrev_b32_e32 v1, 16, v1
	v_cvt_f32_f16_e32 v6, v2
	v_lshrrev_b32_e32 v2, 16, v2
	v_cvt_f32_f16_e32 v7, v3
	v_lshrrev_b32_e32 v3, 16, v3
	v_dual_mul_f32 v4, 0xbfb8aa3b, v4 :: v_dual_mul_f32 v5, 0xbfb8aa3b, v5
	v_cvt_f32_f16_e32 v0, v0
	v_cvt_f32_f16_e32 v1, v1
	;; [unrolled: 1-line block ×4, first 2 shown]
	v_dual_mul_f32 v6, 0xbfb8aa3b, v6 :: v_dual_mul_f32 v7, 0xbfb8aa3b, v7
	v_exp_f32_e32 v4, v4
	v_dual_mul_f32 v0, 0xbfb8aa3b, v0 :: v_dual_mul_f32 v1, 0xbfb8aa3b, v1
	v_exp_f32_e32 v5, v5
	s_delay_alu instid0(VALU_DEP_2)
	v_exp_f32_e32 v6, v6
	v_mul_f32_e32 v2, 0xbfb8aa3b, v2
	v_exp_f32_e32 v7, v7
	v_dual_mul_f32 v3, 0xbfb8aa3b, v3 :: v_dual_lshlrev_b32 v18, 3, v17
	v_exp_f32_e32 v0, v0
	v_exp_f32_e32 v1, v1
	;; [unrolled: 1-line block ×3, first 2 shown]
	s_delay_alu instid0(VALU_DEP_1) | instskip(SKIP_2) | instid1(VALU_DEP_2)
	v_exp_f32_e32 v3, v3
	v_dual_add_f32 v4, 1.0, v4 :: v_dual_add_f32 v5, 1.0, v5
	v_dual_add_f32 v6, 1.0, v6 :: v_dual_add_f32 v7, 1.0, v7
	v_div_scale_f32 v8, null, v4, v4, 1.0
	s_delay_alu instid0(TRANS32_DEP_3) | instskip(NEXT) | instid1(VALU_DEP_4)
	v_dual_add_f32 v0, 1.0, v0 :: v_dual_add_f32 v1, 1.0, v1
	v_div_scale_f32 v10, null, v5, v5, 1.0
	s_delay_alu instid0(VALU_DEP_4) | instskip(NEXT) | instid1(TRANS32_DEP_1)
	v_div_scale_f32 v12, null, v6, v6, 1.0
	v_dual_add_f32 v14, 1.0, v2 :: v_dual_add_f32 v19, 1.0, v3
	v_div_scale_f32 v2, null, v7, v7, 1.0
	v_rcp_f32_e32 v3, v8
	v_div_scale_f32 v20, null, v0, v0, 1.0
	v_rcp_f32_e32 v22, v10
	;; [unrolled: 2-line block ×3, first 2 shown]
	v_rcp_f32_e32 v28, v2
	v_div_scale_f32 v29, null, v19, v19, 1.0
	v_rcp_f32_e32 v30, v20
	v_div_scale_f32 v26, null, v14, v14, 1.0
	v_rcp_f32_e32 v32, v23
	v_fma_f32 v34, -v8, v3, 1.0
	v_rcp_f32_e32 v35, v29
	v_div_scale_f32 v9, vcc_lo, 1.0, v4, 1.0
	v_rcp_f32_e32 v33, v26
	v_fma_f32 v36, -v10, v22, 1.0
	v_fma_f32 v37, -v12, v25, 1.0
	;; [unrolled: 1-line block ×3, first 2 shown]
	v_fmac_f32_e32 v3, v34, v3
	v_fma_f32 v34, -v20, v30, 1.0
	v_fmac_f32_e32 v22, v36, v22
	v_div_scale_f32 v11, s2, 1.0, v5, 1.0
	v_fma_f32 v36, -v23, v32, 1.0
	v_dual_fmac_f32 v25, v37, v25 :: v_dual_fmac_f32 v28, v38, v28
	v_fma_f32 v38, -v29, v35, 1.0
	v_dual_mul_f32 v39, v9, v3 :: v_dual_fmac_f32 v30, v34, v30
	v_div_scale_f32 v21, s5, 1.0, v0, 1.0
	v_div_scale_f32 v24, s6, 1.0, v1, 1.0
	v_fma_f32 v37, -v26, v33, 1.0
	v_mul_f32_e32 v34, v11, v22
	v_dual_fmac_f32 v32, v36, v32 :: v_dual_fmac_f32 v35, v38, v35
	v_fma_f32 v38, -v8, v39, v9
	v_mul_f32_e32 v40, v21, v30
	v_div_scale_f32 v13, s3, 1.0, v6, 1.0
	v_div_scale_f32 v15, s4, 1.0, v7, 1.0
	s_delay_alu instid0(VALU_DEP_4)
	v_fmac_f32_e32 v39, v38, v3
	v_fmac_f32_e32 v33, v37, v33
	v_fma_f32 v41, -v10, v34, v11
	v_mul_f32_e32 v42, v24, v32
	v_fma_f32 v38, -v20, v40, v21
	v_div_scale_f32 v27, s7, 1.0, v14, 1.0
	v_dual_mul_f32 v36, v13, v25 :: v_dual_mul_f32 v37, v15, v28
	v_fmac_f32_e32 v34, v41, v22
	v_fma_f32 v41, -v23, v42, v24
	v_fma_f32 v8, -v8, v39, v9
	v_fmac_f32_e32 v40, v38, v30
	v_fma_f32 v43, -v12, v36, v13
	v_fma_f32 v45, -v2, v37, v15
	v_mul_f32_e32 v44, v27, v33
	v_fmac_f32_e32 v42, v41, v32
	v_div_fmas_f32 v3, v8, v3, v39
	v_fma_f32 v8, -v20, v40, v21
	v_fmac_f32_e32 v37, v45, v28
	v_fma_f32 v9, -v10, v34, v11
	v_fmac_f32_e32 v36, v43, v25
	v_fma_f32 v43, -v26, v44, v27
	s_mov_b32 vcc_lo, s5
	v_fma_f32 v11, -v23, v42, v24
	v_div_fixup_f32 v3, v3, v4, 1.0
	v_div_fmas_f32 v4, v8, v30, v40
	s_mov_b32 vcc_lo, s2
	v_fmac_f32_e32 v44, v43, v33
	v_div_fmas_f32 v8, v9, v22, v34
	s_mov_b32 vcc_lo, s6
	v_fma_f32 v10, -v12, v36, v13
	v_div_fmas_f32 v9, v11, v32, v42
	v_cmp_class_f32_e64 vcc_lo, v3, 0x1f8
	v_fma_f32 v12, -v26, v44, v27
	v_div_fixup_f32 v4, v4, v0, 1.0
	v_div_scale_f32 v31, s8, 1.0, v19, 1.0
	v_cndmask_b32_e32 v0, 0, v3, vcc_lo
	s_mov_b32 vcc_lo, s3
	v_fma_f32 v2, -v2, v37, v15
	v_div_fmas_f32 v3, v10, v25, v36
	s_mov_b32 vcc_lo, s7
	v_div_fixup_f32 v5, v8, v5, 1.0
	v_div_fmas_f32 v8, v12, v33, v44
	s_mov_b32 vcc_lo, s4
	v_div_fixup_f32 v9, v9, v1, 1.0
	v_div_fmas_f32 v10, v2, v28, v37
	v_cmp_class_f32_e64 vcc_lo, v4, 0x1f8
	v_mul_f32_e32 v46, v31, v35
	s_delay_alu instid0(VALU_DEP_3) | instskip(SKIP_1) | instid1(VALU_DEP_3)
	v_div_fixup_f32 v7, v10, v7, 1.0
	v_cndmask_b32_e32 v1, 0, v4, vcc_lo
	v_fma_f32 v45, -v29, v46, v31
	s_mov_b32 vcc_lo, s8
	v_div_fixup_f32 v4, v3, v6, 1.0
	s_delay_alu instid0(VALU_DEP_2) | instskip(NEXT) | instid1(VALU_DEP_1)
	v_fmac_f32_e32 v46, v45, v35
	v_fma_f32 v13, -v29, v46, v31
	s_delay_alu instid0(VALU_DEP_1)
	v_div_fmas_f32 v6, v13, v35, v46
	v_cmp_class_f32_e64 vcc_lo, v5, 0x1f8
	v_cndmask_b32_e32 v2, 0, v5, vcc_lo
	v_cmp_class_f32_e64 vcc_lo, v9, 0x1f8
	v_div_fixup_f32 v5, v8, v14, 1.0
	v_div_fixup_f32 v8, v6, v19, 1.0
	v_cndmask_b32_e32 v3, 0, v9, vcc_lo
	v_cmp_class_f32_e64 vcc_lo, v4, 0x1f8
	v_cndmask_b32_e32 v4, 0, v4, vcc_lo
	v_cmp_class_f32_e64 vcc_lo, v5, 0x1f8
	;; [unrolled: 2-line block ×4, first 2 shown]
	v_cndmask_b32_e32 v7, 0, v8, vcc_lo
	s_cbranch_scc1 .LBB278_19
; %bb.4:
	v_lshlrev_b32_e32 v12, 2, v18
	s_clause 0x1
	global_load_b128 v[8:11], v12, s[10:11]
	global_load_b128 v[12:15], v12, s[10:11] offset:16
	s_waitcnt vmcnt(1)
	v_dual_add_f32 v9, v9, v1 :: v_dual_add_f32 v8, v8, v0
	v_dual_add_f32 v11, v11, v3 :: v_dual_add_f32 v10, v10, v2
	s_waitcnt vmcnt(0)
	v_dual_add_f32 v13, v13, v5 :: v_dual_add_f32 v12, v12, v4
	v_dual_add_f32 v15, v15, v7 :: v_dual_add_f32 v14, v14, v6
	s_cbranch_execnz .LBB278_6
.LBB278_5:
	v_dual_mov_b32 v15, v7 :: v_dual_mov_b32 v14, v6
	v_dual_mov_b32 v13, v5 :: v_dual_mov_b32 v12, v4
	;; [unrolled: 1-line block ×4, first 2 shown]
.LBB278_6:
	s_load_b128 s[8:11], s[0:1], 0x30
	v_cmp_eq_u32_e64 s2, 0, v17
	s_mov_b32 s6, 0
	s_waitcnt lgkmcnt(0)
	s_bitcmp1_b32 s11, 0
	s_cselect_b32 vcc_lo, -1, 0
	s_cmp_gt_i32 s8, 0
	s_cselect_b32 s5, -1, 0
	s_cmp_lt_i32 s8, 1
	s_cbranch_scc1 .LBB278_20
; %bb.7:
	v_mbcnt_lo_u32_b32 v19, -1, 0
	s_load_b128 s[12:15], s[0:1], 0x20
	v_mov_b32_e32 v22, v16
	s_delay_alu instid0(VALU_DEP_2) | instskip(SKIP_1) | instid1(VALU_DEP_2)
	v_and_b32_e32 v20, 30, v19
	v_xor_b32_e32 v21, 1, v19
	v_add_nc_u32_e32 v20, 2, v20
	s_delay_alu instid0(VALU_DEP_1) | instskip(SKIP_1) | instid1(VALU_DEP_2)
	v_cmp_lt_i32_e64 s0, v21, v20
	v_mul_lo_u32 v20, v16, s8
	v_cndmask_b32_e64 v21, v19, v21, s0
	v_mov_b32_e32 v19, 0
	s_delay_alu instid0(VALU_DEP_2)
	v_lshlrev_b32_e32 v21, 2, v21
	s_branch .LBB278_10
.LBB278_8:                              ;   in Loop: Header=BB278_10 Depth=1
	s_or_b32 exec_lo, exec_lo, s1
.LBB278_9:                              ;   in Loop: Header=BB278_10 Depth=1
	v_add_nc_u32_e32 v22, s18, v22
	s_cmp_eq_u32 s8, s6
	s_cbranch_scc1 .LBB278_21
.LBB278_10:                             ; =>This Inner Loop Header: Depth=1
	v_cmp_gt_f32_e64 s0, v9, v8
	s_delay_alu instid0(VALU_DEP_1) | instskip(SKIP_2) | instid1(VALU_DEP_3)
	v_cndmask_b32_e64 v24, v8, v9, s0
	v_cndmask_b32_e64 v23, 0, 1, s0
	;; [unrolled: 1-line block ×3, first 2 shown]
	v_cmp_gt_f32_e64 s1, v10, v24
	s_delay_alu instid0(VALU_DEP_1) | instskip(NEXT) | instid1(VALU_DEP_4)
	v_cndmask_b32_e64 v24, v24, v10, s1
	v_cndmask_b32_e64 v23, v23, 2, s1
	s_delay_alu instid0(VALU_DEP_4) | instskip(NEXT) | instid1(VALU_DEP_3)
	v_cndmask_b32_e64 v25, v25, v2, s1
	v_cmp_gt_f32_e64 s3, v11, v24
	s_delay_alu instid0(VALU_DEP_1) | instskip(NEXT) | instid1(VALU_DEP_4)
	v_cndmask_b32_e64 v24, v24, v11, s3
	v_cndmask_b32_e64 v23, v23, 3, s3
	s_delay_alu instid0(VALU_DEP_4) | instskip(NEXT) | instid1(VALU_DEP_3)
	v_cndmask_b32_e64 v25, v25, v3, s3
	v_cmp_gt_f32_e64 s4, v12, v24
	s_delay_alu instid0(VALU_DEP_1) | instskip(NEXT) | instid1(VALU_DEP_4)
	v_cndmask_b32_e64 v24, v24, v12, s4
	v_cndmask_b32_e64 v23, v23, 4, s4
	s_delay_alu instid0(VALU_DEP_4) | instskip(SKIP_1) | instid1(VALU_DEP_3)
	v_cndmask_b32_e64 v25, v25, v4, s4
	s_mov_b32 s4, exec_lo
	v_cmp_gt_f32_e64 s0, v13, v24
	s_delay_alu instid0(VALU_DEP_1) | instskip(SKIP_2) | instid1(VALU_DEP_3)
	v_cndmask_b32_e64 v24, v24, v13, s0
	v_cndmask_b32_e64 v23, v23, 5, s0
	;; [unrolled: 1-line block ×3, first 2 shown]
	v_cmp_gt_f32_e64 s1, v14, v24
	s_delay_alu instid0(VALU_DEP_1) | instskip(NEXT) | instid1(VALU_DEP_4)
	v_cndmask_b32_e64 v24, v24, v14, s1
	v_cndmask_b32_e64 v23, v23, 6, s1
	s_delay_alu instid0(VALU_DEP_4) | instskip(NEXT) | instid1(VALU_DEP_3)
	v_cndmask_b32_e64 v25, v25, v6, s1
	v_cmp_gt_f32_e64 s0, v15, v24
	s_delay_alu instid0(VALU_DEP_1) | instskip(SKIP_1) | instid1(VALU_DEP_4)
	v_cndmask_b32_e64 v23, v23, 7, s0
	v_cndmask_b32_e64 v27, v24, v15, s0
	;; [unrolled: 1-line block ×3, first 2 shown]
	s_delay_alu instid0(VALU_DEP_3)
	v_or_b32_e32 v23, v18, v23
	ds_bpermute_b32 v28, v21, v27
	ds_bpermute_b32 v25, v21, v24
	;; [unrolled: 1-line block ×3, first 2 shown]
	s_waitcnt lgkmcnt(0)
	v_cmp_lt_f32_e64 s3, v27, v28
	v_cmpx_nlt_f32_e32 v27, v28
	s_cbranch_execnz .LBB278_14
; %bb.11:                               ;   in Loop: Header=BB278_10 Depth=1
	s_or_b32 exec_lo, exec_lo, s4
	s_delay_alu instid0(VALU_DEP_2)
	s_and_saveexec_b32 s0, s3
	s_cbranch_execnz .LBB278_15
.LBB278_12:                             ;   in Loop: Header=BB278_10 Depth=1
	s_or_b32 exec_lo, exec_lo, s0
	s_and_saveexec_b32 s3, s2
	s_cbranch_execnz .LBB278_16
.LBB278_13:                             ;   in Loop: Header=BB278_10 Depth=1
	s_or_b32 exec_lo, exec_lo, s3
	s_add_i32 s6, s6, 1
	s_delay_alu instid0(SALU_CYCLE_1)
	s_cmp_ge_i32 s6, s8
	s_cbranch_scc1 .LBB278_9
	s_branch .LBB278_17
.LBB278_14:                             ;   in Loop: Header=BB278_10 Depth=1
	v_cmp_eq_f32_e64 s0, v27, v28
	v_cmp_lt_i32_e64 s1, v26, v23
	s_delay_alu instid0(VALU_DEP_1) | instskip(SKIP_2) | instid1(SALU_CYCLE_1)
	s_and_b32 s0, s0, s1
	s_and_not1_b32 s1, s3, exec_lo
	s_and_b32 s0, s0, exec_lo
	s_or_b32 s3, s1, s0
	s_or_b32 exec_lo, exec_lo, s4
	s_and_saveexec_b32 s0, s3
	s_cbranch_execz .LBB278_12
.LBB278_15:                             ;   in Loop: Header=BB278_10 Depth=1
	v_dual_mov_b32 v23, v26 :: v_dual_mov_b32 v24, v25
	s_or_b32 exec_lo, exec_lo, s0
	s_and_saveexec_b32 s3, s2
	s_cbranch_execz .LBB278_13
.LBB278_16:                             ;   in Loop: Header=BB278_10 Depth=1
	v_add_nc_u32_e32 v25, s6, v20
	v_cmp_le_i32_e64 s0, s9, v23
	v_cmp_gt_i32_e64 s1, s10, v23
	v_subrev_nc_u32_e32 v27, s9, v23
	v_add_f32_e32 v32, v19, v24
	v_ashrrev_i32_e32 v26, 31, v25
	s_delay_alu instid0(VALU_DEP_4) | instskip(NEXT) | instid1(SALU_CYCLE_1)
	s_and_b32 s0, s0, s1
	s_and_b32 s0, s19, s0
	s_delay_alu instid0(VALU_DEP_1) | instskip(SKIP_2) | instid1(VALU_DEP_3)
	v_lshlrev_b64 v[25:26], 2, v[25:26]
	v_cndmask_b32_e64 v31, 16, v27, s0
	v_cndmask_b32_e32 v19, v19, v32, vcc_lo
	v_add_co_u32 v27, s0, s16, v25
	s_delay_alu instid0(VALU_DEP_1) | instskip(SKIP_1) | instid1(VALU_DEP_1)
	v_add_co_ci_u32_e64 v28, s0, s17, v26, s0
	v_add_co_u32 v29, s0, s12, v25
	v_add_co_ci_u32_e64 v30, s0, s13, v26, s0
	v_add_co_u32 v25, s0, s14, v25
	s_delay_alu instid0(VALU_DEP_1)
	v_add_co_ci_u32_e64 v26, s0, s15, v26, s0
	global_store_b32 v[27:28], v24, off
	global_store_b32 v[29:30], v31, off
	;; [unrolled: 1-line block ×3, first 2 shown]
	s_or_b32 exec_lo, exec_lo, s3
	s_add_i32 s6, s6, 1
	s_delay_alu instid0(SALU_CYCLE_1)
	s_cmp_ge_i32 s6, s8
	s_cbranch_scc1 .LBB278_9
.LBB278_17:                             ;   in Loop: Header=BB278_10 Depth=1
	v_ashrrev_i32_e32 v25, 31, v23
	s_mov_b32 s1, exec_lo
	s_delay_alu instid0(VALU_DEP_1) | instskip(NEXT) | instid1(VALU_DEP_1)
	v_lshrrev_b32_e32 v24, 29, v25
	v_add_nc_u32_e32 v26, v23, v24
	s_delay_alu instid0(VALU_DEP_1) | instskip(SKIP_1) | instid1(VALU_DEP_1)
	v_ashrrev_i32_e32 v24, 3, v26
	v_lshrrev_b32_e32 v26, 31, v26
	v_add_nc_u32_e32 v26, v24, v26
	s_delay_alu instid0(VALU_DEP_1) | instskip(NEXT) | instid1(VALU_DEP_1)
	v_and_b32_e32 v26, -2, v26
	v_sub_nc_u32_e32 v26, v24, v26
	s_delay_alu instid0(VALU_DEP_1)
	v_cmpx_eq_u32_e64 v17, v26
	s_cbranch_execz .LBB278_8
; %bb.18:                               ;   in Loop: Header=BB278_10 Depth=1
	v_lshrrev_b32_e32 v25, 28, v25
	v_lshlrev_b32_e32 v24, 3, v24
	s_delay_alu instid0(VALU_DEP_2) | instskip(NEXT) | instid1(VALU_DEP_2)
	v_add_nc_u32_e32 v25, v23, v25
	v_sub_nc_u32_e32 v23, v23, v24
	s_delay_alu instid0(VALU_DEP_2) | instskip(NEXT) | instid1(VALU_DEP_1)
	v_ashrrev_i32_e32 v24, 4, v25
	v_lshl_add_u32 v23, v24, 3, v23
	s_delay_alu instid0(VALU_DEP_1) | instskip(NEXT) | instid1(VALU_DEP_1)
	v_cmp_ne_u32_e64 s0, 7, v23
	v_cndmask_b32_e64 v15, 0xc61c4000, v15, s0
	v_cmp_ne_u32_e64 s0, 6, v23
	s_delay_alu instid0(VALU_DEP_1) | instskip(SKIP_1) | instid1(VALU_DEP_1)
	v_cndmask_b32_e64 v14, 0xc61c4000, v14, s0
	v_cmp_ne_u32_e64 s0, 5, v23
	v_cndmask_b32_e64 v13, 0xc61c4000, v13, s0
	v_cmp_ne_u32_e64 s0, 4, v23
	s_delay_alu instid0(VALU_DEP_1) | instskip(SKIP_1) | instid1(VALU_DEP_1)
	v_cndmask_b32_e64 v12, 0xc61c4000, v12, s0
	;; [unrolled: 5-line block ×3, first 2 shown]
	v_cmp_ne_u32_e64 s0, 1, v23
	v_cndmask_b32_e64 v9, 0xc61c4000, v9, s0
	v_cmp_ne_u32_e64 s0, 0, v23
	s_delay_alu instid0(VALU_DEP_1)
	v_cndmask_b32_e64 v8, 0xc61c4000, v8, s0
	s_branch .LBB278_8
.LBB278_19:
                                        ; implicit-def: $vgpr8_vgpr9_vgpr10_vgpr11_vgpr12_vgpr13_vgpr14_vgpr15
	s_and_not1_b32 vcc_lo, exec_lo, s9
	s_cbranch_vccz .LBB278_5
	s_branch .LBB278_6
.LBB278_20:
	v_mov_b32_e32 v19, 0
.LBB278_21:
	v_cmp_eq_u32_e64 s0, 0, v17
	s_delay_alu instid0(VALU_DEP_1) | instskip(NEXT) | instid1(SALU_CYCLE_1)
	s_and_b32 s0, s0, vcc_lo
	s_and_b32 exec_lo, exec_lo, s0
	s_cbranch_execz .LBB278_25
; %bb.22:
	s_and_not1_b32 vcc_lo, exec_lo, s5
	s_cbranch_vccnz .LBB278_25
; %bb.23:
	v_mul_lo_u32 v0, v16, s8
	v_cmp_lt_f32_e32 vcc_lo, 0, v19
	v_cndmask_b32_e32 v2, 1.0, v19, vcc_lo
	s_delay_alu instid0(VALU_DEP_3) | instskip(NEXT) | instid1(VALU_DEP_1)
	v_ashrrev_i32_e32 v1, 31, v0
	v_lshlrev_b64 v[0:1], 2, v[0:1]
	s_delay_alu instid0(VALU_DEP_1) | instskip(NEXT) | instid1(VALU_DEP_2)
	v_add_co_u32 v0, vcc_lo, s16, v0
	v_add_co_ci_u32_e32 v1, vcc_lo, s17, v1, vcc_lo
	.p2align	6
.LBB278_24:                             ; =>This Inner Loop Header: Depth=1
	global_load_b32 v3, v[0:1], off
	s_add_i32 s8, s8, -1
	s_delay_alu instid0(SALU_CYCLE_1) | instskip(SKIP_3) | instid1(VALU_DEP_2)
	s_cmp_lg_u32 s8, 0
	s_waitcnt vmcnt(0)
	v_div_scale_f32 v4, null, v2, v2, v3
	v_div_scale_f32 v7, vcc_lo, v3, v2, v3
	v_rcp_f32_e32 v5, v4
	s_waitcnt_depctr 0xfff
	v_fma_f32 v6, -v4, v5, 1.0
	s_delay_alu instid0(VALU_DEP_1) | instskip(NEXT) | instid1(VALU_DEP_1)
	v_fmac_f32_e32 v5, v6, v5
	v_mul_f32_e32 v6, v7, v5
	s_delay_alu instid0(VALU_DEP_1) | instskip(NEXT) | instid1(VALU_DEP_1)
	v_fma_f32 v8, -v4, v6, v7
	v_fmac_f32_e32 v6, v8, v5
	s_delay_alu instid0(VALU_DEP_1) | instskip(NEXT) | instid1(VALU_DEP_1)
	v_fma_f32 v4, -v4, v6, v7
	v_div_fmas_f32 v4, v4, v5, v6
	s_delay_alu instid0(VALU_DEP_1)
	v_div_fixup_f32 v3, v4, v2, v3
	global_store_b32 v[0:1], v3, off
	v_add_co_u32 v0, vcc_lo, v0, 4
	v_add_co_ci_u32_e32 v1, vcc_lo, 0, v1, vcc_lo
	s_cbranch_scc1 .LBB278_24
.LBB278_25:
	s_nop 0
	s_sendmsg sendmsg(MSG_DEALLOC_VGPRS)
	s_endpgm
	.section	.rodata,"a",@progbits
	.p2align	6, 0x0
	.amdhsa_kernel _ZN4vllm3moe10topkGatingILi8ELi16ELi4ELi16ELi64Ej6__halfLNS0_11ScoringFuncE1EEEvPKT5_PKbPfiPT4_PiiiibPKf
		.amdhsa_group_segment_fixed_size 0
		.amdhsa_private_segment_fixed_size 0
		.amdhsa_kernarg_size 72
		.amdhsa_user_sgpr_count 15
		.amdhsa_user_sgpr_dispatch_ptr 0
		.amdhsa_user_sgpr_queue_ptr 0
		.amdhsa_user_sgpr_kernarg_segment_ptr 1
		.amdhsa_user_sgpr_dispatch_id 0
		.amdhsa_user_sgpr_private_segment_size 0
		.amdhsa_wavefront_size32 1
		.amdhsa_uses_dynamic_stack 0
		.amdhsa_enable_private_segment 0
		.amdhsa_system_sgpr_workgroup_id_x 1
		.amdhsa_system_sgpr_workgroup_id_y 0
		.amdhsa_system_sgpr_workgroup_id_z 0
		.amdhsa_system_sgpr_workgroup_info 0
		.amdhsa_system_vgpr_workitem_id 1
		.amdhsa_next_free_vgpr 47
		.amdhsa_next_free_sgpr 20
		.amdhsa_reserve_vcc 1
		.amdhsa_float_round_mode_32 0
		.amdhsa_float_round_mode_16_64 0
		.amdhsa_float_denorm_mode_32 3
		.amdhsa_float_denorm_mode_16_64 3
		.amdhsa_dx10_clamp 1
		.amdhsa_ieee_mode 1
		.amdhsa_fp16_overflow 0
		.amdhsa_workgroup_processor_mode 1
		.amdhsa_memory_ordered 1
		.amdhsa_forward_progress 0
		.amdhsa_shared_vgpr_count 0
		.amdhsa_exception_fp_ieee_invalid_op 0
		.amdhsa_exception_fp_denorm_src 0
		.amdhsa_exception_fp_ieee_div_zero 0
		.amdhsa_exception_fp_ieee_overflow 0
		.amdhsa_exception_fp_ieee_underflow 0
		.amdhsa_exception_fp_ieee_inexact 0
		.amdhsa_exception_int_div_zero 0
	.end_amdhsa_kernel
	.section	.text._ZN4vllm3moe10topkGatingILi8ELi16ELi4ELi16ELi64Ej6__halfLNS0_11ScoringFuncE1EEEvPKT5_PKbPfiPT4_PiiiibPKf,"axG",@progbits,_ZN4vllm3moe10topkGatingILi8ELi16ELi4ELi16ELi64Ej6__halfLNS0_11ScoringFuncE1EEEvPKT5_PKbPfiPT4_PiiiibPKf,comdat
.Lfunc_end278:
	.size	_ZN4vllm3moe10topkGatingILi8ELi16ELi4ELi16ELi64Ej6__halfLNS0_11ScoringFuncE1EEEvPKT5_PKbPfiPT4_PiiiibPKf, .Lfunc_end278-_ZN4vllm3moe10topkGatingILi8ELi16ELi4ELi16ELi64Ej6__halfLNS0_11ScoringFuncE1EEEvPKT5_PKbPfiPT4_PiiiibPKf
                                        ; -- End function
	.section	.AMDGPU.csdata,"",@progbits
; Kernel info:
; codeLenInByte = 2580
; NumSgprs: 22
; NumVgprs: 47
; ScratchSize: 0
; MemoryBound: 0
; FloatMode: 240
; IeeeMode: 1
; LDSByteSize: 0 bytes/workgroup (compile time only)
; SGPRBlocks: 2
; VGPRBlocks: 5
; NumSGPRsForWavesPerEU: 22
; NumVGPRsForWavesPerEU: 47
; Occupancy: 16
; WaveLimiterHint : 0
; COMPUTE_PGM_RSRC2:SCRATCH_EN: 0
; COMPUTE_PGM_RSRC2:USER_SGPR: 15
; COMPUTE_PGM_RSRC2:TRAP_HANDLER: 0
; COMPUTE_PGM_RSRC2:TGID_X_EN: 1
; COMPUTE_PGM_RSRC2:TGID_Y_EN: 0
; COMPUTE_PGM_RSRC2:TGID_Z_EN: 0
; COMPUTE_PGM_RSRC2:TIDIG_COMP_CNT: 1
	.section	.text._ZN4vllm3moe10topkGatingILi8ELi16ELi4ELi16ELi32Ej6__halfLNS0_11ScoringFuncE1EEEvPKT5_PKbPfiPT4_PiiiibPKf,"axG",@progbits,_ZN4vllm3moe10topkGatingILi8ELi16ELi4ELi16ELi32Ej6__halfLNS0_11ScoringFuncE1EEEvPKT5_PKbPfiPT4_PiiiibPKf,comdat
	.protected	_ZN4vllm3moe10topkGatingILi8ELi16ELi4ELi16ELi32Ej6__halfLNS0_11ScoringFuncE1EEEvPKT5_PKbPfiPT4_PiiiibPKf ; -- Begin function _ZN4vllm3moe10topkGatingILi8ELi16ELi4ELi16ELi32Ej6__halfLNS0_11ScoringFuncE1EEEvPKT5_PKbPfiPT4_PiiiibPKf
	.globl	_ZN4vllm3moe10topkGatingILi8ELi16ELi4ELi16ELi32Ej6__halfLNS0_11ScoringFuncE1EEEvPKT5_PKbPfiPT4_PiiiibPKf
	.p2align	8
	.type	_ZN4vllm3moe10topkGatingILi8ELi16ELi4ELi16ELi32Ej6__halfLNS0_11ScoringFuncE1EEEvPKT5_PKbPfiPT4_PiiiibPKf,@function
_ZN4vllm3moe10topkGatingILi8ELi16ELi4ELi16ELi32Ej6__halfLNS0_11ScoringFuncE1EEEvPKT5_PKbPfiPT4_PiiiibPKf: ; @_ZN4vllm3moe10topkGatingILi8ELi16ELi4ELi16ELi32Ej6__halfLNS0_11ScoringFuncE1EEEvPKT5_PKbPfiPT4_PiiiibPKf
; %bb.0:
	s_load_b32 s18, s[0:1], 0x18
	v_bfe_u32 v1, v0, 10, 10
	v_and_b32_e32 v0, 0x3ff, v0
	s_lshl_b32 s2, s15, 6
	s_delay_alu instid0(VALU_DEP_2) | instskip(NEXT) | instid1(VALU_DEP_2)
	v_lshlrev_b32_e32 v1, 4, v1
	v_lshrrev_b32_e32 v2, 1, v0
	s_delay_alu instid0(VALU_DEP_1) | instskip(SKIP_2) | instid1(VALU_DEP_1)
	v_add3_u32 v16, s2, v1, v2
	s_mov_b32 s2, exec_lo
	s_waitcnt lgkmcnt(0)
	v_cmpx_gt_i32_e64 s18, v16
	s_cbranch_execz .LBB279_25
; %bb.1:
	s_clause 0x1
	s_load_b128 s[4:7], s[0:1], 0x0
	s_load_b64 s[16:17], s[0:1], 0x10
	s_mov_b32 s9, -1
	s_mov_b32 s19, -1
	s_waitcnt lgkmcnt(0)
	s_cmp_eq_u64 s[6:7], 0
	s_cbranch_scc1 .LBB279_3
; %bb.2:
	v_ashrrev_i32_e32 v2, 31, v16
	v_add_co_u32 v1, vcc_lo, s6, v16
	s_delay_alu instid0(VALU_DEP_2) | instskip(SKIP_3) | instid1(VALU_DEP_1)
	v_add_co_ci_u32_e32 v2, vcc_lo, s7, v2, vcc_lo
	global_load_u8 v1, v[1:2], off
	s_waitcnt vmcnt(0)
	v_and_b32_e32 v1, 1, v1
	v_cmp_eq_u32_e32 vcc_lo, 1, v1
	s_xor_b32 s2, vcc_lo, -1
	s_delay_alu instid0(SALU_CYCLE_1)
	s_or_not1_b32 s19, s2, exec_lo
.LBB279_3:
	v_lshlrev_b32_e32 v1, 4, v16
	v_and_b32_e32 v17, 1, v0
	s_load_b64 s[10:11], s[0:1], 0x40
	s_delay_alu instid0(VALU_DEP_2) | instskip(NEXT) | instid1(VALU_DEP_1)
	v_ashrrev_i32_e32 v2, 31, v1
	v_lshlrev_b64 v[0:1], 1, v[1:2]
	s_delay_alu instid0(VALU_DEP_3) | instskip(NEXT) | instid1(VALU_DEP_2)
	v_lshlrev_b32_e32 v2, 4, v17
	v_add_co_u32 v0, vcc_lo, s4, v0
	s_delay_alu instid0(VALU_DEP_3) | instskip(NEXT) | instid1(VALU_DEP_2)
	v_add_co_ci_u32_e32 v1, vcc_lo, s5, v1, vcc_lo
	v_add_co_u32 v0, vcc_lo, v0, v2
	s_delay_alu instid0(VALU_DEP_2)
	v_add_co_ci_u32_e32 v1, vcc_lo, 0, v1, vcc_lo
	s_waitcnt lgkmcnt(0)
	s_cmp_eq_u64 s[10:11], 0
	global_load_b128 v[0:3], v[0:1], off
	s_waitcnt vmcnt(0)
	v_cvt_f32_f16_e32 v4, v0
	v_lshrrev_b32_e32 v0, 16, v0
	v_cvt_f32_f16_e32 v5, v1
	v_lshrrev_b32_e32 v1, 16, v1
	;; [unrolled: 2-line block ×4, first 2 shown]
	v_dual_mul_f32 v4, 0xbfb8aa3b, v4 :: v_dual_mul_f32 v5, 0xbfb8aa3b, v5
	v_cvt_f32_f16_e32 v0, v0
	v_cvt_f32_f16_e32 v1, v1
	v_cvt_f32_f16_e32 v2, v2
	v_cvt_f32_f16_e32 v3, v3
	v_dual_mul_f32 v6, 0xbfb8aa3b, v6 :: v_dual_mul_f32 v7, 0xbfb8aa3b, v7
	v_exp_f32_e32 v4, v4
	v_dual_mul_f32 v0, 0xbfb8aa3b, v0 :: v_dual_mul_f32 v1, 0xbfb8aa3b, v1
	v_exp_f32_e32 v5, v5
	s_delay_alu instid0(VALU_DEP_2)
	v_exp_f32_e32 v6, v6
	v_mul_f32_e32 v2, 0xbfb8aa3b, v2
	v_exp_f32_e32 v7, v7
	v_dual_mul_f32 v3, 0xbfb8aa3b, v3 :: v_dual_lshlrev_b32 v18, 3, v17
	v_exp_f32_e32 v0, v0
	v_exp_f32_e32 v1, v1
	;; [unrolled: 1-line block ×3, first 2 shown]
	s_delay_alu instid0(VALU_DEP_1) | instskip(SKIP_2) | instid1(VALU_DEP_2)
	v_exp_f32_e32 v3, v3
	v_dual_add_f32 v4, 1.0, v4 :: v_dual_add_f32 v5, 1.0, v5
	v_dual_add_f32 v6, 1.0, v6 :: v_dual_add_f32 v7, 1.0, v7
	v_div_scale_f32 v8, null, v4, v4, 1.0
	s_delay_alu instid0(TRANS32_DEP_3) | instskip(NEXT) | instid1(VALU_DEP_4)
	v_dual_add_f32 v0, 1.0, v0 :: v_dual_add_f32 v1, 1.0, v1
	v_div_scale_f32 v10, null, v5, v5, 1.0
	s_delay_alu instid0(VALU_DEP_4) | instskip(NEXT) | instid1(TRANS32_DEP_1)
	v_div_scale_f32 v12, null, v6, v6, 1.0
	v_dual_add_f32 v14, 1.0, v2 :: v_dual_add_f32 v19, 1.0, v3
	v_div_scale_f32 v2, null, v7, v7, 1.0
	v_rcp_f32_e32 v3, v8
	v_div_scale_f32 v20, null, v0, v0, 1.0
	v_rcp_f32_e32 v22, v10
	;; [unrolled: 2-line block ×3, first 2 shown]
	v_rcp_f32_e32 v28, v2
	v_div_scale_f32 v29, null, v19, v19, 1.0
	v_rcp_f32_e32 v30, v20
	v_div_scale_f32 v26, null, v14, v14, 1.0
	v_rcp_f32_e32 v32, v23
	v_fma_f32 v34, -v8, v3, 1.0
	v_rcp_f32_e32 v35, v29
	v_div_scale_f32 v9, vcc_lo, 1.0, v4, 1.0
	v_rcp_f32_e32 v33, v26
	v_fma_f32 v36, -v10, v22, 1.0
	v_fma_f32 v37, -v12, v25, 1.0
	;; [unrolled: 1-line block ×3, first 2 shown]
	v_fmac_f32_e32 v3, v34, v3
	v_fma_f32 v34, -v20, v30, 1.0
	v_fmac_f32_e32 v22, v36, v22
	v_div_scale_f32 v11, s2, 1.0, v5, 1.0
	v_fma_f32 v36, -v23, v32, 1.0
	v_dual_fmac_f32 v25, v37, v25 :: v_dual_fmac_f32 v28, v38, v28
	v_fma_f32 v38, -v29, v35, 1.0
	v_dual_mul_f32 v39, v9, v3 :: v_dual_fmac_f32 v30, v34, v30
	v_div_scale_f32 v21, s5, 1.0, v0, 1.0
	v_div_scale_f32 v24, s6, 1.0, v1, 1.0
	v_fma_f32 v37, -v26, v33, 1.0
	v_mul_f32_e32 v34, v11, v22
	v_dual_fmac_f32 v32, v36, v32 :: v_dual_fmac_f32 v35, v38, v35
	v_fma_f32 v38, -v8, v39, v9
	v_mul_f32_e32 v40, v21, v30
	v_div_scale_f32 v13, s3, 1.0, v6, 1.0
	v_div_scale_f32 v15, s4, 1.0, v7, 1.0
	s_delay_alu instid0(VALU_DEP_4)
	v_fmac_f32_e32 v39, v38, v3
	v_fmac_f32_e32 v33, v37, v33
	v_fma_f32 v41, -v10, v34, v11
	v_mul_f32_e32 v42, v24, v32
	v_fma_f32 v38, -v20, v40, v21
	v_div_scale_f32 v27, s7, 1.0, v14, 1.0
	v_dual_mul_f32 v36, v13, v25 :: v_dual_mul_f32 v37, v15, v28
	v_fmac_f32_e32 v34, v41, v22
	v_fma_f32 v41, -v23, v42, v24
	v_fma_f32 v8, -v8, v39, v9
	v_fmac_f32_e32 v40, v38, v30
	v_fma_f32 v43, -v12, v36, v13
	v_fma_f32 v45, -v2, v37, v15
	v_mul_f32_e32 v44, v27, v33
	v_fmac_f32_e32 v42, v41, v32
	v_div_fmas_f32 v3, v8, v3, v39
	v_fma_f32 v8, -v20, v40, v21
	v_fmac_f32_e32 v37, v45, v28
	v_fma_f32 v9, -v10, v34, v11
	v_fmac_f32_e32 v36, v43, v25
	v_fma_f32 v43, -v26, v44, v27
	s_mov_b32 vcc_lo, s5
	v_fma_f32 v11, -v23, v42, v24
	v_div_fixup_f32 v3, v3, v4, 1.0
	v_div_fmas_f32 v4, v8, v30, v40
	s_mov_b32 vcc_lo, s2
	v_fmac_f32_e32 v44, v43, v33
	v_div_fmas_f32 v8, v9, v22, v34
	s_mov_b32 vcc_lo, s6
	v_fma_f32 v10, -v12, v36, v13
	v_div_fmas_f32 v9, v11, v32, v42
	v_cmp_class_f32_e64 vcc_lo, v3, 0x1f8
	v_fma_f32 v12, -v26, v44, v27
	v_div_fixup_f32 v4, v4, v0, 1.0
	v_div_scale_f32 v31, s8, 1.0, v19, 1.0
	v_cndmask_b32_e32 v0, 0, v3, vcc_lo
	s_mov_b32 vcc_lo, s3
	v_fma_f32 v2, -v2, v37, v15
	v_div_fmas_f32 v3, v10, v25, v36
	s_mov_b32 vcc_lo, s7
	v_div_fixup_f32 v5, v8, v5, 1.0
	v_div_fmas_f32 v8, v12, v33, v44
	s_mov_b32 vcc_lo, s4
	v_div_fixup_f32 v9, v9, v1, 1.0
	v_div_fmas_f32 v10, v2, v28, v37
	v_cmp_class_f32_e64 vcc_lo, v4, 0x1f8
	v_mul_f32_e32 v46, v31, v35
	s_delay_alu instid0(VALU_DEP_3) | instskip(SKIP_1) | instid1(VALU_DEP_3)
	v_div_fixup_f32 v7, v10, v7, 1.0
	v_cndmask_b32_e32 v1, 0, v4, vcc_lo
	v_fma_f32 v45, -v29, v46, v31
	s_mov_b32 vcc_lo, s8
	v_div_fixup_f32 v4, v3, v6, 1.0
	s_delay_alu instid0(VALU_DEP_2) | instskip(NEXT) | instid1(VALU_DEP_1)
	v_fmac_f32_e32 v46, v45, v35
	v_fma_f32 v13, -v29, v46, v31
	s_delay_alu instid0(VALU_DEP_1)
	v_div_fmas_f32 v6, v13, v35, v46
	v_cmp_class_f32_e64 vcc_lo, v5, 0x1f8
	v_cndmask_b32_e32 v2, 0, v5, vcc_lo
	v_cmp_class_f32_e64 vcc_lo, v9, 0x1f8
	v_div_fixup_f32 v5, v8, v14, 1.0
	v_div_fixup_f32 v8, v6, v19, 1.0
	v_cndmask_b32_e32 v3, 0, v9, vcc_lo
	v_cmp_class_f32_e64 vcc_lo, v4, 0x1f8
	v_cndmask_b32_e32 v4, 0, v4, vcc_lo
	v_cmp_class_f32_e64 vcc_lo, v5, 0x1f8
	;; [unrolled: 2-line block ×4, first 2 shown]
	v_cndmask_b32_e32 v7, 0, v8, vcc_lo
	s_cbranch_scc1 .LBB279_19
; %bb.4:
	v_lshlrev_b32_e32 v12, 2, v18
	s_clause 0x1
	global_load_b128 v[8:11], v12, s[10:11]
	global_load_b128 v[12:15], v12, s[10:11] offset:16
	s_waitcnt vmcnt(1)
	v_dual_add_f32 v9, v9, v1 :: v_dual_add_f32 v8, v8, v0
	v_dual_add_f32 v11, v11, v3 :: v_dual_add_f32 v10, v10, v2
	s_waitcnt vmcnt(0)
	v_dual_add_f32 v13, v13, v5 :: v_dual_add_f32 v12, v12, v4
	v_dual_add_f32 v15, v15, v7 :: v_dual_add_f32 v14, v14, v6
	s_cbranch_execnz .LBB279_6
.LBB279_5:
	v_dual_mov_b32 v15, v7 :: v_dual_mov_b32 v14, v6
	v_dual_mov_b32 v13, v5 :: v_dual_mov_b32 v12, v4
	;; [unrolled: 1-line block ×4, first 2 shown]
.LBB279_6:
	s_load_b128 s[8:11], s[0:1], 0x30
	v_cmp_eq_u32_e64 s2, 0, v17
	s_mov_b32 s6, 0
	s_waitcnt lgkmcnt(0)
	s_bitcmp1_b32 s11, 0
	s_cselect_b32 vcc_lo, -1, 0
	s_cmp_gt_i32 s8, 0
	s_cselect_b32 s5, -1, 0
	s_cmp_lt_i32 s8, 1
	s_cbranch_scc1 .LBB279_20
; %bb.7:
	v_mbcnt_lo_u32_b32 v19, -1, 0
	s_load_b128 s[12:15], s[0:1], 0x20
	v_mov_b32_e32 v22, v16
	s_delay_alu instid0(VALU_DEP_2) | instskip(SKIP_1) | instid1(VALU_DEP_2)
	v_and_b32_e32 v20, 30, v19
	v_xor_b32_e32 v21, 1, v19
	v_add_nc_u32_e32 v20, 2, v20
	s_delay_alu instid0(VALU_DEP_1) | instskip(SKIP_1) | instid1(VALU_DEP_2)
	v_cmp_lt_i32_e64 s0, v21, v20
	v_mul_lo_u32 v20, v16, s8
	v_cndmask_b32_e64 v21, v19, v21, s0
	v_mov_b32_e32 v19, 0
	s_delay_alu instid0(VALU_DEP_2)
	v_lshlrev_b32_e32 v21, 2, v21
	s_branch .LBB279_10
.LBB279_8:                              ;   in Loop: Header=BB279_10 Depth=1
	s_or_b32 exec_lo, exec_lo, s1
.LBB279_9:                              ;   in Loop: Header=BB279_10 Depth=1
	v_add_nc_u32_e32 v22, s18, v22
	s_cmp_eq_u32 s8, s6
	s_cbranch_scc1 .LBB279_21
.LBB279_10:                             ; =>This Inner Loop Header: Depth=1
	v_cmp_gt_f32_e64 s0, v9, v8
	s_delay_alu instid0(VALU_DEP_1) | instskip(SKIP_2) | instid1(VALU_DEP_3)
	v_cndmask_b32_e64 v24, v8, v9, s0
	v_cndmask_b32_e64 v23, 0, 1, s0
	;; [unrolled: 1-line block ×3, first 2 shown]
	v_cmp_gt_f32_e64 s1, v10, v24
	s_delay_alu instid0(VALU_DEP_1) | instskip(NEXT) | instid1(VALU_DEP_4)
	v_cndmask_b32_e64 v24, v24, v10, s1
	v_cndmask_b32_e64 v23, v23, 2, s1
	s_delay_alu instid0(VALU_DEP_4) | instskip(NEXT) | instid1(VALU_DEP_3)
	v_cndmask_b32_e64 v25, v25, v2, s1
	v_cmp_gt_f32_e64 s3, v11, v24
	s_delay_alu instid0(VALU_DEP_1) | instskip(NEXT) | instid1(VALU_DEP_4)
	v_cndmask_b32_e64 v24, v24, v11, s3
	v_cndmask_b32_e64 v23, v23, 3, s3
	s_delay_alu instid0(VALU_DEP_4) | instskip(NEXT) | instid1(VALU_DEP_3)
	v_cndmask_b32_e64 v25, v25, v3, s3
	v_cmp_gt_f32_e64 s4, v12, v24
	s_delay_alu instid0(VALU_DEP_1) | instskip(NEXT) | instid1(VALU_DEP_4)
	v_cndmask_b32_e64 v24, v24, v12, s4
	v_cndmask_b32_e64 v23, v23, 4, s4
	s_delay_alu instid0(VALU_DEP_4) | instskip(SKIP_1) | instid1(VALU_DEP_3)
	v_cndmask_b32_e64 v25, v25, v4, s4
	s_mov_b32 s4, exec_lo
	v_cmp_gt_f32_e64 s0, v13, v24
	s_delay_alu instid0(VALU_DEP_1) | instskip(SKIP_2) | instid1(VALU_DEP_3)
	v_cndmask_b32_e64 v24, v24, v13, s0
	v_cndmask_b32_e64 v23, v23, 5, s0
	;; [unrolled: 1-line block ×3, first 2 shown]
	v_cmp_gt_f32_e64 s1, v14, v24
	s_delay_alu instid0(VALU_DEP_1) | instskip(NEXT) | instid1(VALU_DEP_4)
	v_cndmask_b32_e64 v24, v24, v14, s1
	v_cndmask_b32_e64 v23, v23, 6, s1
	s_delay_alu instid0(VALU_DEP_4) | instskip(NEXT) | instid1(VALU_DEP_3)
	v_cndmask_b32_e64 v25, v25, v6, s1
	v_cmp_gt_f32_e64 s0, v15, v24
	s_delay_alu instid0(VALU_DEP_1) | instskip(SKIP_1) | instid1(VALU_DEP_4)
	v_cndmask_b32_e64 v23, v23, 7, s0
	v_cndmask_b32_e64 v27, v24, v15, s0
	;; [unrolled: 1-line block ×3, first 2 shown]
	s_delay_alu instid0(VALU_DEP_3)
	v_or_b32_e32 v23, v18, v23
	ds_bpermute_b32 v28, v21, v27
	ds_bpermute_b32 v25, v21, v24
	;; [unrolled: 1-line block ×3, first 2 shown]
	s_waitcnt lgkmcnt(0)
	v_cmp_lt_f32_e64 s3, v27, v28
	v_cmpx_nlt_f32_e32 v27, v28
	s_cbranch_execnz .LBB279_14
; %bb.11:                               ;   in Loop: Header=BB279_10 Depth=1
	s_or_b32 exec_lo, exec_lo, s4
	s_delay_alu instid0(VALU_DEP_2)
	s_and_saveexec_b32 s0, s3
	s_cbranch_execnz .LBB279_15
.LBB279_12:                             ;   in Loop: Header=BB279_10 Depth=1
	s_or_b32 exec_lo, exec_lo, s0
	s_and_saveexec_b32 s3, s2
	s_cbranch_execnz .LBB279_16
.LBB279_13:                             ;   in Loop: Header=BB279_10 Depth=1
	s_or_b32 exec_lo, exec_lo, s3
	s_add_i32 s6, s6, 1
	s_delay_alu instid0(SALU_CYCLE_1)
	s_cmp_ge_i32 s6, s8
	s_cbranch_scc1 .LBB279_9
	s_branch .LBB279_17
.LBB279_14:                             ;   in Loop: Header=BB279_10 Depth=1
	v_cmp_eq_f32_e64 s0, v27, v28
	v_cmp_lt_i32_e64 s1, v26, v23
	s_delay_alu instid0(VALU_DEP_1) | instskip(SKIP_2) | instid1(SALU_CYCLE_1)
	s_and_b32 s0, s0, s1
	s_and_not1_b32 s1, s3, exec_lo
	s_and_b32 s0, s0, exec_lo
	s_or_b32 s3, s1, s0
	s_or_b32 exec_lo, exec_lo, s4
	s_and_saveexec_b32 s0, s3
	s_cbranch_execz .LBB279_12
.LBB279_15:                             ;   in Loop: Header=BB279_10 Depth=1
	v_dual_mov_b32 v23, v26 :: v_dual_mov_b32 v24, v25
	s_or_b32 exec_lo, exec_lo, s0
	s_and_saveexec_b32 s3, s2
	s_cbranch_execz .LBB279_13
.LBB279_16:                             ;   in Loop: Header=BB279_10 Depth=1
	v_add_nc_u32_e32 v25, s6, v20
	v_cmp_le_i32_e64 s0, s9, v23
	v_cmp_gt_i32_e64 s1, s10, v23
	v_subrev_nc_u32_e32 v27, s9, v23
	v_add_f32_e32 v32, v19, v24
	v_ashrrev_i32_e32 v26, 31, v25
	s_delay_alu instid0(VALU_DEP_4) | instskip(NEXT) | instid1(SALU_CYCLE_1)
	s_and_b32 s0, s0, s1
	s_and_b32 s0, s19, s0
	s_delay_alu instid0(VALU_DEP_1) | instskip(SKIP_2) | instid1(VALU_DEP_3)
	v_lshlrev_b64 v[25:26], 2, v[25:26]
	v_cndmask_b32_e64 v31, 16, v27, s0
	v_cndmask_b32_e32 v19, v19, v32, vcc_lo
	v_add_co_u32 v27, s0, s16, v25
	s_delay_alu instid0(VALU_DEP_1) | instskip(SKIP_1) | instid1(VALU_DEP_1)
	v_add_co_ci_u32_e64 v28, s0, s17, v26, s0
	v_add_co_u32 v29, s0, s12, v25
	v_add_co_ci_u32_e64 v30, s0, s13, v26, s0
	v_add_co_u32 v25, s0, s14, v25
	s_delay_alu instid0(VALU_DEP_1)
	v_add_co_ci_u32_e64 v26, s0, s15, v26, s0
	global_store_b32 v[27:28], v24, off
	global_store_b32 v[29:30], v31, off
	;; [unrolled: 1-line block ×3, first 2 shown]
	s_or_b32 exec_lo, exec_lo, s3
	s_add_i32 s6, s6, 1
	s_delay_alu instid0(SALU_CYCLE_1)
	s_cmp_ge_i32 s6, s8
	s_cbranch_scc1 .LBB279_9
.LBB279_17:                             ;   in Loop: Header=BB279_10 Depth=1
	v_ashrrev_i32_e32 v25, 31, v23
	s_mov_b32 s1, exec_lo
	s_delay_alu instid0(VALU_DEP_1) | instskip(NEXT) | instid1(VALU_DEP_1)
	v_lshrrev_b32_e32 v24, 29, v25
	v_add_nc_u32_e32 v26, v23, v24
	s_delay_alu instid0(VALU_DEP_1) | instskip(SKIP_1) | instid1(VALU_DEP_1)
	v_ashrrev_i32_e32 v24, 3, v26
	v_lshrrev_b32_e32 v26, 31, v26
	v_add_nc_u32_e32 v26, v24, v26
	s_delay_alu instid0(VALU_DEP_1) | instskip(NEXT) | instid1(VALU_DEP_1)
	v_and_b32_e32 v26, -2, v26
	v_sub_nc_u32_e32 v26, v24, v26
	s_delay_alu instid0(VALU_DEP_1)
	v_cmpx_eq_u32_e64 v17, v26
	s_cbranch_execz .LBB279_8
; %bb.18:                               ;   in Loop: Header=BB279_10 Depth=1
	v_lshrrev_b32_e32 v25, 28, v25
	v_lshlrev_b32_e32 v24, 3, v24
	s_delay_alu instid0(VALU_DEP_2) | instskip(NEXT) | instid1(VALU_DEP_2)
	v_add_nc_u32_e32 v25, v23, v25
	v_sub_nc_u32_e32 v23, v23, v24
	s_delay_alu instid0(VALU_DEP_2) | instskip(NEXT) | instid1(VALU_DEP_1)
	v_ashrrev_i32_e32 v24, 4, v25
	v_lshl_add_u32 v23, v24, 3, v23
	s_delay_alu instid0(VALU_DEP_1) | instskip(NEXT) | instid1(VALU_DEP_1)
	v_cmp_ne_u32_e64 s0, 7, v23
	v_cndmask_b32_e64 v15, 0xc61c4000, v15, s0
	v_cmp_ne_u32_e64 s0, 6, v23
	s_delay_alu instid0(VALU_DEP_1) | instskip(SKIP_1) | instid1(VALU_DEP_1)
	v_cndmask_b32_e64 v14, 0xc61c4000, v14, s0
	v_cmp_ne_u32_e64 s0, 5, v23
	v_cndmask_b32_e64 v13, 0xc61c4000, v13, s0
	v_cmp_ne_u32_e64 s0, 4, v23
	s_delay_alu instid0(VALU_DEP_1) | instskip(SKIP_1) | instid1(VALU_DEP_1)
	v_cndmask_b32_e64 v12, 0xc61c4000, v12, s0
	;; [unrolled: 5-line block ×3, first 2 shown]
	v_cmp_ne_u32_e64 s0, 1, v23
	v_cndmask_b32_e64 v9, 0xc61c4000, v9, s0
	v_cmp_ne_u32_e64 s0, 0, v23
	s_delay_alu instid0(VALU_DEP_1)
	v_cndmask_b32_e64 v8, 0xc61c4000, v8, s0
	s_branch .LBB279_8
.LBB279_19:
                                        ; implicit-def: $vgpr8_vgpr9_vgpr10_vgpr11_vgpr12_vgpr13_vgpr14_vgpr15
	s_and_not1_b32 vcc_lo, exec_lo, s9
	s_cbranch_vccz .LBB279_5
	s_branch .LBB279_6
.LBB279_20:
	v_mov_b32_e32 v19, 0
.LBB279_21:
	v_cmp_eq_u32_e64 s0, 0, v17
	s_delay_alu instid0(VALU_DEP_1) | instskip(NEXT) | instid1(SALU_CYCLE_1)
	s_and_b32 s0, s0, vcc_lo
	s_and_b32 exec_lo, exec_lo, s0
	s_cbranch_execz .LBB279_25
; %bb.22:
	s_and_not1_b32 vcc_lo, exec_lo, s5
	s_cbranch_vccnz .LBB279_25
; %bb.23:
	v_mul_lo_u32 v0, v16, s8
	v_cmp_lt_f32_e32 vcc_lo, 0, v19
	v_cndmask_b32_e32 v2, 1.0, v19, vcc_lo
	s_delay_alu instid0(VALU_DEP_3) | instskip(NEXT) | instid1(VALU_DEP_1)
	v_ashrrev_i32_e32 v1, 31, v0
	v_lshlrev_b64 v[0:1], 2, v[0:1]
	s_delay_alu instid0(VALU_DEP_1) | instskip(NEXT) | instid1(VALU_DEP_2)
	v_add_co_u32 v0, vcc_lo, s16, v0
	v_add_co_ci_u32_e32 v1, vcc_lo, s17, v1, vcc_lo
	.p2align	6
.LBB279_24:                             ; =>This Inner Loop Header: Depth=1
	global_load_b32 v3, v[0:1], off
	s_add_i32 s8, s8, -1
	s_delay_alu instid0(SALU_CYCLE_1) | instskip(SKIP_3) | instid1(VALU_DEP_2)
	s_cmp_lg_u32 s8, 0
	s_waitcnt vmcnt(0)
	v_div_scale_f32 v4, null, v2, v2, v3
	v_div_scale_f32 v7, vcc_lo, v3, v2, v3
	v_rcp_f32_e32 v5, v4
	s_waitcnt_depctr 0xfff
	v_fma_f32 v6, -v4, v5, 1.0
	s_delay_alu instid0(VALU_DEP_1) | instskip(NEXT) | instid1(VALU_DEP_1)
	v_fmac_f32_e32 v5, v6, v5
	v_mul_f32_e32 v6, v7, v5
	s_delay_alu instid0(VALU_DEP_1) | instskip(NEXT) | instid1(VALU_DEP_1)
	v_fma_f32 v8, -v4, v6, v7
	v_fmac_f32_e32 v6, v8, v5
	s_delay_alu instid0(VALU_DEP_1) | instskip(NEXT) | instid1(VALU_DEP_1)
	v_fma_f32 v4, -v4, v6, v7
	v_div_fmas_f32 v4, v4, v5, v6
	s_delay_alu instid0(VALU_DEP_1)
	v_div_fixup_f32 v3, v4, v2, v3
	global_store_b32 v[0:1], v3, off
	v_add_co_u32 v0, vcc_lo, v0, 4
	v_add_co_ci_u32_e32 v1, vcc_lo, 0, v1, vcc_lo
	s_cbranch_scc1 .LBB279_24
.LBB279_25:
	s_nop 0
	s_sendmsg sendmsg(MSG_DEALLOC_VGPRS)
	s_endpgm
	.section	.rodata,"a",@progbits
	.p2align	6, 0x0
	.amdhsa_kernel _ZN4vllm3moe10topkGatingILi8ELi16ELi4ELi16ELi32Ej6__halfLNS0_11ScoringFuncE1EEEvPKT5_PKbPfiPT4_PiiiibPKf
		.amdhsa_group_segment_fixed_size 0
		.amdhsa_private_segment_fixed_size 0
		.amdhsa_kernarg_size 72
		.amdhsa_user_sgpr_count 15
		.amdhsa_user_sgpr_dispatch_ptr 0
		.amdhsa_user_sgpr_queue_ptr 0
		.amdhsa_user_sgpr_kernarg_segment_ptr 1
		.amdhsa_user_sgpr_dispatch_id 0
		.amdhsa_user_sgpr_private_segment_size 0
		.amdhsa_wavefront_size32 1
		.amdhsa_uses_dynamic_stack 0
		.amdhsa_enable_private_segment 0
		.amdhsa_system_sgpr_workgroup_id_x 1
		.amdhsa_system_sgpr_workgroup_id_y 0
		.amdhsa_system_sgpr_workgroup_id_z 0
		.amdhsa_system_sgpr_workgroup_info 0
		.amdhsa_system_vgpr_workitem_id 1
		.amdhsa_next_free_vgpr 47
		.amdhsa_next_free_sgpr 20
		.amdhsa_reserve_vcc 1
		.amdhsa_float_round_mode_32 0
		.amdhsa_float_round_mode_16_64 0
		.amdhsa_float_denorm_mode_32 3
		.amdhsa_float_denorm_mode_16_64 3
		.amdhsa_dx10_clamp 1
		.amdhsa_ieee_mode 1
		.amdhsa_fp16_overflow 0
		.amdhsa_workgroup_processor_mode 1
		.amdhsa_memory_ordered 1
		.amdhsa_forward_progress 0
		.amdhsa_shared_vgpr_count 0
		.amdhsa_exception_fp_ieee_invalid_op 0
		.amdhsa_exception_fp_denorm_src 0
		.amdhsa_exception_fp_ieee_div_zero 0
		.amdhsa_exception_fp_ieee_overflow 0
		.amdhsa_exception_fp_ieee_underflow 0
		.amdhsa_exception_fp_ieee_inexact 0
		.amdhsa_exception_int_div_zero 0
	.end_amdhsa_kernel
	.section	.text._ZN4vllm3moe10topkGatingILi8ELi16ELi4ELi16ELi32Ej6__halfLNS0_11ScoringFuncE1EEEvPKT5_PKbPfiPT4_PiiiibPKf,"axG",@progbits,_ZN4vllm3moe10topkGatingILi8ELi16ELi4ELi16ELi32Ej6__halfLNS0_11ScoringFuncE1EEEvPKT5_PKbPfiPT4_PiiiibPKf,comdat
.Lfunc_end279:
	.size	_ZN4vllm3moe10topkGatingILi8ELi16ELi4ELi16ELi32Ej6__halfLNS0_11ScoringFuncE1EEEvPKT5_PKbPfiPT4_PiiiibPKf, .Lfunc_end279-_ZN4vllm3moe10topkGatingILi8ELi16ELi4ELi16ELi32Ej6__halfLNS0_11ScoringFuncE1EEEvPKT5_PKbPfiPT4_PiiiibPKf
                                        ; -- End function
	.section	.AMDGPU.csdata,"",@progbits
; Kernel info:
; codeLenInByte = 2580
; NumSgprs: 22
; NumVgprs: 47
; ScratchSize: 0
; MemoryBound: 0
; FloatMode: 240
; IeeeMode: 1
; LDSByteSize: 0 bytes/workgroup (compile time only)
; SGPRBlocks: 2
; VGPRBlocks: 5
; NumSGPRsForWavesPerEU: 22
; NumVGPRsForWavesPerEU: 47
; Occupancy: 16
; WaveLimiterHint : 0
; COMPUTE_PGM_RSRC2:SCRATCH_EN: 0
; COMPUTE_PGM_RSRC2:USER_SGPR: 15
; COMPUTE_PGM_RSRC2:TRAP_HANDLER: 0
; COMPUTE_PGM_RSRC2:TGID_X_EN: 1
; COMPUTE_PGM_RSRC2:TGID_Y_EN: 0
; COMPUTE_PGM_RSRC2:TGID_Z_EN: 0
; COMPUTE_PGM_RSRC2:TIDIG_COMP_CNT: 1
	.section	.text._ZN4vllm3moe10topkGatingILi8ELi32ELi4ELi16ELi64Ej6__halfLNS0_11ScoringFuncE1EEEvPKT5_PKbPfiPT4_PiiiibPKf,"axG",@progbits,_ZN4vllm3moe10topkGatingILi8ELi32ELi4ELi16ELi64Ej6__halfLNS0_11ScoringFuncE1EEEvPKT5_PKbPfiPT4_PiiiibPKf,comdat
	.protected	_ZN4vllm3moe10topkGatingILi8ELi32ELi4ELi16ELi64Ej6__halfLNS0_11ScoringFuncE1EEEvPKT5_PKbPfiPT4_PiiiibPKf ; -- Begin function _ZN4vllm3moe10topkGatingILi8ELi32ELi4ELi16ELi64Ej6__halfLNS0_11ScoringFuncE1EEEvPKT5_PKbPfiPT4_PiiiibPKf
	.globl	_ZN4vllm3moe10topkGatingILi8ELi32ELi4ELi16ELi64Ej6__halfLNS0_11ScoringFuncE1EEEvPKT5_PKbPfiPT4_PiiiibPKf
	.p2align	8
	.type	_ZN4vllm3moe10topkGatingILi8ELi32ELi4ELi16ELi64Ej6__halfLNS0_11ScoringFuncE1EEEvPKT5_PKbPfiPT4_PiiiibPKf,@function
_ZN4vllm3moe10topkGatingILi8ELi32ELi4ELi16ELi64Ej6__halfLNS0_11ScoringFuncE1EEEvPKT5_PKbPfiPT4_PiiiibPKf: ; @_ZN4vllm3moe10topkGatingILi8ELi32ELi4ELi16ELi64Ej6__halfLNS0_11ScoringFuncE1EEEvPKT5_PKbPfiPT4_PiiiibPKf
; %bb.0:
	s_load_b32 s18, s[0:1], 0x18
	v_bfe_u32 v1, v0, 10, 10
	v_and_b32_e32 v0, 0x3ff, v0
	s_lshl_b32 s2, s15, 6
	s_delay_alu instid0(VALU_DEP_2) | instskip(NEXT) | instid1(VALU_DEP_2)
	v_lshlrev_b32_e32 v1, 4, v1
	v_lshrrev_b32_e32 v2, 2, v0
	s_delay_alu instid0(VALU_DEP_1) | instskip(SKIP_2) | instid1(VALU_DEP_1)
	v_add3_u32 v16, s2, v1, v2
	s_mov_b32 s2, exec_lo
	s_waitcnt lgkmcnt(0)
	v_cmpx_gt_i32_e64 s18, v16
	s_cbranch_execz .LBB280_29
; %bb.1:
	s_clause 0x1
	s_load_b128 s[4:7], s[0:1], 0x0
	s_load_b64 s[16:17], s[0:1], 0x10
	s_mov_b32 s9, -1
	s_mov_b32 s19, -1
	s_waitcnt lgkmcnt(0)
	s_cmp_eq_u64 s[6:7], 0
	s_cbranch_scc1 .LBB280_3
; %bb.2:
	v_ashrrev_i32_e32 v2, 31, v16
	v_add_co_u32 v1, vcc_lo, s6, v16
	s_delay_alu instid0(VALU_DEP_2) | instskip(SKIP_3) | instid1(VALU_DEP_1)
	v_add_co_ci_u32_e32 v2, vcc_lo, s7, v2, vcc_lo
	global_load_u8 v1, v[1:2], off
	s_waitcnt vmcnt(0)
	v_and_b32_e32 v1, 1, v1
	v_cmp_eq_u32_e32 vcc_lo, 1, v1
	s_xor_b32 s2, vcc_lo, -1
	s_delay_alu instid0(SALU_CYCLE_1)
	s_or_not1_b32 s19, s2, exec_lo
.LBB280_3:
	v_lshlrev_b32_e32 v1, 5, v16
	v_and_b32_e32 v17, 3, v0
	s_load_b64 s[10:11], s[0:1], 0x40
	s_delay_alu instid0(VALU_DEP_2) | instskip(NEXT) | instid1(VALU_DEP_1)
	v_ashrrev_i32_e32 v2, 31, v1
	v_lshlrev_b64 v[0:1], 1, v[1:2]
	s_delay_alu instid0(VALU_DEP_3) | instskip(NEXT) | instid1(VALU_DEP_2)
	v_lshlrev_b32_e32 v2, 4, v17
	v_add_co_u32 v0, vcc_lo, s4, v0
	s_delay_alu instid0(VALU_DEP_3) | instskip(NEXT) | instid1(VALU_DEP_2)
	v_add_co_ci_u32_e32 v1, vcc_lo, s5, v1, vcc_lo
	v_add_co_u32 v0, vcc_lo, v0, v2
	s_delay_alu instid0(VALU_DEP_2)
	v_add_co_ci_u32_e32 v1, vcc_lo, 0, v1, vcc_lo
	s_waitcnt lgkmcnt(0)
	s_cmp_eq_u64 s[10:11], 0
	global_load_b128 v[0:3], v[0:1], off
	s_waitcnt vmcnt(0)
	v_cvt_f32_f16_e32 v4, v0
	v_lshrrev_b32_e32 v0, 16, v0
	v_cvt_f32_f16_e32 v5, v1
	v_lshrrev_b32_e32 v1, 16, v1
	;; [unrolled: 2-line block ×4, first 2 shown]
	v_dual_mul_f32 v4, 0xbfb8aa3b, v4 :: v_dual_mul_f32 v5, 0xbfb8aa3b, v5
	v_cvt_f32_f16_e32 v0, v0
	v_cvt_f32_f16_e32 v1, v1
	;; [unrolled: 1-line block ×4, first 2 shown]
	v_dual_mul_f32 v6, 0xbfb8aa3b, v6 :: v_dual_mul_f32 v7, 0xbfb8aa3b, v7
	v_exp_f32_e32 v4, v4
	v_dual_mul_f32 v0, 0xbfb8aa3b, v0 :: v_dual_mul_f32 v1, 0xbfb8aa3b, v1
	v_exp_f32_e32 v5, v5
	s_delay_alu instid0(VALU_DEP_2)
	v_exp_f32_e32 v6, v6
	v_mul_f32_e32 v2, 0xbfb8aa3b, v2
	v_exp_f32_e32 v7, v7
	v_dual_mul_f32 v3, 0xbfb8aa3b, v3 :: v_dual_lshlrev_b32 v18, 3, v17
	v_exp_f32_e32 v0, v0
	v_exp_f32_e32 v1, v1
	;; [unrolled: 1-line block ×3, first 2 shown]
	s_delay_alu instid0(VALU_DEP_1) | instskip(SKIP_2) | instid1(VALU_DEP_2)
	v_exp_f32_e32 v3, v3
	v_dual_add_f32 v4, 1.0, v4 :: v_dual_add_f32 v5, 1.0, v5
	v_dual_add_f32 v6, 1.0, v6 :: v_dual_add_f32 v7, 1.0, v7
	v_div_scale_f32 v8, null, v4, v4, 1.0
	s_delay_alu instid0(TRANS32_DEP_3) | instskip(NEXT) | instid1(VALU_DEP_4)
	v_dual_add_f32 v0, 1.0, v0 :: v_dual_add_f32 v1, 1.0, v1
	v_div_scale_f32 v10, null, v5, v5, 1.0
	s_delay_alu instid0(VALU_DEP_4) | instskip(NEXT) | instid1(TRANS32_DEP_1)
	v_div_scale_f32 v12, null, v6, v6, 1.0
	v_dual_add_f32 v14, 1.0, v2 :: v_dual_add_f32 v19, 1.0, v3
	v_div_scale_f32 v2, null, v7, v7, 1.0
	v_rcp_f32_e32 v3, v8
	v_div_scale_f32 v20, null, v0, v0, 1.0
	v_rcp_f32_e32 v22, v10
	;; [unrolled: 2-line block ×3, first 2 shown]
	v_rcp_f32_e32 v28, v2
	v_div_scale_f32 v29, null, v19, v19, 1.0
	v_rcp_f32_e32 v30, v20
	v_div_scale_f32 v26, null, v14, v14, 1.0
	v_rcp_f32_e32 v32, v23
	v_fma_f32 v34, -v8, v3, 1.0
	v_rcp_f32_e32 v35, v29
	v_div_scale_f32 v9, vcc_lo, 1.0, v4, 1.0
	v_rcp_f32_e32 v33, v26
	v_fma_f32 v36, -v10, v22, 1.0
	v_fma_f32 v37, -v12, v25, 1.0
	;; [unrolled: 1-line block ×3, first 2 shown]
	v_fmac_f32_e32 v3, v34, v3
	v_fma_f32 v34, -v20, v30, 1.0
	v_fmac_f32_e32 v22, v36, v22
	v_div_scale_f32 v11, s2, 1.0, v5, 1.0
	v_fma_f32 v36, -v23, v32, 1.0
	v_dual_fmac_f32 v25, v37, v25 :: v_dual_fmac_f32 v28, v38, v28
	v_fma_f32 v38, -v29, v35, 1.0
	v_dual_mul_f32 v39, v9, v3 :: v_dual_fmac_f32 v30, v34, v30
	v_div_scale_f32 v21, s5, 1.0, v0, 1.0
	v_div_scale_f32 v24, s6, 1.0, v1, 1.0
	v_fma_f32 v37, -v26, v33, 1.0
	v_mul_f32_e32 v34, v11, v22
	v_dual_fmac_f32 v32, v36, v32 :: v_dual_fmac_f32 v35, v38, v35
	v_fma_f32 v38, -v8, v39, v9
	v_mul_f32_e32 v40, v21, v30
	v_div_scale_f32 v13, s3, 1.0, v6, 1.0
	v_div_scale_f32 v15, s4, 1.0, v7, 1.0
	s_delay_alu instid0(VALU_DEP_4)
	v_fmac_f32_e32 v39, v38, v3
	v_fmac_f32_e32 v33, v37, v33
	v_fma_f32 v41, -v10, v34, v11
	v_mul_f32_e32 v42, v24, v32
	v_fma_f32 v38, -v20, v40, v21
	v_div_scale_f32 v27, s7, 1.0, v14, 1.0
	v_dual_mul_f32 v36, v13, v25 :: v_dual_mul_f32 v37, v15, v28
	v_fmac_f32_e32 v34, v41, v22
	v_fma_f32 v41, -v23, v42, v24
	v_fma_f32 v8, -v8, v39, v9
	v_fmac_f32_e32 v40, v38, v30
	v_fma_f32 v43, -v12, v36, v13
	v_fma_f32 v45, -v2, v37, v15
	v_mul_f32_e32 v44, v27, v33
	v_fmac_f32_e32 v42, v41, v32
	v_div_fmas_f32 v3, v8, v3, v39
	v_fma_f32 v8, -v20, v40, v21
	v_fmac_f32_e32 v37, v45, v28
	v_fma_f32 v9, -v10, v34, v11
	v_fmac_f32_e32 v36, v43, v25
	v_fma_f32 v43, -v26, v44, v27
	s_mov_b32 vcc_lo, s5
	v_fma_f32 v11, -v23, v42, v24
	v_div_fixup_f32 v3, v3, v4, 1.0
	v_div_fmas_f32 v4, v8, v30, v40
	s_mov_b32 vcc_lo, s2
	v_fmac_f32_e32 v44, v43, v33
	v_div_fmas_f32 v8, v9, v22, v34
	s_mov_b32 vcc_lo, s6
	v_fma_f32 v10, -v12, v36, v13
	v_div_fmas_f32 v9, v11, v32, v42
	v_cmp_class_f32_e64 vcc_lo, v3, 0x1f8
	v_fma_f32 v12, -v26, v44, v27
	v_div_fixup_f32 v4, v4, v0, 1.0
	v_div_scale_f32 v31, s8, 1.0, v19, 1.0
	v_cndmask_b32_e32 v0, 0, v3, vcc_lo
	s_mov_b32 vcc_lo, s3
	v_fma_f32 v2, -v2, v37, v15
	v_div_fmas_f32 v3, v10, v25, v36
	s_mov_b32 vcc_lo, s7
	v_div_fixup_f32 v5, v8, v5, 1.0
	v_div_fmas_f32 v8, v12, v33, v44
	s_mov_b32 vcc_lo, s4
	v_div_fixup_f32 v9, v9, v1, 1.0
	v_div_fmas_f32 v10, v2, v28, v37
	v_cmp_class_f32_e64 vcc_lo, v4, 0x1f8
	v_mul_f32_e32 v46, v31, v35
	s_delay_alu instid0(VALU_DEP_3) | instskip(SKIP_1) | instid1(VALU_DEP_3)
	v_div_fixup_f32 v7, v10, v7, 1.0
	v_cndmask_b32_e32 v1, 0, v4, vcc_lo
	v_fma_f32 v45, -v29, v46, v31
	s_mov_b32 vcc_lo, s8
	v_div_fixup_f32 v4, v3, v6, 1.0
	s_delay_alu instid0(VALU_DEP_2) | instskip(NEXT) | instid1(VALU_DEP_1)
	v_fmac_f32_e32 v46, v45, v35
	v_fma_f32 v13, -v29, v46, v31
	s_delay_alu instid0(VALU_DEP_1)
	v_div_fmas_f32 v6, v13, v35, v46
	v_cmp_class_f32_e64 vcc_lo, v5, 0x1f8
	v_cndmask_b32_e32 v2, 0, v5, vcc_lo
	v_cmp_class_f32_e64 vcc_lo, v9, 0x1f8
	v_div_fixup_f32 v5, v8, v14, 1.0
	v_div_fixup_f32 v8, v6, v19, 1.0
	v_cndmask_b32_e32 v3, 0, v9, vcc_lo
	v_cmp_class_f32_e64 vcc_lo, v4, 0x1f8
	v_cndmask_b32_e32 v4, 0, v4, vcc_lo
	v_cmp_class_f32_e64 vcc_lo, v5, 0x1f8
	;; [unrolled: 2-line block ×4, first 2 shown]
	v_cndmask_b32_e32 v7, 0, v8, vcc_lo
	s_cbranch_scc1 .LBB280_23
; %bb.4:
	v_lshlrev_b32_e32 v12, 2, v18
	s_clause 0x1
	global_load_b128 v[8:11], v12, s[10:11]
	global_load_b128 v[12:15], v12, s[10:11] offset:16
	s_waitcnt vmcnt(1)
	v_dual_add_f32 v9, v9, v1 :: v_dual_add_f32 v8, v8, v0
	v_dual_add_f32 v11, v11, v3 :: v_dual_add_f32 v10, v10, v2
	s_waitcnt vmcnt(0)
	v_dual_add_f32 v13, v13, v5 :: v_dual_add_f32 v12, v12, v4
	v_dual_add_f32 v15, v15, v7 :: v_dual_add_f32 v14, v14, v6
	s_cbranch_execnz .LBB280_6
.LBB280_5:
	v_dual_mov_b32 v15, v7 :: v_dual_mov_b32 v14, v6
	v_dual_mov_b32 v13, v5 :: v_dual_mov_b32 v12, v4
	;; [unrolled: 1-line block ×4, first 2 shown]
.LBB280_6:
	s_load_b128 s[8:11], s[0:1], 0x30
	v_cmp_eq_u32_e64 s2, 0, v17
	s_mov_b32 s6, 0
	s_waitcnt lgkmcnt(0)
	s_bitcmp1_b32 s11, 0
	s_cselect_b32 vcc_lo, -1, 0
	s_cmp_gt_i32 s8, 0
	s_cselect_b32 s5, -1, 0
	s_cmp_lt_i32 s8, 1
	s_cbranch_scc1 .LBB280_24
; %bb.7:
	v_mbcnt_lo_u32_b32 v19, -1, 0
	s_load_b128 s[12:15], s[0:1], 0x20
	s_delay_alu instid0(VALU_DEP_1) | instskip(SKIP_2) | instid1(VALU_DEP_3)
	v_dual_mov_b32 v23, v16 :: v_dual_and_b32 v20, 28, v19
	v_xor_b32_e32 v21, 2, v19
	v_xor_b32_e32 v22, 1, v19
	v_add_nc_u32_e32 v20, 4, v20
	s_delay_alu instid0(VALU_DEP_1) | instskip(NEXT) | instid1(VALU_DEP_1)
	v_cmp_lt_i32_e64 s0, v21, v20
	v_cndmask_b32_e64 v21, v19, v21, s0
	s_delay_alu instid0(VALU_DEP_4) | instskip(SKIP_1) | instid1(VALU_DEP_3)
	v_cmp_lt_i32_e64 s0, v22, v20
	v_mul_lo_u32 v20, v16, s8
	v_lshlrev_b32_e32 v21, 2, v21
	s_delay_alu instid0(VALU_DEP_3) | instskip(NEXT) | instid1(VALU_DEP_1)
	v_cndmask_b32_e64 v22, v19, v22, s0
	v_dual_mov_b32 v19, 0 :: v_dual_lshlrev_b32 v22, 2, v22
	s_branch .LBB280_10
.LBB280_8:                              ;   in Loop: Header=BB280_10 Depth=1
	s_or_b32 exec_lo, exec_lo, s1
.LBB280_9:                              ;   in Loop: Header=BB280_10 Depth=1
	v_add_nc_u32_e32 v23, s18, v23
	s_cmp_eq_u32 s8, s6
	s_cbranch_scc1 .LBB280_25
.LBB280_10:                             ; =>This Inner Loop Header: Depth=1
	v_cmp_gt_f32_e64 s0, v9, v8
	s_delay_alu instid0(VALU_DEP_1) | instskip(SKIP_2) | instid1(VALU_DEP_3)
	v_cndmask_b32_e64 v25, v8, v9, s0
	v_cndmask_b32_e64 v24, 0, 1, s0
	;; [unrolled: 1-line block ×3, first 2 shown]
	v_cmp_gt_f32_e64 s1, v10, v25
	s_delay_alu instid0(VALU_DEP_1) | instskip(NEXT) | instid1(VALU_DEP_4)
	v_cndmask_b32_e64 v25, v25, v10, s1
	v_cndmask_b32_e64 v24, v24, 2, s1
	s_delay_alu instid0(VALU_DEP_4) | instskip(NEXT) | instid1(VALU_DEP_3)
	v_cndmask_b32_e64 v26, v26, v2, s1
	v_cmp_gt_f32_e64 s3, v11, v25
	s_delay_alu instid0(VALU_DEP_1) | instskip(NEXT) | instid1(VALU_DEP_4)
	v_cndmask_b32_e64 v25, v25, v11, s3
	v_cndmask_b32_e64 v24, v24, 3, s3
	s_delay_alu instid0(VALU_DEP_4) | instskip(NEXT) | instid1(VALU_DEP_3)
	v_cndmask_b32_e64 v26, v26, v3, s3
	v_cmp_gt_f32_e64 s4, v12, v25
	s_delay_alu instid0(VALU_DEP_1) | instskip(NEXT) | instid1(VALU_DEP_4)
	v_cndmask_b32_e64 v25, v25, v12, s4
	v_cndmask_b32_e64 v24, v24, 4, s4
	s_delay_alu instid0(VALU_DEP_4) | instskip(SKIP_1) | instid1(VALU_DEP_3)
	v_cndmask_b32_e64 v26, v26, v4, s4
	s_mov_b32 s4, exec_lo
	v_cmp_gt_f32_e64 s0, v13, v25
	s_delay_alu instid0(VALU_DEP_1) | instskip(SKIP_2) | instid1(VALU_DEP_3)
	v_cndmask_b32_e64 v25, v25, v13, s0
	v_cndmask_b32_e64 v24, v24, 5, s0
	;; [unrolled: 1-line block ×3, first 2 shown]
	v_cmp_gt_f32_e64 s1, v14, v25
	s_delay_alu instid0(VALU_DEP_1) | instskip(NEXT) | instid1(VALU_DEP_4)
	v_cndmask_b32_e64 v25, v25, v14, s1
	v_cndmask_b32_e64 v24, v24, 6, s1
	s_waitcnt lgkmcnt(0)
	v_cndmask_b32_e64 v27, v26, v6, s1
	s_delay_alu instid0(VALU_DEP_3) | instskip(NEXT) | instid1(VALU_DEP_1)
	v_cmp_gt_f32_e64 s0, v15, v25
	v_cndmask_b32_e64 v24, v24, 7, s0
	v_cndmask_b32_e64 v26, v25, v15, s0
	s_delay_alu instid0(VALU_DEP_4) | instskip(NEXT) | instid1(VALU_DEP_3)
	v_cndmask_b32_e64 v25, v27, v7, s0
	v_or_b32_e32 v24, v18, v24
	ds_bpermute_b32 v27, v21, v26
	ds_bpermute_b32 v29, v21, v25
	;; [unrolled: 1-line block ×3, first 2 shown]
	s_waitcnt lgkmcnt(0)
	v_cmp_lt_f32_e64 s3, v26, v27
	v_cmpx_nlt_f32_e32 v26, v27
; %bb.11:                               ;   in Loop: Header=BB280_10 Depth=1
	v_cmp_eq_f32_e64 s0, v26, v27
	v_cmp_lt_i32_e64 s1, v28, v24
	s_delay_alu instid0(VALU_DEP_1) | instskip(SKIP_2) | instid1(SALU_CYCLE_1)
	s_and_b32 s0, s0, s1
	s_and_not1_b32 s1, s3, exec_lo
	s_and_b32 s0, s0, exec_lo
	s_or_b32 s3, s1, s0
; %bb.12:                               ;   in Loop: Header=BB280_10 Depth=1
	s_or_b32 exec_lo, exec_lo, s4
	s_and_saveexec_b32 s0, s3
; %bb.13:                               ;   in Loop: Header=BB280_10 Depth=1
	v_dual_mov_b32 v25, v29 :: v_dual_mov_b32 v26, v27
	v_mov_b32_e32 v24, v28
; %bb.14:                               ;   in Loop: Header=BB280_10 Depth=1
	s_or_b32 exec_lo, exec_lo, s0
	ds_bpermute_b32 v29, v22, v26
	ds_bpermute_b32 v27, v22, v25
	;; [unrolled: 1-line block ×3, first 2 shown]
	s_mov_b32 s4, exec_lo
	s_waitcnt lgkmcnt(2)
	v_cmp_lt_f32_e64 s3, v26, v29
	v_cmpx_nlt_f32_e32 v26, v29
	s_cbranch_execnz .LBB280_18
; %bb.15:                               ;   in Loop: Header=BB280_10 Depth=1
	s_or_b32 exec_lo, exec_lo, s4
	s_delay_alu instid0(VALU_DEP_2)
	s_and_saveexec_b32 s0, s3
	s_cbranch_execnz .LBB280_19
.LBB280_16:                             ;   in Loop: Header=BB280_10 Depth=1
	s_or_b32 exec_lo, exec_lo, s0
	s_and_saveexec_b32 s3, s2
	s_cbranch_execnz .LBB280_20
.LBB280_17:                             ;   in Loop: Header=BB280_10 Depth=1
	s_or_b32 exec_lo, exec_lo, s3
	s_add_i32 s6, s6, 1
	s_delay_alu instid0(SALU_CYCLE_1)
	s_cmp_ge_i32 s6, s8
	s_cbranch_scc1 .LBB280_9
	s_branch .LBB280_21
.LBB280_18:                             ;   in Loop: Header=BB280_10 Depth=1
	v_cmp_eq_f32_e64 s0, v26, v29
	s_waitcnt lgkmcnt(0)
	v_cmp_lt_i32_e64 s1, v28, v24
	s_delay_alu instid0(VALU_DEP_1) | instskip(SKIP_2) | instid1(SALU_CYCLE_1)
	s_and_b32 s0, s0, s1
	s_and_not1_b32 s1, s3, exec_lo
	s_and_b32 s0, s0, exec_lo
	s_or_b32 s3, s1, s0
	s_or_b32 exec_lo, exec_lo, s4
	s_and_saveexec_b32 s0, s3
	s_cbranch_execz .LBB280_16
.LBB280_19:                             ;   in Loop: Header=BB280_10 Depth=1
	s_waitcnt lgkmcnt(0)
	v_dual_mov_b32 v24, v28 :: v_dual_mov_b32 v25, v27
	s_or_b32 exec_lo, exec_lo, s0
	s_and_saveexec_b32 s3, s2
	s_cbranch_execz .LBB280_17
.LBB280_20:                             ;   in Loop: Header=BB280_10 Depth=1
	s_delay_alu instid0(VALU_DEP_1)
	v_dual_add_f32 v33, v19, v25 :: v_dual_add_nc_u32 v26, s6, v20
	v_cmp_le_i32_e64 s0, s9, v24
	v_cmp_gt_i32_e64 s1, s10, v24
	s_waitcnt lgkmcnt(0)
	v_subrev_nc_u32_e32 v28, s9, v24
	v_ashrrev_i32_e32 v27, 31, v26
	v_cndmask_b32_e32 v19, v19, v33, vcc_lo
	s_and_b32 s0, s0, s1
	s_delay_alu instid0(SALU_CYCLE_1) | instskip(NEXT) | instid1(VALU_DEP_2)
	s_and_b32 s0, s19, s0
	v_lshlrev_b64 v[26:27], 2, v[26:27]
	v_cndmask_b32_e64 v32, 32, v28, s0
	s_delay_alu instid0(VALU_DEP_2) | instskip(NEXT) | instid1(VALU_DEP_1)
	v_add_co_u32 v28, s0, s16, v26
	v_add_co_ci_u32_e64 v29, s0, s17, v27, s0
	v_add_co_u32 v30, s0, s12, v26
	s_delay_alu instid0(VALU_DEP_1) | instskip(SKIP_1) | instid1(VALU_DEP_1)
	v_add_co_ci_u32_e64 v31, s0, s13, v27, s0
	v_add_co_u32 v26, s0, s14, v26
	v_add_co_ci_u32_e64 v27, s0, s15, v27, s0
	global_store_b32 v[28:29], v25, off
	global_store_b32 v[30:31], v32, off
	;; [unrolled: 1-line block ×3, first 2 shown]
	s_or_b32 exec_lo, exec_lo, s3
	s_add_i32 s6, s6, 1
	s_delay_alu instid0(SALU_CYCLE_1)
	s_cmp_ge_i32 s6, s8
	s_cbranch_scc1 .LBB280_9
.LBB280_21:                             ;   in Loop: Header=BB280_10 Depth=1
	v_ashrrev_i32_e32 v26, 31, v24
	s_mov_b32 s1, exec_lo
	s_delay_alu instid0(VALU_DEP_1) | instskip(NEXT) | instid1(VALU_DEP_1)
	v_lshrrev_b32_e32 v25, 29, v26
	v_add_nc_u32_e32 v25, v24, v25
	s_delay_alu instid0(VALU_DEP_1) | instskip(SKIP_1) | instid1(VALU_DEP_1)
	v_ashrrev_i32_e32 v25, 3, v25
	s_waitcnt lgkmcnt(1)
	v_lshrrev_b32_e32 v27, 30, v25
	s_delay_alu instid0(VALU_DEP_1) | instskip(NEXT) | instid1(VALU_DEP_1)
	v_add_nc_u32_e32 v27, v25, v27
	v_and_b32_e32 v27, -4, v27
	s_delay_alu instid0(VALU_DEP_1) | instskip(NEXT) | instid1(VALU_DEP_1)
	v_sub_nc_u32_e32 v27, v25, v27
	v_cmpx_eq_u32_e64 v17, v27
	s_cbranch_execz .LBB280_8
; %bb.22:                               ;   in Loop: Header=BB280_10 Depth=1
	v_lshrrev_b32_e32 v26, 27, v26
	v_lshlrev_b32_e32 v25, 3, v25
	s_delay_alu instid0(VALU_DEP_2) | instskip(NEXT) | instid1(VALU_DEP_2)
	v_add_nc_u32_e32 v26, v24, v26
	v_sub_nc_u32_e32 v24, v24, v25
	s_delay_alu instid0(VALU_DEP_2) | instskip(NEXT) | instid1(VALU_DEP_1)
	v_ashrrev_i32_e32 v25, 5, v26
	v_lshl_add_u32 v24, v25, 3, v24
	s_delay_alu instid0(VALU_DEP_1) | instskip(NEXT) | instid1(VALU_DEP_1)
	v_cmp_ne_u32_e64 s0, 7, v24
	v_cndmask_b32_e64 v15, 0xc61c4000, v15, s0
	v_cmp_ne_u32_e64 s0, 6, v24
	s_delay_alu instid0(VALU_DEP_1) | instskip(SKIP_1) | instid1(VALU_DEP_1)
	v_cndmask_b32_e64 v14, 0xc61c4000, v14, s0
	v_cmp_ne_u32_e64 s0, 5, v24
	v_cndmask_b32_e64 v13, 0xc61c4000, v13, s0
	v_cmp_ne_u32_e64 s0, 4, v24
	s_delay_alu instid0(VALU_DEP_1) | instskip(SKIP_1) | instid1(VALU_DEP_1)
	v_cndmask_b32_e64 v12, 0xc61c4000, v12, s0
	v_cmp_ne_u32_e64 s0, 3, v24
	v_cndmask_b32_e64 v11, 0xc61c4000, v11, s0
	v_cmp_ne_u32_e64 s0, 2, v24
	s_delay_alu instid0(VALU_DEP_1) | instskip(SKIP_1) | instid1(VALU_DEP_1)
	v_cndmask_b32_e64 v10, 0xc61c4000, v10, s0
	v_cmp_ne_u32_e64 s0, 1, v24
	v_cndmask_b32_e64 v9, 0xc61c4000, v9, s0
	v_cmp_ne_u32_e64 s0, 0, v24
	s_delay_alu instid0(VALU_DEP_1)
	v_cndmask_b32_e64 v8, 0xc61c4000, v8, s0
	s_branch .LBB280_8
.LBB280_23:
                                        ; implicit-def: $vgpr8_vgpr9_vgpr10_vgpr11_vgpr12_vgpr13_vgpr14_vgpr15
	s_and_not1_b32 vcc_lo, exec_lo, s9
	s_cbranch_vccz .LBB280_5
	s_branch .LBB280_6
.LBB280_24:
	v_mov_b32_e32 v19, 0
.LBB280_25:
	v_cmp_eq_u32_e64 s0, 0, v17
	s_delay_alu instid0(VALU_DEP_1) | instskip(NEXT) | instid1(SALU_CYCLE_1)
	s_and_b32 s0, s0, vcc_lo
	s_and_b32 exec_lo, exec_lo, s0
	s_cbranch_execz .LBB280_29
; %bb.26:
	s_and_not1_b32 vcc_lo, exec_lo, s5
	s_cbranch_vccnz .LBB280_29
; %bb.27:
	v_mul_lo_u32 v0, v16, s8
	v_cmp_lt_f32_e32 vcc_lo, 0, v19
	v_cndmask_b32_e32 v2, 1.0, v19, vcc_lo
	s_delay_alu instid0(VALU_DEP_3) | instskip(NEXT) | instid1(VALU_DEP_1)
	v_ashrrev_i32_e32 v1, 31, v0
	v_lshlrev_b64 v[0:1], 2, v[0:1]
	s_delay_alu instid0(VALU_DEP_1) | instskip(NEXT) | instid1(VALU_DEP_2)
	v_add_co_u32 v0, vcc_lo, s16, v0
	v_add_co_ci_u32_e32 v1, vcc_lo, s17, v1, vcc_lo
	.p2align	6
.LBB280_28:                             ; =>This Inner Loop Header: Depth=1
	global_load_b32 v3, v[0:1], off
	s_add_i32 s8, s8, -1
	s_delay_alu instid0(SALU_CYCLE_1) | instskip(SKIP_3) | instid1(VALU_DEP_2)
	s_cmp_lg_u32 s8, 0
	s_waitcnt vmcnt(0)
	v_div_scale_f32 v4, null, v2, v2, v3
	v_div_scale_f32 v7, vcc_lo, v3, v2, v3
	v_rcp_f32_e32 v5, v4
	s_waitcnt_depctr 0xfff
	v_fma_f32 v6, -v4, v5, 1.0
	s_delay_alu instid0(VALU_DEP_1) | instskip(NEXT) | instid1(VALU_DEP_1)
	v_fmac_f32_e32 v5, v6, v5
	v_mul_f32_e32 v6, v7, v5
	s_delay_alu instid0(VALU_DEP_1) | instskip(NEXT) | instid1(VALU_DEP_1)
	v_fma_f32 v8, -v4, v6, v7
	v_fmac_f32_e32 v6, v8, v5
	s_delay_alu instid0(VALU_DEP_1) | instskip(NEXT) | instid1(VALU_DEP_1)
	v_fma_f32 v4, -v4, v6, v7
	v_div_fmas_f32 v4, v4, v5, v6
	s_delay_alu instid0(VALU_DEP_1)
	v_div_fixup_f32 v3, v4, v2, v3
	global_store_b32 v[0:1], v3, off
	v_add_co_u32 v0, vcc_lo, v0, 4
	v_add_co_ci_u32_e32 v1, vcc_lo, 0, v1, vcc_lo
	s_cbranch_scc1 .LBB280_28
.LBB280_29:
	s_nop 0
	s_sendmsg sendmsg(MSG_DEALLOC_VGPRS)
	s_endpgm
	.section	.rodata,"a",@progbits
	.p2align	6, 0x0
	.amdhsa_kernel _ZN4vllm3moe10topkGatingILi8ELi32ELi4ELi16ELi64Ej6__halfLNS0_11ScoringFuncE1EEEvPKT5_PKbPfiPT4_PiiiibPKf
		.amdhsa_group_segment_fixed_size 0
		.amdhsa_private_segment_fixed_size 0
		.amdhsa_kernarg_size 72
		.amdhsa_user_sgpr_count 15
		.amdhsa_user_sgpr_dispatch_ptr 0
		.amdhsa_user_sgpr_queue_ptr 0
		.amdhsa_user_sgpr_kernarg_segment_ptr 1
		.amdhsa_user_sgpr_dispatch_id 0
		.amdhsa_user_sgpr_private_segment_size 0
		.amdhsa_wavefront_size32 1
		.amdhsa_uses_dynamic_stack 0
		.amdhsa_enable_private_segment 0
		.amdhsa_system_sgpr_workgroup_id_x 1
		.amdhsa_system_sgpr_workgroup_id_y 0
		.amdhsa_system_sgpr_workgroup_id_z 0
		.amdhsa_system_sgpr_workgroup_info 0
		.amdhsa_system_vgpr_workitem_id 1
		.amdhsa_next_free_vgpr 47
		.amdhsa_next_free_sgpr 20
		.amdhsa_reserve_vcc 1
		.amdhsa_float_round_mode_32 0
		.amdhsa_float_round_mode_16_64 0
		.amdhsa_float_denorm_mode_32 3
		.amdhsa_float_denorm_mode_16_64 3
		.amdhsa_dx10_clamp 1
		.amdhsa_ieee_mode 1
		.amdhsa_fp16_overflow 0
		.amdhsa_workgroup_processor_mode 1
		.amdhsa_memory_ordered 1
		.amdhsa_forward_progress 0
		.amdhsa_shared_vgpr_count 0
		.amdhsa_exception_fp_ieee_invalid_op 0
		.amdhsa_exception_fp_denorm_src 0
		.amdhsa_exception_fp_ieee_div_zero 0
		.amdhsa_exception_fp_ieee_overflow 0
		.amdhsa_exception_fp_ieee_underflow 0
		.amdhsa_exception_fp_ieee_inexact 0
		.amdhsa_exception_int_div_zero 0
	.end_amdhsa_kernel
	.section	.text._ZN4vllm3moe10topkGatingILi8ELi32ELi4ELi16ELi64Ej6__halfLNS0_11ScoringFuncE1EEEvPKT5_PKbPfiPT4_PiiiibPKf,"axG",@progbits,_ZN4vllm3moe10topkGatingILi8ELi32ELi4ELi16ELi64Ej6__halfLNS0_11ScoringFuncE1EEEvPKT5_PKbPfiPT4_PiiiibPKf,comdat
.Lfunc_end280:
	.size	_ZN4vllm3moe10topkGatingILi8ELi32ELi4ELi16ELi64Ej6__halfLNS0_11ScoringFuncE1EEEvPKT5_PKbPfiPT4_PiiiibPKf, .Lfunc_end280-_ZN4vllm3moe10topkGatingILi8ELi32ELi4ELi16ELi64Ej6__halfLNS0_11ScoringFuncE1EEEvPKT5_PKbPfiPT4_PiiiibPKf
                                        ; -- End function
	.section	.AMDGPU.csdata,"",@progbits
; Kernel info:
; codeLenInByte = 2728
; NumSgprs: 22
; NumVgprs: 47
; ScratchSize: 0
; MemoryBound: 0
; FloatMode: 240
; IeeeMode: 1
; LDSByteSize: 0 bytes/workgroup (compile time only)
; SGPRBlocks: 2
; VGPRBlocks: 5
; NumSGPRsForWavesPerEU: 22
; NumVGPRsForWavesPerEU: 47
; Occupancy: 16
; WaveLimiterHint : 0
; COMPUTE_PGM_RSRC2:SCRATCH_EN: 0
; COMPUTE_PGM_RSRC2:USER_SGPR: 15
; COMPUTE_PGM_RSRC2:TRAP_HANDLER: 0
; COMPUTE_PGM_RSRC2:TGID_X_EN: 1
; COMPUTE_PGM_RSRC2:TGID_Y_EN: 0
; COMPUTE_PGM_RSRC2:TGID_Z_EN: 0
; COMPUTE_PGM_RSRC2:TIDIG_COMP_CNT: 1
	.section	.text._ZN4vllm3moe10topkGatingILi8ELi32ELi4ELi16ELi32Ej6__halfLNS0_11ScoringFuncE1EEEvPKT5_PKbPfiPT4_PiiiibPKf,"axG",@progbits,_ZN4vllm3moe10topkGatingILi8ELi32ELi4ELi16ELi32Ej6__halfLNS0_11ScoringFuncE1EEEvPKT5_PKbPfiPT4_PiiiibPKf,comdat
	.protected	_ZN4vllm3moe10topkGatingILi8ELi32ELi4ELi16ELi32Ej6__halfLNS0_11ScoringFuncE1EEEvPKT5_PKbPfiPT4_PiiiibPKf ; -- Begin function _ZN4vllm3moe10topkGatingILi8ELi32ELi4ELi16ELi32Ej6__halfLNS0_11ScoringFuncE1EEEvPKT5_PKbPfiPT4_PiiiibPKf
	.globl	_ZN4vllm3moe10topkGatingILi8ELi32ELi4ELi16ELi32Ej6__halfLNS0_11ScoringFuncE1EEEvPKT5_PKbPfiPT4_PiiiibPKf
	.p2align	8
	.type	_ZN4vllm3moe10topkGatingILi8ELi32ELi4ELi16ELi32Ej6__halfLNS0_11ScoringFuncE1EEEvPKT5_PKbPfiPT4_PiiiibPKf,@function
_ZN4vllm3moe10topkGatingILi8ELi32ELi4ELi16ELi32Ej6__halfLNS0_11ScoringFuncE1EEEvPKT5_PKbPfiPT4_PiiiibPKf: ; @_ZN4vllm3moe10topkGatingILi8ELi32ELi4ELi16ELi32Ej6__halfLNS0_11ScoringFuncE1EEEvPKT5_PKbPfiPT4_PiiiibPKf
; %bb.0:
	s_load_b32 s18, s[0:1], 0x18
	v_bfe_u32 v1, v0, 10, 10
	v_and_b32_e32 v0, 0x3ff, v0
	s_lshl_b32 s2, s15, 5
	s_delay_alu instid0(VALU_DEP_2) | instskip(NEXT) | instid1(VALU_DEP_2)
	v_lshlrev_b32_e32 v1, 3, v1
	v_lshrrev_b32_e32 v2, 2, v0
	s_delay_alu instid0(VALU_DEP_1) | instskip(SKIP_2) | instid1(VALU_DEP_1)
	v_add3_u32 v16, s2, v1, v2
	s_mov_b32 s2, exec_lo
	s_waitcnt lgkmcnt(0)
	v_cmpx_gt_i32_e64 s18, v16
	s_cbranch_execz .LBB281_29
; %bb.1:
	s_clause 0x1
	s_load_b128 s[4:7], s[0:1], 0x0
	s_load_b64 s[16:17], s[0:1], 0x10
	s_mov_b32 s9, -1
	s_mov_b32 s19, -1
	s_waitcnt lgkmcnt(0)
	s_cmp_eq_u64 s[6:7], 0
	s_cbranch_scc1 .LBB281_3
; %bb.2:
	v_ashrrev_i32_e32 v2, 31, v16
	v_add_co_u32 v1, vcc_lo, s6, v16
	s_delay_alu instid0(VALU_DEP_2) | instskip(SKIP_3) | instid1(VALU_DEP_1)
	v_add_co_ci_u32_e32 v2, vcc_lo, s7, v2, vcc_lo
	global_load_u8 v1, v[1:2], off
	s_waitcnt vmcnt(0)
	v_and_b32_e32 v1, 1, v1
	v_cmp_eq_u32_e32 vcc_lo, 1, v1
	s_xor_b32 s2, vcc_lo, -1
	s_delay_alu instid0(SALU_CYCLE_1)
	s_or_not1_b32 s19, s2, exec_lo
.LBB281_3:
	v_lshlrev_b32_e32 v1, 5, v16
	v_and_b32_e32 v17, 3, v0
	s_load_b64 s[10:11], s[0:1], 0x40
	s_delay_alu instid0(VALU_DEP_2) | instskip(NEXT) | instid1(VALU_DEP_1)
	v_ashrrev_i32_e32 v2, 31, v1
	v_lshlrev_b64 v[0:1], 1, v[1:2]
	s_delay_alu instid0(VALU_DEP_3) | instskip(NEXT) | instid1(VALU_DEP_2)
	v_lshlrev_b32_e32 v2, 4, v17
	v_add_co_u32 v0, vcc_lo, s4, v0
	s_delay_alu instid0(VALU_DEP_3) | instskip(NEXT) | instid1(VALU_DEP_2)
	v_add_co_ci_u32_e32 v1, vcc_lo, s5, v1, vcc_lo
	v_add_co_u32 v0, vcc_lo, v0, v2
	s_delay_alu instid0(VALU_DEP_2)
	v_add_co_ci_u32_e32 v1, vcc_lo, 0, v1, vcc_lo
	s_waitcnt lgkmcnt(0)
	s_cmp_eq_u64 s[10:11], 0
	global_load_b128 v[0:3], v[0:1], off
	s_waitcnt vmcnt(0)
	v_cvt_f32_f16_e32 v4, v0
	v_lshrrev_b32_e32 v0, 16, v0
	v_cvt_f32_f16_e32 v5, v1
	v_lshrrev_b32_e32 v1, 16, v1
	;; [unrolled: 2-line block ×4, first 2 shown]
	v_dual_mul_f32 v4, 0xbfb8aa3b, v4 :: v_dual_mul_f32 v5, 0xbfb8aa3b, v5
	v_cvt_f32_f16_e32 v0, v0
	v_cvt_f32_f16_e32 v1, v1
	;; [unrolled: 1-line block ×4, first 2 shown]
	v_dual_mul_f32 v6, 0xbfb8aa3b, v6 :: v_dual_mul_f32 v7, 0xbfb8aa3b, v7
	v_exp_f32_e32 v4, v4
	v_dual_mul_f32 v0, 0xbfb8aa3b, v0 :: v_dual_mul_f32 v1, 0xbfb8aa3b, v1
	v_exp_f32_e32 v5, v5
	s_delay_alu instid0(VALU_DEP_2)
	v_exp_f32_e32 v6, v6
	v_mul_f32_e32 v2, 0xbfb8aa3b, v2
	v_exp_f32_e32 v7, v7
	v_dual_mul_f32 v3, 0xbfb8aa3b, v3 :: v_dual_lshlrev_b32 v18, 3, v17
	v_exp_f32_e32 v0, v0
	v_exp_f32_e32 v1, v1
	;; [unrolled: 1-line block ×3, first 2 shown]
	s_delay_alu instid0(VALU_DEP_1) | instskip(SKIP_2) | instid1(VALU_DEP_2)
	v_exp_f32_e32 v3, v3
	v_dual_add_f32 v4, 1.0, v4 :: v_dual_add_f32 v5, 1.0, v5
	v_dual_add_f32 v6, 1.0, v6 :: v_dual_add_f32 v7, 1.0, v7
	v_div_scale_f32 v8, null, v4, v4, 1.0
	s_delay_alu instid0(TRANS32_DEP_3) | instskip(NEXT) | instid1(VALU_DEP_4)
	v_dual_add_f32 v0, 1.0, v0 :: v_dual_add_f32 v1, 1.0, v1
	v_div_scale_f32 v10, null, v5, v5, 1.0
	s_delay_alu instid0(VALU_DEP_4) | instskip(NEXT) | instid1(TRANS32_DEP_1)
	v_div_scale_f32 v12, null, v6, v6, 1.0
	v_dual_add_f32 v14, 1.0, v2 :: v_dual_add_f32 v19, 1.0, v3
	v_div_scale_f32 v2, null, v7, v7, 1.0
	v_rcp_f32_e32 v3, v8
	v_div_scale_f32 v20, null, v0, v0, 1.0
	v_rcp_f32_e32 v22, v10
	;; [unrolled: 2-line block ×3, first 2 shown]
	v_rcp_f32_e32 v28, v2
	v_div_scale_f32 v29, null, v19, v19, 1.0
	v_rcp_f32_e32 v30, v20
	v_div_scale_f32 v26, null, v14, v14, 1.0
	v_rcp_f32_e32 v32, v23
	v_fma_f32 v34, -v8, v3, 1.0
	v_rcp_f32_e32 v35, v29
	v_div_scale_f32 v9, vcc_lo, 1.0, v4, 1.0
	v_rcp_f32_e32 v33, v26
	v_fma_f32 v36, -v10, v22, 1.0
	v_fma_f32 v37, -v12, v25, 1.0
	;; [unrolled: 1-line block ×3, first 2 shown]
	v_fmac_f32_e32 v3, v34, v3
	v_fma_f32 v34, -v20, v30, 1.0
	v_fmac_f32_e32 v22, v36, v22
	v_div_scale_f32 v11, s2, 1.0, v5, 1.0
	v_fma_f32 v36, -v23, v32, 1.0
	v_dual_fmac_f32 v25, v37, v25 :: v_dual_fmac_f32 v28, v38, v28
	v_fma_f32 v38, -v29, v35, 1.0
	v_dual_mul_f32 v39, v9, v3 :: v_dual_fmac_f32 v30, v34, v30
	v_div_scale_f32 v21, s5, 1.0, v0, 1.0
	v_div_scale_f32 v24, s6, 1.0, v1, 1.0
	v_fma_f32 v37, -v26, v33, 1.0
	v_mul_f32_e32 v34, v11, v22
	v_dual_fmac_f32 v32, v36, v32 :: v_dual_fmac_f32 v35, v38, v35
	v_fma_f32 v38, -v8, v39, v9
	v_mul_f32_e32 v40, v21, v30
	v_div_scale_f32 v13, s3, 1.0, v6, 1.0
	v_div_scale_f32 v15, s4, 1.0, v7, 1.0
	s_delay_alu instid0(VALU_DEP_4)
	v_fmac_f32_e32 v39, v38, v3
	v_fmac_f32_e32 v33, v37, v33
	v_fma_f32 v41, -v10, v34, v11
	v_mul_f32_e32 v42, v24, v32
	v_fma_f32 v38, -v20, v40, v21
	v_div_scale_f32 v27, s7, 1.0, v14, 1.0
	v_dual_mul_f32 v36, v13, v25 :: v_dual_mul_f32 v37, v15, v28
	v_fmac_f32_e32 v34, v41, v22
	v_fma_f32 v41, -v23, v42, v24
	v_fma_f32 v8, -v8, v39, v9
	v_fmac_f32_e32 v40, v38, v30
	v_fma_f32 v43, -v12, v36, v13
	v_fma_f32 v45, -v2, v37, v15
	v_mul_f32_e32 v44, v27, v33
	v_fmac_f32_e32 v42, v41, v32
	v_div_fmas_f32 v3, v8, v3, v39
	v_fma_f32 v8, -v20, v40, v21
	v_fmac_f32_e32 v37, v45, v28
	v_fma_f32 v9, -v10, v34, v11
	v_fmac_f32_e32 v36, v43, v25
	v_fma_f32 v43, -v26, v44, v27
	s_mov_b32 vcc_lo, s5
	v_fma_f32 v11, -v23, v42, v24
	v_div_fixup_f32 v3, v3, v4, 1.0
	v_div_fmas_f32 v4, v8, v30, v40
	s_mov_b32 vcc_lo, s2
	v_fmac_f32_e32 v44, v43, v33
	v_div_fmas_f32 v8, v9, v22, v34
	s_mov_b32 vcc_lo, s6
	v_fma_f32 v10, -v12, v36, v13
	v_div_fmas_f32 v9, v11, v32, v42
	v_cmp_class_f32_e64 vcc_lo, v3, 0x1f8
	v_fma_f32 v12, -v26, v44, v27
	v_div_fixup_f32 v4, v4, v0, 1.0
	v_div_scale_f32 v31, s8, 1.0, v19, 1.0
	v_cndmask_b32_e32 v0, 0, v3, vcc_lo
	s_mov_b32 vcc_lo, s3
	v_fma_f32 v2, -v2, v37, v15
	v_div_fmas_f32 v3, v10, v25, v36
	s_mov_b32 vcc_lo, s7
	v_div_fixup_f32 v5, v8, v5, 1.0
	v_div_fmas_f32 v8, v12, v33, v44
	s_mov_b32 vcc_lo, s4
	v_div_fixup_f32 v9, v9, v1, 1.0
	v_div_fmas_f32 v10, v2, v28, v37
	v_cmp_class_f32_e64 vcc_lo, v4, 0x1f8
	v_mul_f32_e32 v46, v31, v35
	s_delay_alu instid0(VALU_DEP_3) | instskip(SKIP_1) | instid1(VALU_DEP_3)
	v_div_fixup_f32 v7, v10, v7, 1.0
	v_cndmask_b32_e32 v1, 0, v4, vcc_lo
	v_fma_f32 v45, -v29, v46, v31
	s_mov_b32 vcc_lo, s8
	v_div_fixup_f32 v4, v3, v6, 1.0
	s_delay_alu instid0(VALU_DEP_2) | instskip(NEXT) | instid1(VALU_DEP_1)
	v_fmac_f32_e32 v46, v45, v35
	v_fma_f32 v13, -v29, v46, v31
	s_delay_alu instid0(VALU_DEP_1)
	v_div_fmas_f32 v6, v13, v35, v46
	v_cmp_class_f32_e64 vcc_lo, v5, 0x1f8
	v_cndmask_b32_e32 v2, 0, v5, vcc_lo
	v_cmp_class_f32_e64 vcc_lo, v9, 0x1f8
	v_div_fixup_f32 v5, v8, v14, 1.0
	v_div_fixup_f32 v8, v6, v19, 1.0
	v_cndmask_b32_e32 v3, 0, v9, vcc_lo
	v_cmp_class_f32_e64 vcc_lo, v4, 0x1f8
	v_cndmask_b32_e32 v4, 0, v4, vcc_lo
	v_cmp_class_f32_e64 vcc_lo, v5, 0x1f8
	;; [unrolled: 2-line block ×4, first 2 shown]
	v_cndmask_b32_e32 v7, 0, v8, vcc_lo
	s_cbranch_scc1 .LBB281_23
; %bb.4:
	v_lshlrev_b32_e32 v12, 2, v18
	s_clause 0x1
	global_load_b128 v[8:11], v12, s[10:11]
	global_load_b128 v[12:15], v12, s[10:11] offset:16
	s_waitcnt vmcnt(1)
	v_dual_add_f32 v9, v9, v1 :: v_dual_add_f32 v8, v8, v0
	v_dual_add_f32 v11, v11, v3 :: v_dual_add_f32 v10, v10, v2
	s_waitcnt vmcnt(0)
	v_dual_add_f32 v13, v13, v5 :: v_dual_add_f32 v12, v12, v4
	v_dual_add_f32 v15, v15, v7 :: v_dual_add_f32 v14, v14, v6
	s_cbranch_execnz .LBB281_6
.LBB281_5:
	v_dual_mov_b32 v15, v7 :: v_dual_mov_b32 v14, v6
	v_dual_mov_b32 v13, v5 :: v_dual_mov_b32 v12, v4
	;; [unrolled: 1-line block ×4, first 2 shown]
.LBB281_6:
	s_load_b128 s[8:11], s[0:1], 0x30
	v_cmp_eq_u32_e64 s2, 0, v17
	s_mov_b32 s6, 0
	s_waitcnt lgkmcnt(0)
	s_bitcmp1_b32 s11, 0
	s_cselect_b32 vcc_lo, -1, 0
	s_cmp_gt_i32 s8, 0
	s_cselect_b32 s5, -1, 0
	s_cmp_lt_i32 s8, 1
	s_cbranch_scc1 .LBB281_24
; %bb.7:
	v_mbcnt_lo_u32_b32 v19, -1, 0
	s_load_b128 s[12:15], s[0:1], 0x20
	s_delay_alu instid0(VALU_DEP_1) | instskip(SKIP_2) | instid1(VALU_DEP_3)
	v_dual_mov_b32 v23, v16 :: v_dual_and_b32 v20, 28, v19
	v_xor_b32_e32 v21, 2, v19
	v_xor_b32_e32 v22, 1, v19
	v_add_nc_u32_e32 v20, 4, v20
	s_delay_alu instid0(VALU_DEP_1) | instskip(NEXT) | instid1(VALU_DEP_1)
	v_cmp_lt_i32_e64 s0, v21, v20
	v_cndmask_b32_e64 v21, v19, v21, s0
	s_delay_alu instid0(VALU_DEP_4) | instskip(SKIP_1) | instid1(VALU_DEP_3)
	v_cmp_lt_i32_e64 s0, v22, v20
	v_mul_lo_u32 v20, v16, s8
	v_lshlrev_b32_e32 v21, 2, v21
	s_delay_alu instid0(VALU_DEP_3) | instskip(NEXT) | instid1(VALU_DEP_1)
	v_cndmask_b32_e64 v22, v19, v22, s0
	v_dual_mov_b32 v19, 0 :: v_dual_lshlrev_b32 v22, 2, v22
	s_branch .LBB281_10
.LBB281_8:                              ;   in Loop: Header=BB281_10 Depth=1
	s_or_b32 exec_lo, exec_lo, s1
.LBB281_9:                              ;   in Loop: Header=BB281_10 Depth=1
	v_add_nc_u32_e32 v23, s18, v23
	s_cmp_eq_u32 s8, s6
	s_cbranch_scc1 .LBB281_25
.LBB281_10:                             ; =>This Inner Loop Header: Depth=1
	v_cmp_gt_f32_e64 s0, v9, v8
	s_delay_alu instid0(VALU_DEP_1) | instskip(SKIP_2) | instid1(VALU_DEP_3)
	v_cndmask_b32_e64 v25, v8, v9, s0
	v_cndmask_b32_e64 v24, 0, 1, s0
	v_cndmask_b32_e64 v26, v0, v1, s0
	v_cmp_gt_f32_e64 s1, v10, v25
	s_delay_alu instid0(VALU_DEP_1) | instskip(NEXT) | instid1(VALU_DEP_4)
	v_cndmask_b32_e64 v25, v25, v10, s1
	v_cndmask_b32_e64 v24, v24, 2, s1
	s_delay_alu instid0(VALU_DEP_4) | instskip(NEXT) | instid1(VALU_DEP_3)
	v_cndmask_b32_e64 v26, v26, v2, s1
	v_cmp_gt_f32_e64 s3, v11, v25
	s_delay_alu instid0(VALU_DEP_1) | instskip(NEXT) | instid1(VALU_DEP_4)
	v_cndmask_b32_e64 v25, v25, v11, s3
	v_cndmask_b32_e64 v24, v24, 3, s3
	s_delay_alu instid0(VALU_DEP_4) | instskip(NEXT) | instid1(VALU_DEP_3)
	v_cndmask_b32_e64 v26, v26, v3, s3
	v_cmp_gt_f32_e64 s4, v12, v25
	s_delay_alu instid0(VALU_DEP_1) | instskip(NEXT) | instid1(VALU_DEP_4)
	v_cndmask_b32_e64 v25, v25, v12, s4
	v_cndmask_b32_e64 v24, v24, 4, s4
	s_delay_alu instid0(VALU_DEP_4) | instskip(SKIP_1) | instid1(VALU_DEP_3)
	v_cndmask_b32_e64 v26, v26, v4, s4
	s_mov_b32 s4, exec_lo
	v_cmp_gt_f32_e64 s0, v13, v25
	s_delay_alu instid0(VALU_DEP_1) | instskip(SKIP_2) | instid1(VALU_DEP_3)
	v_cndmask_b32_e64 v25, v25, v13, s0
	v_cndmask_b32_e64 v24, v24, 5, s0
	;; [unrolled: 1-line block ×3, first 2 shown]
	v_cmp_gt_f32_e64 s1, v14, v25
	s_delay_alu instid0(VALU_DEP_1) | instskip(NEXT) | instid1(VALU_DEP_4)
	v_cndmask_b32_e64 v25, v25, v14, s1
	v_cndmask_b32_e64 v24, v24, 6, s1
	s_waitcnt lgkmcnt(0)
	v_cndmask_b32_e64 v27, v26, v6, s1
	s_delay_alu instid0(VALU_DEP_3) | instskip(NEXT) | instid1(VALU_DEP_1)
	v_cmp_gt_f32_e64 s0, v15, v25
	v_cndmask_b32_e64 v24, v24, 7, s0
	v_cndmask_b32_e64 v26, v25, v15, s0
	s_delay_alu instid0(VALU_DEP_4) | instskip(NEXT) | instid1(VALU_DEP_3)
	v_cndmask_b32_e64 v25, v27, v7, s0
	v_or_b32_e32 v24, v18, v24
	ds_bpermute_b32 v27, v21, v26
	ds_bpermute_b32 v29, v21, v25
	;; [unrolled: 1-line block ×3, first 2 shown]
	s_waitcnt lgkmcnt(0)
	v_cmp_lt_f32_e64 s3, v26, v27
	v_cmpx_nlt_f32_e32 v26, v27
; %bb.11:                               ;   in Loop: Header=BB281_10 Depth=1
	v_cmp_eq_f32_e64 s0, v26, v27
	v_cmp_lt_i32_e64 s1, v28, v24
	s_delay_alu instid0(VALU_DEP_1) | instskip(SKIP_2) | instid1(SALU_CYCLE_1)
	s_and_b32 s0, s0, s1
	s_and_not1_b32 s1, s3, exec_lo
	s_and_b32 s0, s0, exec_lo
	s_or_b32 s3, s1, s0
; %bb.12:                               ;   in Loop: Header=BB281_10 Depth=1
	s_or_b32 exec_lo, exec_lo, s4
	s_and_saveexec_b32 s0, s3
; %bb.13:                               ;   in Loop: Header=BB281_10 Depth=1
	v_dual_mov_b32 v25, v29 :: v_dual_mov_b32 v26, v27
	v_mov_b32_e32 v24, v28
; %bb.14:                               ;   in Loop: Header=BB281_10 Depth=1
	s_or_b32 exec_lo, exec_lo, s0
	ds_bpermute_b32 v29, v22, v26
	ds_bpermute_b32 v27, v22, v25
	;; [unrolled: 1-line block ×3, first 2 shown]
	s_mov_b32 s4, exec_lo
	s_waitcnt lgkmcnt(2)
	v_cmp_lt_f32_e64 s3, v26, v29
	v_cmpx_nlt_f32_e32 v26, v29
	s_cbranch_execnz .LBB281_18
; %bb.15:                               ;   in Loop: Header=BB281_10 Depth=1
	s_or_b32 exec_lo, exec_lo, s4
	s_delay_alu instid0(VALU_DEP_2)
	s_and_saveexec_b32 s0, s3
	s_cbranch_execnz .LBB281_19
.LBB281_16:                             ;   in Loop: Header=BB281_10 Depth=1
	s_or_b32 exec_lo, exec_lo, s0
	s_and_saveexec_b32 s3, s2
	s_cbranch_execnz .LBB281_20
.LBB281_17:                             ;   in Loop: Header=BB281_10 Depth=1
	s_or_b32 exec_lo, exec_lo, s3
	s_add_i32 s6, s6, 1
	s_delay_alu instid0(SALU_CYCLE_1)
	s_cmp_ge_i32 s6, s8
	s_cbranch_scc1 .LBB281_9
	s_branch .LBB281_21
.LBB281_18:                             ;   in Loop: Header=BB281_10 Depth=1
	v_cmp_eq_f32_e64 s0, v26, v29
	s_waitcnt lgkmcnt(0)
	v_cmp_lt_i32_e64 s1, v28, v24
	s_delay_alu instid0(VALU_DEP_1) | instskip(SKIP_2) | instid1(SALU_CYCLE_1)
	s_and_b32 s0, s0, s1
	s_and_not1_b32 s1, s3, exec_lo
	s_and_b32 s0, s0, exec_lo
	s_or_b32 s3, s1, s0
	s_or_b32 exec_lo, exec_lo, s4
	s_and_saveexec_b32 s0, s3
	s_cbranch_execz .LBB281_16
.LBB281_19:                             ;   in Loop: Header=BB281_10 Depth=1
	s_waitcnt lgkmcnt(0)
	v_dual_mov_b32 v24, v28 :: v_dual_mov_b32 v25, v27
	s_or_b32 exec_lo, exec_lo, s0
	s_and_saveexec_b32 s3, s2
	s_cbranch_execz .LBB281_17
.LBB281_20:                             ;   in Loop: Header=BB281_10 Depth=1
	s_delay_alu instid0(VALU_DEP_1)
	v_dual_add_f32 v33, v19, v25 :: v_dual_add_nc_u32 v26, s6, v20
	v_cmp_le_i32_e64 s0, s9, v24
	v_cmp_gt_i32_e64 s1, s10, v24
	s_waitcnt lgkmcnt(0)
	v_subrev_nc_u32_e32 v28, s9, v24
	v_ashrrev_i32_e32 v27, 31, v26
	v_cndmask_b32_e32 v19, v19, v33, vcc_lo
	s_and_b32 s0, s0, s1
	s_delay_alu instid0(SALU_CYCLE_1) | instskip(NEXT) | instid1(VALU_DEP_2)
	s_and_b32 s0, s19, s0
	v_lshlrev_b64 v[26:27], 2, v[26:27]
	v_cndmask_b32_e64 v32, 32, v28, s0
	s_delay_alu instid0(VALU_DEP_2) | instskip(NEXT) | instid1(VALU_DEP_1)
	v_add_co_u32 v28, s0, s16, v26
	v_add_co_ci_u32_e64 v29, s0, s17, v27, s0
	v_add_co_u32 v30, s0, s12, v26
	s_delay_alu instid0(VALU_DEP_1) | instskip(SKIP_1) | instid1(VALU_DEP_1)
	v_add_co_ci_u32_e64 v31, s0, s13, v27, s0
	v_add_co_u32 v26, s0, s14, v26
	v_add_co_ci_u32_e64 v27, s0, s15, v27, s0
	global_store_b32 v[28:29], v25, off
	global_store_b32 v[30:31], v32, off
	;; [unrolled: 1-line block ×3, first 2 shown]
	s_or_b32 exec_lo, exec_lo, s3
	s_add_i32 s6, s6, 1
	s_delay_alu instid0(SALU_CYCLE_1)
	s_cmp_ge_i32 s6, s8
	s_cbranch_scc1 .LBB281_9
.LBB281_21:                             ;   in Loop: Header=BB281_10 Depth=1
	v_ashrrev_i32_e32 v26, 31, v24
	s_mov_b32 s1, exec_lo
	s_delay_alu instid0(VALU_DEP_1) | instskip(NEXT) | instid1(VALU_DEP_1)
	v_lshrrev_b32_e32 v25, 29, v26
	v_add_nc_u32_e32 v25, v24, v25
	s_delay_alu instid0(VALU_DEP_1) | instskip(SKIP_1) | instid1(VALU_DEP_1)
	v_ashrrev_i32_e32 v25, 3, v25
	s_waitcnt lgkmcnt(1)
	v_lshrrev_b32_e32 v27, 30, v25
	s_delay_alu instid0(VALU_DEP_1) | instskip(NEXT) | instid1(VALU_DEP_1)
	v_add_nc_u32_e32 v27, v25, v27
	v_and_b32_e32 v27, -4, v27
	s_delay_alu instid0(VALU_DEP_1) | instskip(NEXT) | instid1(VALU_DEP_1)
	v_sub_nc_u32_e32 v27, v25, v27
	v_cmpx_eq_u32_e64 v17, v27
	s_cbranch_execz .LBB281_8
; %bb.22:                               ;   in Loop: Header=BB281_10 Depth=1
	v_lshrrev_b32_e32 v26, 27, v26
	v_lshlrev_b32_e32 v25, 3, v25
	s_delay_alu instid0(VALU_DEP_2) | instskip(NEXT) | instid1(VALU_DEP_2)
	v_add_nc_u32_e32 v26, v24, v26
	v_sub_nc_u32_e32 v24, v24, v25
	s_delay_alu instid0(VALU_DEP_2) | instskip(NEXT) | instid1(VALU_DEP_1)
	v_ashrrev_i32_e32 v25, 5, v26
	v_lshl_add_u32 v24, v25, 3, v24
	s_delay_alu instid0(VALU_DEP_1) | instskip(NEXT) | instid1(VALU_DEP_1)
	v_cmp_ne_u32_e64 s0, 7, v24
	v_cndmask_b32_e64 v15, 0xc61c4000, v15, s0
	v_cmp_ne_u32_e64 s0, 6, v24
	s_delay_alu instid0(VALU_DEP_1) | instskip(SKIP_1) | instid1(VALU_DEP_1)
	v_cndmask_b32_e64 v14, 0xc61c4000, v14, s0
	v_cmp_ne_u32_e64 s0, 5, v24
	v_cndmask_b32_e64 v13, 0xc61c4000, v13, s0
	v_cmp_ne_u32_e64 s0, 4, v24
	s_delay_alu instid0(VALU_DEP_1) | instskip(SKIP_1) | instid1(VALU_DEP_1)
	v_cndmask_b32_e64 v12, 0xc61c4000, v12, s0
	;; [unrolled: 5-line block ×3, first 2 shown]
	v_cmp_ne_u32_e64 s0, 1, v24
	v_cndmask_b32_e64 v9, 0xc61c4000, v9, s0
	v_cmp_ne_u32_e64 s0, 0, v24
	s_delay_alu instid0(VALU_DEP_1)
	v_cndmask_b32_e64 v8, 0xc61c4000, v8, s0
	s_branch .LBB281_8
.LBB281_23:
                                        ; implicit-def: $vgpr8_vgpr9_vgpr10_vgpr11_vgpr12_vgpr13_vgpr14_vgpr15
	s_and_not1_b32 vcc_lo, exec_lo, s9
	s_cbranch_vccz .LBB281_5
	s_branch .LBB281_6
.LBB281_24:
	v_mov_b32_e32 v19, 0
.LBB281_25:
	v_cmp_eq_u32_e64 s0, 0, v17
	s_delay_alu instid0(VALU_DEP_1) | instskip(NEXT) | instid1(SALU_CYCLE_1)
	s_and_b32 s0, s0, vcc_lo
	s_and_b32 exec_lo, exec_lo, s0
	s_cbranch_execz .LBB281_29
; %bb.26:
	s_and_not1_b32 vcc_lo, exec_lo, s5
	s_cbranch_vccnz .LBB281_29
; %bb.27:
	v_mul_lo_u32 v0, v16, s8
	v_cmp_lt_f32_e32 vcc_lo, 0, v19
	v_cndmask_b32_e32 v2, 1.0, v19, vcc_lo
	s_delay_alu instid0(VALU_DEP_3) | instskip(NEXT) | instid1(VALU_DEP_1)
	v_ashrrev_i32_e32 v1, 31, v0
	v_lshlrev_b64 v[0:1], 2, v[0:1]
	s_delay_alu instid0(VALU_DEP_1) | instskip(NEXT) | instid1(VALU_DEP_2)
	v_add_co_u32 v0, vcc_lo, s16, v0
	v_add_co_ci_u32_e32 v1, vcc_lo, s17, v1, vcc_lo
	.p2align	6
.LBB281_28:                             ; =>This Inner Loop Header: Depth=1
	global_load_b32 v3, v[0:1], off
	s_add_i32 s8, s8, -1
	s_delay_alu instid0(SALU_CYCLE_1) | instskip(SKIP_3) | instid1(VALU_DEP_2)
	s_cmp_lg_u32 s8, 0
	s_waitcnt vmcnt(0)
	v_div_scale_f32 v4, null, v2, v2, v3
	v_div_scale_f32 v7, vcc_lo, v3, v2, v3
	v_rcp_f32_e32 v5, v4
	s_waitcnt_depctr 0xfff
	v_fma_f32 v6, -v4, v5, 1.0
	s_delay_alu instid0(VALU_DEP_1) | instskip(NEXT) | instid1(VALU_DEP_1)
	v_fmac_f32_e32 v5, v6, v5
	v_mul_f32_e32 v6, v7, v5
	s_delay_alu instid0(VALU_DEP_1) | instskip(NEXT) | instid1(VALU_DEP_1)
	v_fma_f32 v8, -v4, v6, v7
	v_fmac_f32_e32 v6, v8, v5
	s_delay_alu instid0(VALU_DEP_1) | instskip(NEXT) | instid1(VALU_DEP_1)
	v_fma_f32 v4, -v4, v6, v7
	v_div_fmas_f32 v4, v4, v5, v6
	s_delay_alu instid0(VALU_DEP_1)
	v_div_fixup_f32 v3, v4, v2, v3
	global_store_b32 v[0:1], v3, off
	v_add_co_u32 v0, vcc_lo, v0, 4
	v_add_co_ci_u32_e32 v1, vcc_lo, 0, v1, vcc_lo
	s_cbranch_scc1 .LBB281_28
.LBB281_29:
	s_nop 0
	s_sendmsg sendmsg(MSG_DEALLOC_VGPRS)
	s_endpgm
	.section	.rodata,"a",@progbits
	.p2align	6, 0x0
	.amdhsa_kernel _ZN4vllm3moe10topkGatingILi8ELi32ELi4ELi16ELi32Ej6__halfLNS0_11ScoringFuncE1EEEvPKT5_PKbPfiPT4_PiiiibPKf
		.amdhsa_group_segment_fixed_size 0
		.amdhsa_private_segment_fixed_size 0
		.amdhsa_kernarg_size 72
		.amdhsa_user_sgpr_count 15
		.amdhsa_user_sgpr_dispatch_ptr 0
		.amdhsa_user_sgpr_queue_ptr 0
		.amdhsa_user_sgpr_kernarg_segment_ptr 1
		.amdhsa_user_sgpr_dispatch_id 0
		.amdhsa_user_sgpr_private_segment_size 0
		.amdhsa_wavefront_size32 1
		.amdhsa_uses_dynamic_stack 0
		.amdhsa_enable_private_segment 0
		.amdhsa_system_sgpr_workgroup_id_x 1
		.amdhsa_system_sgpr_workgroup_id_y 0
		.amdhsa_system_sgpr_workgroup_id_z 0
		.amdhsa_system_sgpr_workgroup_info 0
		.amdhsa_system_vgpr_workitem_id 1
		.amdhsa_next_free_vgpr 47
		.amdhsa_next_free_sgpr 20
		.amdhsa_reserve_vcc 1
		.amdhsa_float_round_mode_32 0
		.amdhsa_float_round_mode_16_64 0
		.amdhsa_float_denorm_mode_32 3
		.amdhsa_float_denorm_mode_16_64 3
		.amdhsa_dx10_clamp 1
		.amdhsa_ieee_mode 1
		.amdhsa_fp16_overflow 0
		.amdhsa_workgroup_processor_mode 1
		.amdhsa_memory_ordered 1
		.amdhsa_forward_progress 0
		.amdhsa_shared_vgpr_count 0
		.amdhsa_exception_fp_ieee_invalid_op 0
		.amdhsa_exception_fp_denorm_src 0
		.amdhsa_exception_fp_ieee_div_zero 0
		.amdhsa_exception_fp_ieee_overflow 0
		.amdhsa_exception_fp_ieee_underflow 0
		.amdhsa_exception_fp_ieee_inexact 0
		.amdhsa_exception_int_div_zero 0
	.end_amdhsa_kernel
	.section	.text._ZN4vllm3moe10topkGatingILi8ELi32ELi4ELi16ELi32Ej6__halfLNS0_11ScoringFuncE1EEEvPKT5_PKbPfiPT4_PiiiibPKf,"axG",@progbits,_ZN4vllm3moe10topkGatingILi8ELi32ELi4ELi16ELi32Ej6__halfLNS0_11ScoringFuncE1EEEvPKT5_PKbPfiPT4_PiiiibPKf,comdat
.Lfunc_end281:
	.size	_ZN4vllm3moe10topkGatingILi8ELi32ELi4ELi16ELi32Ej6__halfLNS0_11ScoringFuncE1EEEvPKT5_PKbPfiPT4_PiiiibPKf, .Lfunc_end281-_ZN4vllm3moe10topkGatingILi8ELi32ELi4ELi16ELi32Ej6__halfLNS0_11ScoringFuncE1EEEvPKT5_PKbPfiPT4_PiiiibPKf
                                        ; -- End function
	.section	.AMDGPU.csdata,"",@progbits
; Kernel info:
; codeLenInByte = 2728
; NumSgprs: 22
; NumVgprs: 47
; ScratchSize: 0
; MemoryBound: 0
; FloatMode: 240
; IeeeMode: 1
; LDSByteSize: 0 bytes/workgroup (compile time only)
; SGPRBlocks: 2
; VGPRBlocks: 5
; NumSGPRsForWavesPerEU: 22
; NumVGPRsForWavesPerEU: 47
; Occupancy: 16
; WaveLimiterHint : 0
; COMPUTE_PGM_RSRC2:SCRATCH_EN: 0
; COMPUTE_PGM_RSRC2:USER_SGPR: 15
; COMPUTE_PGM_RSRC2:TRAP_HANDLER: 0
; COMPUTE_PGM_RSRC2:TGID_X_EN: 1
; COMPUTE_PGM_RSRC2:TGID_Y_EN: 0
; COMPUTE_PGM_RSRC2:TGID_Z_EN: 0
; COMPUTE_PGM_RSRC2:TIDIG_COMP_CNT: 1
	.section	.text._ZN4vllm3moe10topkGatingILi8ELi64ELi4ELi16ELi64Ej6__halfLNS0_11ScoringFuncE1EEEvPKT5_PKbPfiPT4_PiiiibPKf,"axG",@progbits,_ZN4vllm3moe10topkGatingILi8ELi64ELi4ELi16ELi64Ej6__halfLNS0_11ScoringFuncE1EEEvPKT5_PKbPfiPT4_PiiiibPKf,comdat
	.protected	_ZN4vllm3moe10topkGatingILi8ELi64ELi4ELi16ELi64Ej6__halfLNS0_11ScoringFuncE1EEEvPKT5_PKbPfiPT4_PiiiibPKf ; -- Begin function _ZN4vllm3moe10topkGatingILi8ELi64ELi4ELi16ELi64Ej6__halfLNS0_11ScoringFuncE1EEEvPKT5_PKbPfiPT4_PiiiibPKf
	.globl	_ZN4vllm3moe10topkGatingILi8ELi64ELi4ELi16ELi64Ej6__halfLNS0_11ScoringFuncE1EEEvPKT5_PKbPfiPT4_PiiiibPKf
	.p2align	8
	.type	_ZN4vllm3moe10topkGatingILi8ELi64ELi4ELi16ELi64Ej6__halfLNS0_11ScoringFuncE1EEEvPKT5_PKbPfiPT4_PiiiibPKf,@function
_ZN4vllm3moe10topkGatingILi8ELi64ELi4ELi16ELi64Ej6__halfLNS0_11ScoringFuncE1EEEvPKT5_PKbPfiPT4_PiiiibPKf: ; @_ZN4vllm3moe10topkGatingILi8ELi64ELi4ELi16ELi64Ej6__halfLNS0_11ScoringFuncE1EEEvPKT5_PKbPfiPT4_PiiiibPKf
; %bb.0:
	s_load_b32 s18, s[0:1], 0x18
	v_bfe_u32 v1, v0, 10, 10
	v_and_b32_e32 v0, 0x3ff, v0
	s_lshl_b32 s2, s15, 5
	s_delay_alu instid0(VALU_DEP_2) | instskip(NEXT) | instid1(VALU_DEP_2)
	v_lshlrev_b32_e32 v1, 3, v1
	v_lshrrev_b32_e32 v2, 3, v0
	s_delay_alu instid0(VALU_DEP_1) | instskip(SKIP_2) | instid1(VALU_DEP_1)
	v_add3_u32 v16, s2, v1, v2
	s_mov_b32 s2, exec_lo
	s_waitcnt lgkmcnt(0)
	v_cmpx_gt_i32_e64 s18, v16
	s_cbranch_execz .LBB282_33
; %bb.1:
	s_clause 0x1
	s_load_b128 s[4:7], s[0:1], 0x0
	s_load_b64 s[16:17], s[0:1], 0x10
	s_mov_b32 s9, -1
	s_mov_b32 s19, -1
	s_waitcnt lgkmcnt(0)
	s_cmp_eq_u64 s[6:7], 0
	s_cbranch_scc1 .LBB282_3
; %bb.2:
	v_ashrrev_i32_e32 v2, 31, v16
	v_add_co_u32 v1, vcc_lo, s6, v16
	s_delay_alu instid0(VALU_DEP_2) | instskip(SKIP_3) | instid1(VALU_DEP_1)
	v_add_co_ci_u32_e32 v2, vcc_lo, s7, v2, vcc_lo
	global_load_u8 v1, v[1:2], off
	s_waitcnt vmcnt(0)
	v_and_b32_e32 v1, 1, v1
	v_cmp_eq_u32_e32 vcc_lo, 1, v1
	s_xor_b32 s2, vcc_lo, -1
	s_delay_alu instid0(SALU_CYCLE_1)
	s_or_not1_b32 s19, s2, exec_lo
.LBB282_3:
	v_lshlrev_b32_e32 v1, 6, v16
	v_and_b32_e32 v17, 7, v0
	s_load_b64 s[10:11], s[0:1], 0x40
	s_delay_alu instid0(VALU_DEP_2) | instskip(NEXT) | instid1(VALU_DEP_1)
	v_ashrrev_i32_e32 v2, 31, v1
	v_lshlrev_b64 v[0:1], 1, v[1:2]
	s_delay_alu instid0(VALU_DEP_3) | instskip(NEXT) | instid1(VALU_DEP_2)
	v_lshlrev_b32_e32 v2, 4, v17
	v_add_co_u32 v0, vcc_lo, s4, v0
	s_delay_alu instid0(VALU_DEP_3) | instskip(NEXT) | instid1(VALU_DEP_2)
	v_add_co_ci_u32_e32 v1, vcc_lo, s5, v1, vcc_lo
	v_add_co_u32 v0, vcc_lo, v0, v2
	s_delay_alu instid0(VALU_DEP_2)
	v_add_co_ci_u32_e32 v1, vcc_lo, 0, v1, vcc_lo
	s_waitcnt lgkmcnt(0)
	s_cmp_eq_u64 s[10:11], 0
	global_load_b128 v[0:3], v[0:1], off
	s_waitcnt vmcnt(0)
	v_cvt_f32_f16_e32 v4, v0
	v_lshrrev_b32_e32 v0, 16, v0
	v_cvt_f32_f16_e32 v5, v1
	v_lshrrev_b32_e32 v1, 16, v1
	v_cvt_f32_f16_e32 v6, v2
	v_lshrrev_b32_e32 v2, 16, v2
	v_cvt_f32_f16_e32 v7, v3
	v_lshrrev_b32_e32 v3, 16, v3
	v_dual_mul_f32 v4, 0xbfb8aa3b, v4 :: v_dual_mul_f32 v5, 0xbfb8aa3b, v5
	v_cvt_f32_f16_e32 v0, v0
	v_cvt_f32_f16_e32 v1, v1
	;; [unrolled: 1-line block ×4, first 2 shown]
	v_dual_mul_f32 v6, 0xbfb8aa3b, v6 :: v_dual_mul_f32 v7, 0xbfb8aa3b, v7
	v_exp_f32_e32 v4, v4
	v_dual_mul_f32 v0, 0xbfb8aa3b, v0 :: v_dual_mul_f32 v1, 0xbfb8aa3b, v1
	v_exp_f32_e32 v5, v5
	s_delay_alu instid0(VALU_DEP_2)
	v_exp_f32_e32 v6, v6
	v_mul_f32_e32 v2, 0xbfb8aa3b, v2
	v_exp_f32_e32 v7, v7
	v_dual_mul_f32 v3, 0xbfb8aa3b, v3 :: v_dual_lshlrev_b32 v18, 3, v17
	v_exp_f32_e32 v0, v0
	v_exp_f32_e32 v1, v1
	;; [unrolled: 1-line block ×3, first 2 shown]
	s_delay_alu instid0(VALU_DEP_1) | instskip(SKIP_2) | instid1(VALU_DEP_2)
	v_exp_f32_e32 v3, v3
	v_dual_add_f32 v4, 1.0, v4 :: v_dual_add_f32 v5, 1.0, v5
	v_dual_add_f32 v6, 1.0, v6 :: v_dual_add_f32 v7, 1.0, v7
	v_div_scale_f32 v8, null, v4, v4, 1.0
	s_delay_alu instid0(TRANS32_DEP_3) | instskip(NEXT) | instid1(VALU_DEP_4)
	v_dual_add_f32 v0, 1.0, v0 :: v_dual_add_f32 v1, 1.0, v1
	v_div_scale_f32 v10, null, v5, v5, 1.0
	s_delay_alu instid0(VALU_DEP_4) | instskip(NEXT) | instid1(TRANS32_DEP_1)
	v_div_scale_f32 v12, null, v6, v6, 1.0
	v_dual_add_f32 v14, 1.0, v2 :: v_dual_add_f32 v19, 1.0, v3
	v_div_scale_f32 v2, null, v7, v7, 1.0
	v_rcp_f32_e32 v3, v8
	v_div_scale_f32 v20, null, v0, v0, 1.0
	v_rcp_f32_e32 v22, v10
	;; [unrolled: 2-line block ×3, first 2 shown]
	v_rcp_f32_e32 v28, v2
	v_div_scale_f32 v29, null, v19, v19, 1.0
	v_rcp_f32_e32 v30, v20
	v_div_scale_f32 v26, null, v14, v14, 1.0
	v_rcp_f32_e32 v32, v23
	v_fma_f32 v34, -v8, v3, 1.0
	v_rcp_f32_e32 v35, v29
	v_div_scale_f32 v9, vcc_lo, 1.0, v4, 1.0
	v_rcp_f32_e32 v33, v26
	v_fma_f32 v36, -v10, v22, 1.0
	v_fma_f32 v37, -v12, v25, 1.0
	;; [unrolled: 1-line block ×3, first 2 shown]
	v_fmac_f32_e32 v3, v34, v3
	v_fma_f32 v34, -v20, v30, 1.0
	v_fmac_f32_e32 v22, v36, v22
	v_div_scale_f32 v11, s2, 1.0, v5, 1.0
	v_fma_f32 v36, -v23, v32, 1.0
	v_dual_fmac_f32 v25, v37, v25 :: v_dual_fmac_f32 v28, v38, v28
	v_fma_f32 v38, -v29, v35, 1.0
	v_dual_mul_f32 v39, v9, v3 :: v_dual_fmac_f32 v30, v34, v30
	v_div_scale_f32 v21, s5, 1.0, v0, 1.0
	v_div_scale_f32 v24, s6, 1.0, v1, 1.0
	v_fma_f32 v37, -v26, v33, 1.0
	v_mul_f32_e32 v34, v11, v22
	v_dual_fmac_f32 v32, v36, v32 :: v_dual_fmac_f32 v35, v38, v35
	v_fma_f32 v38, -v8, v39, v9
	v_mul_f32_e32 v40, v21, v30
	v_div_scale_f32 v13, s3, 1.0, v6, 1.0
	v_div_scale_f32 v15, s4, 1.0, v7, 1.0
	s_delay_alu instid0(VALU_DEP_4)
	v_fmac_f32_e32 v39, v38, v3
	v_fmac_f32_e32 v33, v37, v33
	v_fma_f32 v41, -v10, v34, v11
	v_mul_f32_e32 v42, v24, v32
	v_fma_f32 v38, -v20, v40, v21
	v_div_scale_f32 v27, s7, 1.0, v14, 1.0
	v_dual_mul_f32 v36, v13, v25 :: v_dual_mul_f32 v37, v15, v28
	v_fmac_f32_e32 v34, v41, v22
	v_fma_f32 v41, -v23, v42, v24
	v_fma_f32 v8, -v8, v39, v9
	v_fmac_f32_e32 v40, v38, v30
	v_fma_f32 v43, -v12, v36, v13
	v_fma_f32 v45, -v2, v37, v15
	v_mul_f32_e32 v44, v27, v33
	v_fmac_f32_e32 v42, v41, v32
	v_div_fmas_f32 v3, v8, v3, v39
	v_fma_f32 v8, -v20, v40, v21
	v_fmac_f32_e32 v37, v45, v28
	v_fma_f32 v9, -v10, v34, v11
	v_fmac_f32_e32 v36, v43, v25
	v_fma_f32 v43, -v26, v44, v27
	s_mov_b32 vcc_lo, s5
	v_fma_f32 v11, -v23, v42, v24
	v_div_fixup_f32 v3, v3, v4, 1.0
	v_div_fmas_f32 v4, v8, v30, v40
	s_mov_b32 vcc_lo, s2
	v_fmac_f32_e32 v44, v43, v33
	v_div_fmas_f32 v8, v9, v22, v34
	s_mov_b32 vcc_lo, s6
	v_fma_f32 v10, -v12, v36, v13
	v_div_fmas_f32 v9, v11, v32, v42
	v_cmp_class_f32_e64 vcc_lo, v3, 0x1f8
	v_fma_f32 v12, -v26, v44, v27
	v_div_fixup_f32 v4, v4, v0, 1.0
	v_div_scale_f32 v31, s8, 1.0, v19, 1.0
	v_cndmask_b32_e32 v0, 0, v3, vcc_lo
	s_mov_b32 vcc_lo, s3
	v_fma_f32 v2, -v2, v37, v15
	v_div_fmas_f32 v3, v10, v25, v36
	s_mov_b32 vcc_lo, s7
	v_div_fixup_f32 v5, v8, v5, 1.0
	v_div_fmas_f32 v8, v12, v33, v44
	s_mov_b32 vcc_lo, s4
	v_div_fixup_f32 v9, v9, v1, 1.0
	v_div_fmas_f32 v10, v2, v28, v37
	v_cmp_class_f32_e64 vcc_lo, v4, 0x1f8
	v_mul_f32_e32 v46, v31, v35
	s_delay_alu instid0(VALU_DEP_3) | instskip(SKIP_1) | instid1(VALU_DEP_3)
	v_div_fixup_f32 v7, v10, v7, 1.0
	v_cndmask_b32_e32 v1, 0, v4, vcc_lo
	v_fma_f32 v45, -v29, v46, v31
	s_mov_b32 vcc_lo, s8
	v_div_fixup_f32 v4, v3, v6, 1.0
	s_delay_alu instid0(VALU_DEP_2) | instskip(NEXT) | instid1(VALU_DEP_1)
	v_fmac_f32_e32 v46, v45, v35
	v_fma_f32 v13, -v29, v46, v31
	s_delay_alu instid0(VALU_DEP_1)
	v_div_fmas_f32 v6, v13, v35, v46
	v_cmp_class_f32_e64 vcc_lo, v5, 0x1f8
	v_cndmask_b32_e32 v2, 0, v5, vcc_lo
	v_cmp_class_f32_e64 vcc_lo, v9, 0x1f8
	v_div_fixup_f32 v5, v8, v14, 1.0
	v_div_fixup_f32 v8, v6, v19, 1.0
	v_cndmask_b32_e32 v3, 0, v9, vcc_lo
	v_cmp_class_f32_e64 vcc_lo, v4, 0x1f8
	v_cndmask_b32_e32 v4, 0, v4, vcc_lo
	v_cmp_class_f32_e64 vcc_lo, v5, 0x1f8
	;; [unrolled: 2-line block ×4, first 2 shown]
	v_cndmask_b32_e32 v7, 0, v8, vcc_lo
	s_cbranch_scc1 .LBB282_27
; %bb.4:
	v_lshlrev_b32_e32 v12, 2, v18
	s_clause 0x1
	global_load_b128 v[8:11], v12, s[10:11]
	global_load_b128 v[12:15], v12, s[10:11] offset:16
	s_waitcnt vmcnt(1)
	v_dual_add_f32 v9, v9, v1 :: v_dual_add_f32 v8, v8, v0
	v_dual_add_f32 v11, v11, v3 :: v_dual_add_f32 v10, v10, v2
	s_waitcnt vmcnt(0)
	v_dual_add_f32 v13, v13, v5 :: v_dual_add_f32 v12, v12, v4
	v_dual_add_f32 v15, v15, v7 :: v_dual_add_f32 v14, v14, v6
	s_cbranch_execnz .LBB282_6
.LBB282_5:
	v_dual_mov_b32 v15, v7 :: v_dual_mov_b32 v14, v6
	v_dual_mov_b32 v13, v5 :: v_dual_mov_b32 v12, v4
	;; [unrolled: 1-line block ×4, first 2 shown]
.LBB282_6:
	s_load_b128 s[8:11], s[0:1], 0x30
	v_cmp_eq_u32_e64 s2, 0, v17
	s_mov_b32 s6, 0
	s_waitcnt lgkmcnt(0)
	s_bitcmp1_b32 s11, 0
	s_cselect_b32 vcc_lo, -1, 0
	s_cmp_gt_i32 s8, 0
	s_cselect_b32 s5, -1, 0
	s_cmp_lt_i32 s8, 1
	s_cbranch_scc1 .LBB282_28
; %bb.7:
	v_mbcnt_lo_u32_b32 v19, -1, 0
	s_load_b128 s[12:15], s[0:1], 0x20
	v_mov_b32_e32 v24, v16
	s_delay_alu instid0(VALU_DEP_2) | instskip(SKIP_3) | instid1(VALU_DEP_4)
	v_and_b32_e32 v20, 24, v19
	v_xor_b32_e32 v21, 4, v19
	v_xor_b32_e32 v22, 2, v19
	;; [unrolled: 1-line block ×3, first 2 shown]
	v_add_nc_u32_e32 v20, 8, v20
	s_delay_alu instid0(VALU_DEP_1) | instskip(NEXT) | instid1(VALU_DEP_1)
	v_cmp_lt_i32_e64 s0, v21, v20
	v_cndmask_b32_e64 v21, v19, v21, s0
	v_cmp_lt_i32_e64 s0, v22, v20
	s_delay_alu instid0(VALU_DEP_2) | instskip(NEXT) | instid1(VALU_DEP_2)
	v_lshlrev_b32_e32 v21, 2, v21
	v_cndmask_b32_e64 v22, v19, v22, s0
	v_cmp_lt_i32_e64 s0, v23, v20
	v_mul_lo_u32 v20, v16, s8
	s_delay_alu instid0(VALU_DEP_3) | instskip(NEXT) | instid1(VALU_DEP_3)
	v_lshlrev_b32_e32 v22, 2, v22
	v_cndmask_b32_e64 v23, v19, v23, s0
	v_mov_b32_e32 v19, 0
	s_delay_alu instid0(VALU_DEP_2)
	v_lshlrev_b32_e32 v23, 2, v23
	s_branch .LBB282_10
.LBB282_8:                              ;   in Loop: Header=BB282_10 Depth=1
	s_or_b32 exec_lo, exec_lo, s1
.LBB282_9:                              ;   in Loop: Header=BB282_10 Depth=1
	v_add_nc_u32_e32 v24, s18, v24
	s_cmp_eq_u32 s8, s6
	s_cbranch_scc1 .LBB282_29
.LBB282_10:                             ; =>This Inner Loop Header: Depth=1
	v_cmp_gt_f32_e64 s0, v9, v8
	s_delay_alu instid0(VALU_DEP_1) | instskip(SKIP_2) | instid1(VALU_DEP_3)
	v_cndmask_b32_e64 v26, v8, v9, s0
	v_cndmask_b32_e64 v25, 0, 1, s0
	;; [unrolled: 1-line block ×3, first 2 shown]
	v_cmp_gt_f32_e64 s1, v10, v26
	s_delay_alu instid0(VALU_DEP_1) | instskip(NEXT) | instid1(VALU_DEP_4)
	v_cndmask_b32_e64 v26, v26, v10, s1
	v_cndmask_b32_e64 v25, v25, 2, s1
	s_delay_alu instid0(VALU_DEP_4) | instskip(NEXT) | instid1(VALU_DEP_3)
	v_cndmask_b32_e64 v27, v27, v2, s1
	v_cmp_gt_f32_e64 s3, v11, v26
	s_delay_alu instid0(VALU_DEP_1) | instskip(NEXT) | instid1(VALU_DEP_4)
	v_cndmask_b32_e64 v26, v26, v11, s3
	v_cndmask_b32_e64 v25, v25, 3, s3
	s_delay_alu instid0(VALU_DEP_4) | instskip(NEXT) | instid1(VALU_DEP_3)
	v_cndmask_b32_e64 v27, v27, v3, s3
	v_cmp_gt_f32_e64 s4, v12, v26
	s_delay_alu instid0(VALU_DEP_1) | instskip(NEXT) | instid1(VALU_DEP_4)
	v_cndmask_b32_e64 v26, v26, v12, s4
	v_cndmask_b32_e64 v25, v25, 4, s4
	s_delay_alu instid0(VALU_DEP_4) | instskip(SKIP_1) | instid1(VALU_DEP_3)
	v_cndmask_b32_e64 v27, v27, v4, s4
	s_mov_b32 s4, exec_lo
	v_cmp_gt_f32_e64 s0, v13, v26
	s_delay_alu instid0(VALU_DEP_1) | instskip(SKIP_2) | instid1(VALU_DEP_3)
	v_cndmask_b32_e64 v26, v26, v13, s0
	v_cndmask_b32_e64 v25, v25, 5, s0
	;; [unrolled: 1-line block ×3, first 2 shown]
	v_cmp_gt_f32_e64 s1, v14, v26
	s_delay_alu instid0(VALU_DEP_1) | instskip(NEXT) | instid1(VALU_DEP_4)
	v_cndmask_b32_e64 v26, v26, v14, s1
	v_cndmask_b32_e64 v25, v25, 6, s1
	s_waitcnt lgkmcnt(0)
	v_cndmask_b32_e64 v28, v27, v6, s1
	s_delay_alu instid0(VALU_DEP_3) | instskip(NEXT) | instid1(VALU_DEP_1)
	v_cmp_gt_f32_e64 s0, v15, v26
	v_cndmask_b32_e64 v25, v25, 7, s0
	v_cndmask_b32_e64 v27, v26, v15, s0
	s_delay_alu instid0(VALU_DEP_4) | instskip(NEXT) | instid1(VALU_DEP_3)
	v_cndmask_b32_e64 v26, v28, v7, s0
	v_or_b32_e32 v25, v18, v25
	ds_bpermute_b32 v28, v21, v27
	ds_bpermute_b32 v30, v21, v26
	;; [unrolled: 1-line block ×3, first 2 shown]
	s_waitcnt lgkmcnt(0)
	v_cmp_lt_f32_e64 s3, v27, v28
	v_cmpx_nlt_f32_e32 v27, v28
; %bb.11:                               ;   in Loop: Header=BB282_10 Depth=1
	v_cmp_eq_f32_e64 s0, v27, v28
	v_cmp_lt_i32_e64 s1, v29, v25
	s_delay_alu instid0(VALU_DEP_1) | instskip(SKIP_2) | instid1(SALU_CYCLE_1)
	s_and_b32 s0, s0, s1
	s_and_not1_b32 s1, s3, exec_lo
	s_and_b32 s0, s0, exec_lo
	s_or_b32 s3, s1, s0
; %bb.12:                               ;   in Loop: Header=BB282_10 Depth=1
	s_or_b32 exec_lo, exec_lo, s4
	s_and_saveexec_b32 s0, s3
; %bb.13:                               ;   in Loop: Header=BB282_10 Depth=1
	v_dual_mov_b32 v26, v30 :: v_dual_mov_b32 v27, v28
	v_mov_b32_e32 v25, v29
; %bb.14:                               ;   in Loop: Header=BB282_10 Depth=1
	s_or_b32 exec_lo, exec_lo, s0
	ds_bpermute_b32 v28, v22, v27
	ds_bpermute_b32 v30, v22, v26
	;; [unrolled: 1-line block ×3, first 2 shown]
	s_mov_b32 s4, exec_lo
	s_waitcnt lgkmcnt(2)
	v_cmp_lt_f32_e64 s3, v27, v28
	v_cmpx_nlt_f32_e32 v27, v28
	s_cbranch_execz .LBB282_16
; %bb.15:                               ;   in Loop: Header=BB282_10 Depth=1
	v_cmp_eq_f32_e64 s0, v27, v28
	s_waitcnt lgkmcnt(0)
	v_cmp_lt_i32_e64 s1, v29, v25
	s_delay_alu instid0(VALU_DEP_1) | instskip(SKIP_2) | instid1(SALU_CYCLE_1)
	s_and_b32 s0, s0, s1
	s_and_not1_b32 s1, s3, exec_lo
	s_and_b32 s0, s0, exec_lo
	s_or_b32 s3, s1, s0
.LBB282_16:                             ;   in Loop: Header=BB282_10 Depth=1
	s_or_b32 exec_lo, exec_lo, s4
	s_delay_alu instid0(VALU_DEP_2)
	s_and_saveexec_b32 s0, s3
	s_cbranch_execz .LBB282_18
; %bb.17:                               ;   in Loop: Header=BB282_10 Depth=1
	s_waitcnt lgkmcnt(1)
	v_dual_mov_b32 v26, v30 :: v_dual_mov_b32 v27, v28
	s_waitcnt lgkmcnt(0)
	v_mov_b32_e32 v25, v29
.LBB282_18:                             ;   in Loop: Header=BB282_10 Depth=1
	s_or_b32 exec_lo, exec_lo, s0
	s_waitcnt lgkmcnt(1)
	ds_bpermute_b32 v30, v23, v27
	ds_bpermute_b32 v28, v23, v26
	s_waitcnt lgkmcnt(2)
	ds_bpermute_b32 v29, v23, v25
	s_mov_b32 s4, exec_lo
	s_waitcnt lgkmcnt(2)
	v_cmp_lt_f32_e64 s3, v27, v30
	v_cmpx_nlt_f32_e32 v27, v30
	s_cbranch_execnz .LBB282_22
; %bb.19:                               ;   in Loop: Header=BB282_10 Depth=1
	s_or_b32 exec_lo, exec_lo, s4
	s_delay_alu instid0(VALU_DEP_2)
	s_and_saveexec_b32 s0, s3
	s_cbranch_execnz .LBB282_23
.LBB282_20:                             ;   in Loop: Header=BB282_10 Depth=1
	s_or_b32 exec_lo, exec_lo, s0
	s_and_saveexec_b32 s3, s2
	s_cbranch_execnz .LBB282_24
.LBB282_21:                             ;   in Loop: Header=BB282_10 Depth=1
	s_or_b32 exec_lo, exec_lo, s3
	s_add_i32 s6, s6, 1
	s_delay_alu instid0(SALU_CYCLE_1)
	s_cmp_ge_i32 s6, s8
	s_cbranch_scc1 .LBB282_9
	s_branch .LBB282_25
.LBB282_22:                             ;   in Loop: Header=BB282_10 Depth=1
	v_cmp_eq_f32_e64 s0, v27, v30
	s_waitcnt lgkmcnt(0)
	v_cmp_lt_i32_e64 s1, v29, v25
	s_delay_alu instid0(VALU_DEP_1) | instskip(SKIP_2) | instid1(SALU_CYCLE_1)
	s_and_b32 s0, s0, s1
	s_and_not1_b32 s1, s3, exec_lo
	s_and_b32 s0, s0, exec_lo
	s_or_b32 s3, s1, s0
	s_or_b32 exec_lo, exec_lo, s4
	s_and_saveexec_b32 s0, s3
	s_cbranch_execz .LBB282_20
.LBB282_23:                             ;   in Loop: Header=BB282_10 Depth=1
	s_waitcnt lgkmcnt(0)
	v_dual_mov_b32 v25, v29 :: v_dual_mov_b32 v26, v28
	s_or_b32 exec_lo, exec_lo, s0
	s_and_saveexec_b32 s3, s2
	s_cbranch_execz .LBB282_21
.LBB282_24:                             ;   in Loop: Header=BB282_10 Depth=1
	s_delay_alu instid0(VALU_DEP_1)
	v_dual_add_f32 v34, v19, v26 :: v_dual_add_nc_u32 v27, s6, v20
	v_cmp_le_i32_e64 s0, s9, v25
	v_cmp_gt_i32_e64 s1, s10, v25
	s_waitcnt lgkmcnt(0)
	v_subrev_nc_u32_e32 v29, s9, v25
	v_ashrrev_i32_e32 v28, 31, v27
	v_cndmask_b32_e32 v19, v19, v34, vcc_lo
	s_and_b32 s0, s0, s1
	s_delay_alu instid0(SALU_CYCLE_1) | instskip(NEXT) | instid1(VALU_DEP_2)
	s_and_b32 s0, s19, s0
	v_lshlrev_b64 v[27:28], 2, v[27:28]
	v_cndmask_b32_e64 v33, 64, v29, s0
	s_delay_alu instid0(VALU_DEP_2) | instskip(NEXT) | instid1(VALU_DEP_1)
	v_add_co_u32 v29, s0, s16, v27
	v_add_co_ci_u32_e64 v30, s0, s17, v28, s0
	v_add_co_u32 v31, s0, s12, v27
	s_delay_alu instid0(VALU_DEP_1) | instskip(SKIP_1) | instid1(VALU_DEP_1)
	v_add_co_ci_u32_e64 v32, s0, s13, v28, s0
	v_add_co_u32 v27, s0, s14, v27
	v_add_co_ci_u32_e64 v28, s0, s15, v28, s0
	global_store_b32 v[29:30], v26, off
	global_store_b32 v[31:32], v33, off
	;; [unrolled: 1-line block ×3, first 2 shown]
	s_or_b32 exec_lo, exec_lo, s3
	s_add_i32 s6, s6, 1
	s_delay_alu instid0(SALU_CYCLE_1)
	s_cmp_ge_i32 s6, s8
	s_cbranch_scc1 .LBB282_9
.LBB282_25:                             ;   in Loop: Header=BB282_10 Depth=1
	v_ashrrev_i32_e32 v27, 31, v25
	s_mov_b32 s1, exec_lo
	s_delay_alu instid0(VALU_DEP_1) | instskip(NEXT) | instid1(VALU_DEP_1)
	v_lshrrev_b32_e32 v26, 29, v27
	v_add_nc_u32_e32 v26, v25, v26
	s_delay_alu instid0(VALU_DEP_1) | instskip(SKIP_1) | instid1(VALU_DEP_1)
	v_ashrrev_i32_e32 v26, 3, v26
	s_waitcnt lgkmcnt(1)
	v_lshrrev_b32_e32 v28, 29, v26
	s_delay_alu instid0(VALU_DEP_1) | instskip(NEXT) | instid1(VALU_DEP_1)
	v_add_nc_u32_e32 v28, v26, v28
	v_and_b32_e32 v28, -8, v28
	s_delay_alu instid0(VALU_DEP_1) | instskip(NEXT) | instid1(VALU_DEP_1)
	v_sub_nc_u32_e32 v28, v26, v28
	v_cmpx_eq_u32_e64 v17, v28
	s_cbranch_execz .LBB282_8
; %bb.26:                               ;   in Loop: Header=BB282_10 Depth=1
	v_lshrrev_b32_e32 v27, 26, v27
	v_lshlrev_b32_e32 v26, 3, v26
	s_delay_alu instid0(VALU_DEP_2) | instskip(NEXT) | instid1(VALU_DEP_2)
	v_add_nc_u32_e32 v27, v25, v27
	v_sub_nc_u32_e32 v25, v25, v26
	s_delay_alu instid0(VALU_DEP_2) | instskip(NEXT) | instid1(VALU_DEP_1)
	v_ashrrev_i32_e32 v26, 6, v27
	v_lshl_add_u32 v25, v26, 3, v25
	s_delay_alu instid0(VALU_DEP_1) | instskip(NEXT) | instid1(VALU_DEP_1)
	v_cmp_ne_u32_e64 s0, 7, v25
	v_cndmask_b32_e64 v15, 0xc61c4000, v15, s0
	v_cmp_ne_u32_e64 s0, 6, v25
	s_delay_alu instid0(VALU_DEP_1) | instskip(SKIP_1) | instid1(VALU_DEP_1)
	v_cndmask_b32_e64 v14, 0xc61c4000, v14, s0
	v_cmp_ne_u32_e64 s0, 5, v25
	v_cndmask_b32_e64 v13, 0xc61c4000, v13, s0
	v_cmp_ne_u32_e64 s0, 4, v25
	s_delay_alu instid0(VALU_DEP_1) | instskip(SKIP_1) | instid1(VALU_DEP_1)
	v_cndmask_b32_e64 v12, 0xc61c4000, v12, s0
	v_cmp_ne_u32_e64 s0, 3, v25
	v_cndmask_b32_e64 v11, 0xc61c4000, v11, s0
	v_cmp_ne_u32_e64 s0, 2, v25
	s_delay_alu instid0(VALU_DEP_1) | instskip(SKIP_1) | instid1(VALU_DEP_1)
	v_cndmask_b32_e64 v10, 0xc61c4000, v10, s0
	v_cmp_ne_u32_e64 s0, 1, v25
	v_cndmask_b32_e64 v9, 0xc61c4000, v9, s0
	v_cmp_ne_u32_e64 s0, 0, v25
	s_delay_alu instid0(VALU_DEP_1)
	v_cndmask_b32_e64 v8, 0xc61c4000, v8, s0
	s_branch .LBB282_8
.LBB282_27:
                                        ; implicit-def: $vgpr8_vgpr9_vgpr10_vgpr11_vgpr12_vgpr13_vgpr14_vgpr15
	s_and_not1_b32 vcc_lo, exec_lo, s9
	s_cbranch_vccz .LBB282_5
	s_branch .LBB282_6
.LBB282_28:
	v_mov_b32_e32 v19, 0
.LBB282_29:
	v_cmp_eq_u32_e64 s0, 0, v17
	s_delay_alu instid0(VALU_DEP_1) | instskip(NEXT) | instid1(SALU_CYCLE_1)
	s_and_b32 s0, s0, vcc_lo
	s_and_b32 exec_lo, exec_lo, s0
	s_cbranch_execz .LBB282_33
; %bb.30:
	s_and_not1_b32 vcc_lo, exec_lo, s5
	s_cbranch_vccnz .LBB282_33
; %bb.31:
	v_mul_lo_u32 v0, v16, s8
	v_cmp_lt_f32_e32 vcc_lo, 0, v19
	v_cndmask_b32_e32 v2, 1.0, v19, vcc_lo
	s_delay_alu instid0(VALU_DEP_3) | instskip(NEXT) | instid1(VALU_DEP_1)
	v_ashrrev_i32_e32 v1, 31, v0
	v_lshlrev_b64 v[0:1], 2, v[0:1]
	s_delay_alu instid0(VALU_DEP_1) | instskip(NEXT) | instid1(VALU_DEP_2)
	v_add_co_u32 v0, vcc_lo, s16, v0
	v_add_co_ci_u32_e32 v1, vcc_lo, s17, v1, vcc_lo
	.p2align	6
.LBB282_32:                             ; =>This Inner Loop Header: Depth=1
	global_load_b32 v3, v[0:1], off
	s_add_i32 s8, s8, -1
	s_delay_alu instid0(SALU_CYCLE_1) | instskip(SKIP_3) | instid1(VALU_DEP_2)
	s_cmp_lg_u32 s8, 0
	s_waitcnt vmcnt(0)
	v_div_scale_f32 v4, null, v2, v2, v3
	v_div_scale_f32 v7, vcc_lo, v3, v2, v3
	v_rcp_f32_e32 v5, v4
	s_waitcnt_depctr 0xfff
	v_fma_f32 v6, -v4, v5, 1.0
	s_delay_alu instid0(VALU_DEP_1) | instskip(NEXT) | instid1(VALU_DEP_1)
	v_fmac_f32_e32 v5, v6, v5
	v_mul_f32_e32 v6, v7, v5
	s_delay_alu instid0(VALU_DEP_1) | instskip(NEXT) | instid1(VALU_DEP_1)
	v_fma_f32 v8, -v4, v6, v7
	v_fmac_f32_e32 v6, v8, v5
	s_delay_alu instid0(VALU_DEP_1) | instskip(NEXT) | instid1(VALU_DEP_1)
	v_fma_f32 v4, -v4, v6, v7
	v_div_fmas_f32 v4, v4, v5, v6
	s_delay_alu instid0(VALU_DEP_1)
	v_div_fixup_f32 v3, v4, v2, v3
	global_store_b32 v[0:1], v3, off
	v_add_co_u32 v0, vcc_lo, v0, 4
	v_add_co_ci_u32_e32 v1, vcc_lo, 0, v1, vcc_lo
	s_cbranch_scc1 .LBB282_32
.LBB282_33:
	s_nop 0
	s_sendmsg sendmsg(MSG_DEALLOC_VGPRS)
	s_endpgm
	.section	.rodata,"a",@progbits
	.p2align	6, 0x0
	.amdhsa_kernel _ZN4vllm3moe10topkGatingILi8ELi64ELi4ELi16ELi64Ej6__halfLNS0_11ScoringFuncE1EEEvPKT5_PKbPfiPT4_PiiiibPKf
		.amdhsa_group_segment_fixed_size 0
		.amdhsa_private_segment_fixed_size 0
		.amdhsa_kernarg_size 72
		.amdhsa_user_sgpr_count 15
		.amdhsa_user_sgpr_dispatch_ptr 0
		.amdhsa_user_sgpr_queue_ptr 0
		.amdhsa_user_sgpr_kernarg_segment_ptr 1
		.amdhsa_user_sgpr_dispatch_id 0
		.amdhsa_user_sgpr_private_segment_size 0
		.amdhsa_wavefront_size32 1
		.amdhsa_uses_dynamic_stack 0
		.amdhsa_enable_private_segment 0
		.amdhsa_system_sgpr_workgroup_id_x 1
		.amdhsa_system_sgpr_workgroup_id_y 0
		.amdhsa_system_sgpr_workgroup_id_z 0
		.amdhsa_system_sgpr_workgroup_info 0
		.amdhsa_system_vgpr_workitem_id 1
		.amdhsa_next_free_vgpr 47
		.amdhsa_next_free_sgpr 20
		.amdhsa_reserve_vcc 1
		.amdhsa_float_round_mode_32 0
		.amdhsa_float_round_mode_16_64 0
		.amdhsa_float_denorm_mode_32 3
		.amdhsa_float_denorm_mode_16_64 3
		.amdhsa_dx10_clamp 1
		.amdhsa_ieee_mode 1
		.amdhsa_fp16_overflow 0
		.amdhsa_workgroup_processor_mode 1
		.amdhsa_memory_ordered 1
		.amdhsa_forward_progress 0
		.amdhsa_shared_vgpr_count 0
		.amdhsa_exception_fp_ieee_invalid_op 0
		.amdhsa_exception_fp_denorm_src 0
		.amdhsa_exception_fp_ieee_div_zero 0
		.amdhsa_exception_fp_ieee_overflow 0
		.amdhsa_exception_fp_ieee_underflow 0
		.amdhsa_exception_fp_ieee_inexact 0
		.amdhsa_exception_int_div_zero 0
	.end_amdhsa_kernel
	.section	.text._ZN4vllm3moe10topkGatingILi8ELi64ELi4ELi16ELi64Ej6__halfLNS0_11ScoringFuncE1EEEvPKT5_PKbPfiPT4_PiiiibPKf,"axG",@progbits,_ZN4vllm3moe10topkGatingILi8ELi64ELi4ELi16ELi64Ej6__halfLNS0_11ScoringFuncE1EEEvPKT5_PKbPfiPT4_PiiiibPKf,comdat
.Lfunc_end282:
	.size	_ZN4vllm3moe10topkGatingILi8ELi64ELi4ELi16ELi64Ej6__halfLNS0_11ScoringFuncE1EEEvPKT5_PKbPfiPT4_PiiiibPKf, .Lfunc_end282-_ZN4vllm3moe10topkGatingILi8ELi64ELi4ELi16ELi64Ej6__halfLNS0_11ScoringFuncE1EEEvPKT5_PKbPfiPT4_PiiiibPKf
                                        ; -- End function
	.section	.AMDGPU.csdata,"",@progbits
; Kernel info:
; codeLenInByte = 2892
; NumSgprs: 22
; NumVgprs: 47
; ScratchSize: 0
; MemoryBound: 0
; FloatMode: 240
; IeeeMode: 1
; LDSByteSize: 0 bytes/workgroup (compile time only)
; SGPRBlocks: 2
; VGPRBlocks: 5
; NumSGPRsForWavesPerEU: 22
; NumVGPRsForWavesPerEU: 47
; Occupancy: 16
; WaveLimiterHint : 0
; COMPUTE_PGM_RSRC2:SCRATCH_EN: 0
; COMPUTE_PGM_RSRC2:USER_SGPR: 15
; COMPUTE_PGM_RSRC2:TRAP_HANDLER: 0
; COMPUTE_PGM_RSRC2:TGID_X_EN: 1
; COMPUTE_PGM_RSRC2:TGID_Y_EN: 0
; COMPUTE_PGM_RSRC2:TGID_Z_EN: 0
; COMPUTE_PGM_RSRC2:TIDIG_COMP_CNT: 1
	.section	.text._ZN4vllm3moe10topkGatingILi8ELi64ELi4ELi16ELi32Ej6__halfLNS0_11ScoringFuncE1EEEvPKT5_PKbPfiPT4_PiiiibPKf,"axG",@progbits,_ZN4vllm3moe10topkGatingILi8ELi64ELi4ELi16ELi32Ej6__halfLNS0_11ScoringFuncE1EEEvPKT5_PKbPfiPT4_PiiiibPKf,comdat
	.protected	_ZN4vllm3moe10topkGatingILi8ELi64ELi4ELi16ELi32Ej6__halfLNS0_11ScoringFuncE1EEEvPKT5_PKbPfiPT4_PiiiibPKf ; -- Begin function _ZN4vllm3moe10topkGatingILi8ELi64ELi4ELi16ELi32Ej6__halfLNS0_11ScoringFuncE1EEEvPKT5_PKbPfiPT4_PiiiibPKf
	.globl	_ZN4vllm3moe10topkGatingILi8ELi64ELi4ELi16ELi32Ej6__halfLNS0_11ScoringFuncE1EEEvPKT5_PKbPfiPT4_PiiiibPKf
	.p2align	8
	.type	_ZN4vllm3moe10topkGatingILi8ELi64ELi4ELi16ELi32Ej6__halfLNS0_11ScoringFuncE1EEEvPKT5_PKbPfiPT4_PiiiibPKf,@function
_ZN4vllm3moe10topkGatingILi8ELi64ELi4ELi16ELi32Ej6__halfLNS0_11ScoringFuncE1EEEvPKT5_PKbPfiPT4_PiiiibPKf: ; @_ZN4vllm3moe10topkGatingILi8ELi64ELi4ELi16ELi32Ej6__halfLNS0_11ScoringFuncE1EEEvPKT5_PKbPfiPT4_PiiiibPKf
; %bb.0:
	s_load_b32 s18, s[0:1], 0x18
	v_bfe_u32 v1, v0, 10, 10
	v_and_b32_e32 v0, 0x3ff, v0
	s_lshl_b32 s2, s15, 4
	s_delay_alu instid0(VALU_DEP_2) | instskip(NEXT) | instid1(VALU_DEP_2)
	v_lshlrev_b32_e32 v1, 2, v1
	v_lshrrev_b32_e32 v2, 3, v0
	s_delay_alu instid0(VALU_DEP_1) | instskip(SKIP_2) | instid1(VALU_DEP_1)
	v_add3_u32 v16, s2, v1, v2
	s_mov_b32 s2, exec_lo
	s_waitcnt lgkmcnt(0)
	v_cmpx_gt_i32_e64 s18, v16
	s_cbranch_execz .LBB283_33
; %bb.1:
	s_clause 0x1
	s_load_b128 s[4:7], s[0:1], 0x0
	s_load_b64 s[16:17], s[0:1], 0x10
	s_mov_b32 s9, -1
	s_mov_b32 s19, -1
	s_waitcnt lgkmcnt(0)
	s_cmp_eq_u64 s[6:7], 0
	s_cbranch_scc1 .LBB283_3
; %bb.2:
	v_ashrrev_i32_e32 v2, 31, v16
	v_add_co_u32 v1, vcc_lo, s6, v16
	s_delay_alu instid0(VALU_DEP_2) | instskip(SKIP_3) | instid1(VALU_DEP_1)
	v_add_co_ci_u32_e32 v2, vcc_lo, s7, v2, vcc_lo
	global_load_u8 v1, v[1:2], off
	s_waitcnt vmcnt(0)
	v_and_b32_e32 v1, 1, v1
	v_cmp_eq_u32_e32 vcc_lo, 1, v1
	s_xor_b32 s2, vcc_lo, -1
	s_delay_alu instid0(SALU_CYCLE_1)
	s_or_not1_b32 s19, s2, exec_lo
.LBB283_3:
	v_lshlrev_b32_e32 v1, 6, v16
	v_and_b32_e32 v17, 7, v0
	s_load_b64 s[10:11], s[0:1], 0x40
	s_delay_alu instid0(VALU_DEP_2) | instskip(NEXT) | instid1(VALU_DEP_1)
	v_ashrrev_i32_e32 v2, 31, v1
	v_lshlrev_b64 v[0:1], 1, v[1:2]
	s_delay_alu instid0(VALU_DEP_3) | instskip(NEXT) | instid1(VALU_DEP_2)
	v_lshlrev_b32_e32 v2, 4, v17
	v_add_co_u32 v0, vcc_lo, s4, v0
	s_delay_alu instid0(VALU_DEP_3) | instskip(NEXT) | instid1(VALU_DEP_2)
	v_add_co_ci_u32_e32 v1, vcc_lo, s5, v1, vcc_lo
	v_add_co_u32 v0, vcc_lo, v0, v2
	s_delay_alu instid0(VALU_DEP_2)
	v_add_co_ci_u32_e32 v1, vcc_lo, 0, v1, vcc_lo
	s_waitcnt lgkmcnt(0)
	s_cmp_eq_u64 s[10:11], 0
	global_load_b128 v[0:3], v[0:1], off
	s_waitcnt vmcnt(0)
	v_cvt_f32_f16_e32 v4, v0
	v_lshrrev_b32_e32 v0, 16, v0
	v_cvt_f32_f16_e32 v5, v1
	v_lshrrev_b32_e32 v1, 16, v1
	;; [unrolled: 2-line block ×4, first 2 shown]
	v_dual_mul_f32 v4, 0xbfb8aa3b, v4 :: v_dual_mul_f32 v5, 0xbfb8aa3b, v5
	v_cvt_f32_f16_e32 v0, v0
	v_cvt_f32_f16_e32 v1, v1
	;; [unrolled: 1-line block ×4, first 2 shown]
	v_dual_mul_f32 v6, 0xbfb8aa3b, v6 :: v_dual_mul_f32 v7, 0xbfb8aa3b, v7
	v_exp_f32_e32 v4, v4
	v_dual_mul_f32 v0, 0xbfb8aa3b, v0 :: v_dual_mul_f32 v1, 0xbfb8aa3b, v1
	v_exp_f32_e32 v5, v5
	s_delay_alu instid0(VALU_DEP_2)
	v_exp_f32_e32 v6, v6
	v_mul_f32_e32 v2, 0xbfb8aa3b, v2
	v_exp_f32_e32 v7, v7
	v_dual_mul_f32 v3, 0xbfb8aa3b, v3 :: v_dual_lshlrev_b32 v18, 3, v17
	v_exp_f32_e32 v0, v0
	v_exp_f32_e32 v1, v1
	;; [unrolled: 1-line block ×3, first 2 shown]
	s_delay_alu instid0(VALU_DEP_1) | instskip(SKIP_2) | instid1(VALU_DEP_2)
	v_exp_f32_e32 v3, v3
	v_dual_add_f32 v4, 1.0, v4 :: v_dual_add_f32 v5, 1.0, v5
	v_dual_add_f32 v6, 1.0, v6 :: v_dual_add_f32 v7, 1.0, v7
	v_div_scale_f32 v8, null, v4, v4, 1.0
	s_delay_alu instid0(TRANS32_DEP_3) | instskip(NEXT) | instid1(VALU_DEP_4)
	v_dual_add_f32 v0, 1.0, v0 :: v_dual_add_f32 v1, 1.0, v1
	v_div_scale_f32 v10, null, v5, v5, 1.0
	s_delay_alu instid0(VALU_DEP_4) | instskip(NEXT) | instid1(TRANS32_DEP_1)
	v_div_scale_f32 v12, null, v6, v6, 1.0
	v_dual_add_f32 v14, 1.0, v2 :: v_dual_add_f32 v19, 1.0, v3
	v_div_scale_f32 v2, null, v7, v7, 1.0
	v_rcp_f32_e32 v3, v8
	v_div_scale_f32 v20, null, v0, v0, 1.0
	v_rcp_f32_e32 v22, v10
	;; [unrolled: 2-line block ×3, first 2 shown]
	v_rcp_f32_e32 v28, v2
	v_div_scale_f32 v29, null, v19, v19, 1.0
	v_rcp_f32_e32 v30, v20
	v_div_scale_f32 v26, null, v14, v14, 1.0
	v_rcp_f32_e32 v32, v23
	v_fma_f32 v34, -v8, v3, 1.0
	v_rcp_f32_e32 v35, v29
	v_div_scale_f32 v9, vcc_lo, 1.0, v4, 1.0
	v_rcp_f32_e32 v33, v26
	v_fma_f32 v36, -v10, v22, 1.0
	v_fma_f32 v37, -v12, v25, 1.0
	;; [unrolled: 1-line block ×3, first 2 shown]
	v_fmac_f32_e32 v3, v34, v3
	v_fma_f32 v34, -v20, v30, 1.0
	v_fmac_f32_e32 v22, v36, v22
	v_div_scale_f32 v11, s2, 1.0, v5, 1.0
	v_fma_f32 v36, -v23, v32, 1.0
	v_dual_fmac_f32 v25, v37, v25 :: v_dual_fmac_f32 v28, v38, v28
	v_fma_f32 v38, -v29, v35, 1.0
	v_dual_mul_f32 v39, v9, v3 :: v_dual_fmac_f32 v30, v34, v30
	v_div_scale_f32 v21, s5, 1.0, v0, 1.0
	v_div_scale_f32 v24, s6, 1.0, v1, 1.0
	v_fma_f32 v37, -v26, v33, 1.0
	v_mul_f32_e32 v34, v11, v22
	v_dual_fmac_f32 v32, v36, v32 :: v_dual_fmac_f32 v35, v38, v35
	v_fma_f32 v38, -v8, v39, v9
	v_mul_f32_e32 v40, v21, v30
	v_div_scale_f32 v13, s3, 1.0, v6, 1.0
	v_div_scale_f32 v15, s4, 1.0, v7, 1.0
	s_delay_alu instid0(VALU_DEP_4)
	v_fmac_f32_e32 v39, v38, v3
	v_fmac_f32_e32 v33, v37, v33
	v_fma_f32 v41, -v10, v34, v11
	v_mul_f32_e32 v42, v24, v32
	v_fma_f32 v38, -v20, v40, v21
	v_div_scale_f32 v27, s7, 1.0, v14, 1.0
	v_dual_mul_f32 v36, v13, v25 :: v_dual_mul_f32 v37, v15, v28
	v_fmac_f32_e32 v34, v41, v22
	v_fma_f32 v41, -v23, v42, v24
	v_fma_f32 v8, -v8, v39, v9
	v_fmac_f32_e32 v40, v38, v30
	v_fma_f32 v43, -v12, v36, v13
	v_fma_f32 v45, -v2, v37, v15
	v_mul_f32_e32 v44, v27, v33
	v_fmac_f32_e32 v42, v41, v32
	v_div_fmas_f32 v3, v8, v3, v39
	v_fma_f32 v8, -v20, v40, v21
	v_fmac_f32_e32 v37, v45, v28
	v_fma_f32 v9, -v10, v34, v11
	v_fmac_f32_e32 v36, v43, v25
	v_fma_f32 v43, -v26, v44, v27
	s_mov_b32 vcc_lo, s5
	v_fma_f32 v11, -v23, v42, v24
	v_div_fixup_f32 v3, v3, v4, 1.0
	v_div_fmas_f32 v4, v8, v30, v40
	s_mov_b32 vcc_lo, s2
	v_fmac_f32_e32 v44, v43, v33
	v_div_fmas_f32 v8, v9, v22, v34
	s_mov_b32 vcc_lo, s6
	v_fma_f32 v10, -v12, v36, v13
	v_div_fmas_f32 v9, v11, v32, v42
	v_cmp_class_f32_e64 vcc_lo, v3, 0x1f8
	v_fma_f32 v12, -v26, v44, v27
	v_div_fixup_f32 v4, v4, v0, 1.0
	v_div_scale_f32 v31, s8, 1.0, v19, 1.0
	v_cndmask_b32_e32 v0, 0, v3, vcc_lo
	s_mov_b32 vcc_lo, s3
	v_fma_f32 v2, -v2, v37, v15
	v_div_fmas_f32 v3, v10, v25, v36
	s_mov_b32 vcc_lo, s7
	v_div_fixup_f32 v5, v8, v5, 1.0
	v_div_fmas_f32 v8, v12, v33, v44
	s_mov_b32 vcc_lo, s4
	v_div_fixup_f32 v9, v9, v1, 1.0
	v_div_fmas_f32 v10, v2, v28, v37
	v_cmp_class_f32_e64 vcc_lo, v4, 0x1f8
	v_mul_f32_e32 v46, v31, v35
	s_delay_alu instid0(VALU_DEP_3) | instskip(SKIP_1) | instid1(VALU_DEP_3)
	v_div_fixup_f32 v7, v10, v7, 1.0
	v_cndmask_b32_e32 v1, 0, v4, vcc_lo
	v_fma_f32 v45, -v29, v46, v31
	s_mov_b32 vcc_lo, s8
	v_div_fixup_f32 v4, v3, v6, 1.0
	s_delay_alu instid0(VALU_DEP_2) | instskip(NEXT) | instid1(VALU_DEP_1)
	v_fmac_f32_e32 v46, v45, v35
	v_fma_f32 v13, -v29, v46, v31
	s_delay_alu instid0(VALU_DEP_1)
	v_div_fmas_f32 v6, v13, v35, v46
	v_cmp_class_f32_e64 vcc_lo, v5, 0x1f8
	v_cndmask_b32_e32 v2, 0, v5, vcc_lo
	v_cmp_class_f32_e64 vcc_lo, v9, 0x1f8
	v_div_fixup_f32 v5, v8, v14, 1.0
	v_div_fixup_f32 v8, v6, v19, 1.0
	v_cndmask_b32_e32 v3, 0, v9, vcc_lo
	v_cmp_class_f32_e64 vcc_lo, v4, 0x1f8
	v_cndmask_b32_e32 v4, 0, v4, vcc_lo
	v_cmp_class_f32_e64 vcc_lo, v5, 0x1f8
	;; [unrolled: 2-line block ×4, first 2 shown]
	v_cndmask_b32_e32 v7, 0, v8, vcc_lo
	s_cbranch_scc1 .LBB283_27
; %bb.4:
	v_lshlrev_b32_e32 v12, 2, v18
	s_clause 0x1
	global_load_b128 v[8:11], v12, s[10:11]
	global_load_b128 v[12:15], v12, s[10:11] offset:16
	s_waitcnt vmcnt(1)
	v_dual_add_f32 v9, v9, v1 :: v_dual_add_f32 v8, v8, v0
	v_dual_add_f32 v11, v11, v3 :: v_dual_add_f32 v10, v10, v2
	s_waitcnt vmcnt(0)
	v_dual_add_f32 v13, v13, v5 :: v_dual_add_f32 v12, v12, v4
	v_dual_add_f32 v15, v15, v7 :: v_dual_add_f32 v14, v14, v6
	s_cbranch_execnz .LBB283_6
.LBB283_5:
	v_dual_mov_b32 v15, v7 :: v_dual_mov_b32 v14, v6
	v_dual_mov_b32 v13, v5 :: v_dual_mov_b32 v12, v4
	;; [unrolled: 1-line block ×4, first 2 shown]
.LBB283_6:
	s_load_b128 s[8:11], s[0:1], 0x30
	v_cmp_eq_u32_e64 s2, 0, v17
	s_mov_b32 s6, 0
	s_waitcnt lgkmcnt(0)
	s_bitcmp1_b32 s11, 0
	s_cselect_b32 vcc_lo, -1, 0
	s_cmp_gt_i32 s8, 0
	s_cselect_b32 s5, -1, 0
	s_cmp_lt_i32 s8, 1
	s_cbranch_scc1 .LBB283_28
; %bb.7:
	v_mbcnt_lo_u32_b32 v19, -1, 0
	s_load_b128 s[12:15], s[0:1], 0x20
	v_mov_b32_e32 v24, v16
	s_delay_alu instid0(VALU_DEP_2) | instskip(SKIP_3) | instid1(VALU_DEP_4)
	v_and_b32_e32 v20, 24, v19
	v_xor_b32_e32 v21, 4, v19
	v_xor_b32_e32 v22, 2, v19
	;; [unrolled: 1-line block ×3, first 2 shown]
	v_add_nc_u32_e32 v20, 8, v20
	s_delay_alu instid0(VALU_DEP_1) | instskip(NEXT) | instid1(VALU_DEP_1)
	v_cmp_lt_i32_e64 s0, v21, v20
	v_cndmask_b32_e64 v21, v19, v21, s0
	v_cmp_lt_i32_e64 s0, v22, v20
	s_delay_alu instid0(VALU_DEP_2) | instskip(NEXT) | instid1(VALU_DEP_2)
	v_lshlrev_b32_e32 v21, 2, v21
	v_cndmask_b32_e64 v22, v19, v22, s0
	v_cmp_lt_i32_e64 s0, v23, v20
	v_mul_lo_u32 v20, v16, s8
	s_delay_alu instid0(VALU_DEP_3) | instskip(NEXT) | instid1(VALU_DEP_3)
	v_lshlrev_b32_e32 v22, 2, v22
	v_cndmask_b32_e64 v23, v19, v23, s0
	v_mov_b32_e32 v19, 0
	s_delay_alu instid0(VALU_DEP_2)
	v_lshlrev_b32_e32 v23, 2, v23
	s_branch .LBB283_10
.LBB283_8:                              ;   in Loop: Header=BB283_10 Depth=1
	s_or_b32 exec_lo, exec_lo, s1
.LBB283_9:                              ;   in Loop: Header=BB283_10 Depth=1
	v_add_nc_u32_e32 v24, s18, v24
	s_cmp_eq_u32 s8, s6
	s_cbranch_scc1 .LBB283_29
.LBB283_10:                             ; =>This Inner Loop Header: Depth=1
	v_cmp_gt_f32_e64 s0, v9, v8
	s_delay_alu instid0(VALU_DEP_1) | instskip(SKIP_2) | instid1(VALU_DEP_3)
	v_cndmask_b32_e64 v26, v8, v9, s0
	v_cndmask_b32_e64 v25, 0, 1, s0
	v_cndmask_b32_e64 v27, v0, v1, s0
	v_cmp_gt_f32_e64 s1, v10, v26
	s_delay_alu instid0(VALU_DEP_1) | instskip(NEXT) | instid1(VALU_DEP_4)
	v_cndmask_b32_e64 v26, v26, v10, s1
	v_cndmask_b32_e64 v25, v25, 2, s1
	s_delay_alu instid0(VALU_DEP_4) | instskip(NEXT) | instid1(VALU_DEP_3)
	v_cndmask_b32_e64 v27, v27, v2, s1
	v_cmp_gt_f32_e64 s3, v11, v26
	s_delay_alu instid0(VALU_DEP_1) | instskip(NEXT) | instid1(VALU_DEP_4)
	v_cndmask_b32_e64 v26, v26, v11, s3
	v_cndmask_b32_e64 v25, v25, 3, s3
	s_delay_alu instid0(VALU_DEP_4) | instskip(NEXT) | instid1(VALU_DEP_3)
	v_cndmask_b32_e64 v27, v27, v3, s3
	v_cmp_gt_f32_e64 s4, v12, v26
	s_delay_alu instid0(VALU_DEP_1) | instskip(NEXT) | instid1(VALU_DEP_4)
	v_cndmask_b32_e64 v26, v26, v12, s4
	v_cndmask_b32_e64 v25, v25, 4, s4
	s_delay_alu instid0(VALU_DEP_4) | instskip(SKIP_1) | instid1(VALU_DEP_3)
	v_cndmask_b32_e64 v27, v27, v4, s4
	s_mov_b32 s4, exec_lo
	v_cmp_gt_f32_e64 s0, v13, v26
	s_delay_alu instid0(VALU_DEP_1) | instskip(SKIP_2) | instid1(VALU_DEP_3)
	v_cndmask_b32_e64 v26, v26, v13, s0
	v_cndmask_b32_e64 v25, v25, 5, s0
	v_cndmask_b32_e64 v27, v27, v5, s0
	v_cmp_gt_f32_e64 s1, v14, v26
	s_delay_alu instid0(VALU_DEP_1) | instskip(NEXT) | instid1(VALU_DEP_4)
	v_cndmask_b32_e64 v26, v26, v14, s1
	v_cndmask_b32_e64 v25, v25, 6, s1
	s_waitcnt lgkmcnt(0)
	v_cndmask_b32_e64 v28, v27, v6, s1
	s_delay_alu instid0(VALU_DEP_3) | instskip(NEXT) | instid1(VALU_DEP_1)
	v_cmp_gt_f32_e64 s0, v15, v26
	v_cndmask_b32_e64 v25, v25, 7, s0
	v_cndmask_b32_e64 v27, v26, v15, s0
	s_delay_alu instid0(VALU_DEP_4) | instskip(NEXT) | instid1(VALU_DEP_3)
	v_cndmask_b32_e64 v26, v28, v7, s0
	v_or_b32_e32 v25, v18, v25
	ds_bpermute_b32 v28, v21, v27
	ds_bpermute_b32 v30, v21, v26
	;; [unrolled: 1-line block ×3, first 2 shown]
	s_waitcnt lgkmcnt(0)
	v_cmp_lt_f32_e64 s3, v27, v28
	v_cmpx_nlt_f32_e32 v27, v28
; %bb.11:                               ;   in Loop: Header=BB283_10 Depth=1
	v_cmp_eq_f32_e64 s0, v27, v28
	v_cmp_lt_i32_e64 s1, v29, v25
	s_delay_alu instid0(VALU_DEP_1) | instskip(SKIP_2) | instid1(SALU_CYCLE_1)
	s_and_b32 s0, s0, s1
	s_and_not1_b32 s1, s3, exec_lo
	s_and_b32 s0, s0, exec_lo
	s_or_b32 s3, s1, s0
; %bb.12:                               ;   in Loop: Header=BB283_10 Depth=1
	s_or_b32 exec_lo, exec_lo, s4
	s_and_saveexec_b32 s0, s3
; %bb.13:                               ;   in Loop: Header=BB283_10 Depth=1
	v_dual_mov_b32 v26, v30 :: v_dual_mov_b32 v27, v28
	v_mov_b32_e32 v25, v29
; %bb.14:                               ;   in Loop: Header=BB283_10 Depth=1
	s_or_b32 exec_lo, exec_lo, s0
	ds_bpermute_b32 v28, v22, v27
	ds_bpermute_b32 v30, v22, v26
	;; [unrolled: 1-line block ×3, first 2 shown]
	s_mov_b32 s4, exec_lo
	s_waitcnt lgkmcnt(2)
	v_cmp_lt_f32_e64 s3, v27, v28
	v_cmpx_nlt_f32_e32 v27, v28
	s_cbranch_execz .LBB283_16
; %bb.15:                               ;   in Loop: Header=BB283_10 Depth=1
	v_cmp_eq_f32_e64 s0, v27, v28
	s_waitcnt lgkmcnt(0)
	v_cmp_lt_i32_e64 s1, v29, v25
	s_delay_alu instid0(VALU_DEP_1) | instskip(SKIP_2) | instid1(SALU_CYCLE_1)
	s_and_b32 s0, s0, s1
	s_and_not1_b32 s1, s3, exec_lo
	s_and_b32 s0, s0, exec_lo
	s_or_b32 s3, s1, s0
.LBB283_16:                             ;   in Loop: Header=BB283_10 Depth=1
	s_or_b32 exec_lo, exec_lo, s4
	s_delay_alu instid0(VALU_DEP_2)
	s_and_saveexec_b32 s0, s3
	s_cbranch_execz .LBB283_18
; %bb.17:                               ;   in Loop: Header=BB283_10 Depth=1
	s_waitcnt lgkmcnt(1)
	v_dual_mov_b32 v26, v30 :: v_dual_mov_b32 v27, v28
	s_waitcnt lgkmcnt(0)
	v_mov_b32_e32 v25, v29
.LBB283_18:                             ;   in Loop: Header=BB283_10 Depth=1
	s_or_b32 exec_lo, exec_lo, s0
	s_waitcnt lgkmcnt(1)
	ds_bpermute_b32 v30, v23, v27
	ds_bpermute_b32 v28, v23, v26
	s_waitcnt lgkmcnt(2)
	ds_bpermute_b32 v29, v23, v25
	s_mov_b32 s4, exec_lo
	s_waitcnt lgkmcnt(2)
	v_cmp_lt_f32_e64 s3, v27, v30
	v_cmpx_nlt_f32_e32 v27, v30
	s_cbranch_execnz .LBB283_22
; %bb.19:                               ;   in Loop: Header=BB283_10 Depth=1
	s_or_b32 exec_lo, exec_lo, s4
	s_delay_alu instid0(VALU_DEP_2)
	s_and_saveexec_b32 s0, s3
	s_cbranch_execnz .LBB283_23
.LBB283_20:                             ;   in Loop: Header=BB283_10 Depth=1
	s_or_b32 exec_lo, exec_lo, s0
	s_and_saveexec_b32 s3, s2
	s_cbranch_execnz .LBB283_24
.LBB283_21:                             ;   in Loop: Header=BB283_10 Depth=1
	s_or_b32 exec_lo, exec_lo, s3
	s_add_i32 s6, s6, 1
	s_delay_alu instid0(SALU_CYCLE_1)
	s_cmp_ge_i32 s6, s8
	s_cbranch_scc1 .LBB283_9
	s_branch .LBB283_25
.LBB283_22:                             ;   in Loop: Header=BB283_10 Depth=1
	v_cmp_eq_f32_e64 s0, v27, v30
	s_waitcnt lgkmcnt(0)
	v_cmp_lt_i32_e64 s1, v29, v25
	s_delay_alu instid0(VALU_DEP_1) | instskip(SKIP_2) | instid1(SALU_CYCLE_1)
	s_and_b32 s0, s0, s1
	s_and_not1_b32 s1, s3, exec_lo
	s_and_b32 s0, s0, exec_lo
	s_or_b32 s3, s1, s0
	s_or_b32 exec_lo, exec_lo, s4
	s_and_saveexec_b32 s0, s3
	s_cbranch_execz .LBB283_20
.LBB283_23:                             ;   in Loop: Header=BB283_10 Depth=1
	s_waitcnt lgkmcnt(0)
	v_dual_mov_b32 v25, v29 :: v_dual_mov_b32 v26, v28
	s_or_b32 exec_lo, exec_lo, s0
	s_and_saveexec_b32 s3, s2
	s_cbranch_execz .LBB283_21
.LBB283_24:                             ;   in Loop: Header=BB283_10 Depth=1
	s_delay_alu instid0(VALU_DEP_1)
	v_dual_add_f32 v34, v19, v26 :: v_dual_add_nc_u32 v27, s6, v20
	v_cmp_le_i32_e64 s0, s9, v25
	v_cmp_gt_i32_e64 s1, s10, v25
	s_waitcnt lgkmcnt(0)
	v_subrev_nc_u32_e32 v29, s9, v25
	v_ashrrev_i32_e32 v28, 31, v27
	v_cndmask_b32_e32 v19, v19, v34, vcc_lo
	s_and_b32 s0, s0, s1
	s_delay_alu instid0(SALU_CYCLE_1) | instskip(NEXT) | instid1(VALU_DEP_2)
	s_and_b32 s0, s19, s0
	v_lshlrev_b64 v[27:28], 2, v[27:28]
	v_cndmask_b32_e64 v33, 64, v29, s0
	s_delay_alu instid0(VALU_DEP_2) | instskip(NEXT) | instid1(VALU_DEP_1)
	v_add_co_u32 v29, s0, s16, v27
	v_add_co_ci_u32_e64 v30, s0, s17, v28, s0
	v_add_co_u32 v31, s0, s12, v27
	s_delay_alu instid0(VALU_DEP_1) | instskip(SKIP_1) | instid1(VALU_DEP_1)
	v_add_co_ci_u32_e64 v32, s0, s13, v28, s0
	v_add_co_u32 v27, s0, s14, v27
	v_add_co_ci_u32_e64 v28, s0, s15, v28, s0
	global_store_b32 v[29:30], v26, off
	global_store_b32 v[31:32], v33, off
	;; [unrolled: 1-line block ×3, first 2 shown]
	s_or_b32 exec_lo, exec_lo, s3
	s_add_i32 s6, s6, 1
	s_delay_alu instid0(SALU_CYCLE_1)
	s_cmp_ge_i32 s6, s8
	s_cbranch_scc1 .LBB283_9
.LBB283_25:                             ;   in Loop: Header=BB283_10 Depth=1
	v_ashrrev_i32_e32 v27, 31, v25
	s_mov_b32 s1, exec_lo
	s_delay_alu instid0(VALU_DEP_1) | instskip(NEXT) | instid1(VALU_DEP_1)
	v_lshrrev_b32_e32 v26, 29, v27
	v_add_nc_u32_e32 v26, v25, v26
	s_delay_alu instid0(VALU_DEP_1) | instskip(SKIP_1) | instid1(VALU_DEP_1)
	v_ashrrev_i32_e32 v26, 3, v26
	s_waitcnt lgkmcnt(1)
	v_lshrrev_b32_e32 v28, 29, v26
	s_delay_alu instid0(VALU_DEP_1) | instskip(NEXT) | instid1(VALU_DEP_1)
	v_add_nc_u32_e32 v28, v26, v28
	v_and_b32_e32 v28, -8, v28
	s_delay_alu instid0(VALU_DEP_1) | instskip(NEXT) | instid1(VALU_DEP_1)
	v_sub_nc_u32_e32 v28, v26, v28
	v_cmpx_eq_u32_e64 v17, v28
	s_cbranch_execz .LBB283_8
; %bb.26:                               ;   in Loop: Header=BB283_10 Depth=1
	v_lshrrev_b32_e32 v27, 26, v27
	v_lshlrev_b32_e32 v26, 3, v26
	s_delay_alu instid0(VALU_DEP_2) | instskip(NEXT) | instid1(VALU_DEP_2)
	v_add_nc_u32_e32 v27, v25, v27
	v_sub_nc_u32_e32 v25, v25, v26
	s_delay_alu instid0(VALU_DEP_2) | instskip(NEXT) | instid1(VALU_DEP_1)
	v_ashrrev_i32_e32 v26, 6, v27
	v_lshl_add_u32 v25, v26, 3, v25
	s_delay_alu instid0(VALU_DEP_1) | instskip(NEXT) | instid1(VALU_DEP_1)
	v_cmp_ne_u32_e64 s0, 7, v25
	v_cndmask_b32_e64 v15, 0xc61c4000, v15, s0
	v_cmp_ne_u32_e64 s0, 6, v25
	s_delay_alu instid0(VALU_DEP_1) | instskip(SKIP_1) | instid1(VALU_DEP_1)
	v_cndmask_b32_e64 v14, 0xc61c4000, v14, s0
	v_cmp_ne_u32_e64 s0, 5, v25
	v_cndmask_b32_e64 v13, 0xc61c4000, v13, s0
	v_cmp_ne_u32_e64 s0, 4, v25
	s_delay_alu instid0(VALU_DEP_1) | instskip(SKIP_1) | instid1(VALU_DEP_1)
	v_cndmask_b32_e64 v12, 0xc61c4000, v12, s0
	;; [unrolled: 5-line block ×3, first 2 shown]
	v_cmp_ne_u32_e64 s0, 1, v25
	v_cndmask_b32_e64 v9, 0xc61c4000, v9, s0
	v_cmp_ne_u32_e64 s0, 0, v25
	s_delay_alu instid0(VALU_DEP_1)
	v_cndmask_b32_e64 v8, 0xc61c4000, v8, s0
	s_branch .LBB283_8
.LBB283_27:
                                        ; implicit-def: $vgpr8_vgpr9_vgpr10_vgpr11_vgpr12_vgpr13_vgpr14_vgpr15
	s_and_not1_b32 vcc_lo, exec_lo, s9
	s_cbranch_vccz .LBB283_5
	s_branch .LBB283_6
.LBB283_28:
	v_mov_b32_e32 v19, 0
.LBB283_29:
	v_cmp_eq_u32_e64 s0, 0, v17
	s_delay_alu instid0(VALU_DEP_1) | instskip(NEXT) | instid1(SALU_CYCLE_1)
	s_and_b32 s0, s0, vcc_lo
	s_and_b32 exec_lo, exec_lo, s0
	s_cbranch_execz .LBB283_33
; %bb.30:
	s_and_not1_b32 vcc_lo, exec_lo, s5
	s_cbranch_vccnz .LBB283_33
; %bb.31:
	v_mul_lo_u32 v0, v16, s8
	v_cmp_lt_f32_e32 vcc_lo, 0, v19
	v_cndmask_b32_e32 v2, 1.0, v19, vcc_lo
	s_delay_alu instid0(VALU_DEP_3) | instskip(NEXT) | instid1(VALU_DEP_1)
	v_ashrrev_i32_e32 v1, 31, v0
	v_lshlrev_b64 v[0:1], 2, v[0:1]
	s_delay_alu instid0(VALU_DEP_1) | instskip(NEXT) | instid1(VALU_DEP_2)
	v_add_co_u32 v0, vcc_lo, s16, v0
	v_add_co_ci_u32_e32 v1, vcc_lo, s17, v1, vcc_lo
	.p2align	6
.LBB283_32:                             ; =>This Inner Loop Header: Depth=1
	global_load_b32 v3, v[0:1], off
	s_add_i32 s8, s8, -1
	s_delay_alu instid0(SALU_CYCLE_1) | instskip(SKIP_3) | instid1(VALU_DEP_2)
	s_cmp_lg_u32 s8, 0
	s_waitcnt vmcnt(0)
	v_div_scale_f32 v4, null, v2, v2, v3
	v_div_scale_f32 v7, vcc_lo, v3, v2, v3
	v_rcp_f32_e32 v5, v4
	s_waitcnt_depctr 0xfff
	v_fma_f32 v6, -v4, v5, 1.0
	s_delay_alu instid0(VALU_DEP_1) | instskip(NEXT) | instid1(VALU_DEP_1)
	v_fmac_f32_e32 v5, v6, v5
	v_mul_f32_e32 v6, v7, v5
	s_delay_alu instid0(VALU_DEP_1) | instskip(NEXT) | instid1(VALU_DEP_1)
	v_fma_f32 v8, -v4, v6, v7
	v_fmac_f32_e32 v6, v8, v5
	s_delay_alu instid0(VALU_DEP_1) | instskip(NEXT) | instid1(VALU_DEP_1)
	v_fma_f32 v4, -v4, v6, v7
	v_div_fmas_f32 v4, v4, v5, v6
	s_delay_alu instid0(VALU_DEP_1)
	v_div_fixup_f32 v3, v4, v2, v3
	global_store_b32 v[0:1], v3, off
	v_add_co_u32 v0, vcc_lo, v0, 4
	v_add_co_ci_u32_e32 v1, vcc_lo, 0, v1, vcc_lo
	s_cbranch_scc1 .LBB283_32
.LBB283_33:
	s_nop 0
	s_sendmsg sendmsg(MSG_DEALLOC_VGPRS)
	s_endpgm
	.section	.rodata,"a",@progbits
	.p2align	6, 0x0
	.amdhsa_kernel _ZN4vllm3moe10topkGatingILi8ELi64ELi4ELi16ELi32Ej6__halfLNS0_11ScoringFuncE1EEEvPKT5_PKbPfiPT4_PiiiibPKf
		.amdhsa_group_segment_fixed_size 0
		.amdhsa_private_segment_fixed_size 0
		.amdhsa_kernarg_size 72
		.amdhsa_user_sgpr_count 15
		.amdhsa_user_sgpr_dispatch_ptr 0
		.amdhsa_user_sgpr_queue_ptr 0
		.amdhsa_user_sgpr_kernarg_segment_ptr 1
		.amdhsa_user_sgpr_dispatch_id 0
		.amdhsa_user_sgpr_private_segment_size 0
		.amdhsa_wavefront_size32 1
		.amdhsa_uses_dynamic_stack 0
		.amdhsa_enable_private_segment 0
		.amdhsa_system_sgpr_workgroup_id_x 1
		.amdhsa_system_sgpr_workgroup_id_y 0
		.amdhsa_system_sgpr_workgroup_id_z 0
		.amdhsa_system_sgpr_workgroup_info 0
		.amdhsa_system_vgpr_workitem_id 1
		.amdhsa_next_free_vgpr 47
		.amdhsa_next_free_sgpr 20
		.amdhsa_reserve_vcc 1
		.amdhsa_float_round_mode_32 0
		.amdhsa_float_round_mode_16_64 0
		.amdhsa_float_denorm_mode_32 3
		.amdhsa_float_denorm_mode_16_64 3
		.amdhsa_dx10_clamp 1
		.amdhsa_ieee_mode 1
		.amdhsa_fp16_overflow 0
		.amdhsa_workgroup_processor_mode 1
		.amdhsa_memory_ordered 1
		.amdhsa_forward_progress 0
		.amdhsa_shared_vgpr_count 0
		.amdhsa_exception_fp_ieee_invalid_op 0
		.amdhsa_exception_fp_denorm_src 0
		.amdhsa_exception_fp_ieee_div_zero 0
		.amdhsa_exception_fp_ieee_overflow 0
		.amdhsa_exception_fp_ieee_underflow 0
		.amdhsa_exception_fp_ieee_inexact 0
		.amdhsa_exception_int_div_zero 0
	.end_amdhsa_kernel
	.section	.text._ZN4vllm3moe10topkGatingILi8ELi64ELi4ELi16ELi32Ej6__halfLNS0_11ScoringFuncE1EEEvPKT5_PKbPfiPT4_PiiiibPKf,"axG",@progbits,_ZN4vllm3moe10topkGatingILi8ELi64ELi4ELi16ELi32Ej6__halfLNS0_11ScoringFuncE1EEEvPKT5_PKbPfiPT4_PiiiibPKf,comdat
.Lfunc_end283:
	.size	_ZN4vllm3moe10topkGatingILi8ELi64ELi4ELi16ELi32Ej6__halfLNS0_11ScoringFuncE1EEEvPKT5_PKbPfiPT4_PiiiibPKf, .Lfunc_end283-_ZN4vllm3moe10topkGatingILi8ELi64ELi4ELi16ELi32Ej6__halfLNS0_11ScoringFuncE1EEEvPKT5_PKbPfiPT4_PiiiibPKf
                                        ; -- End function
	.section	.AMDGPU.csdata,"",@progbits
; Kernel info:
; codeLenInByte = 2892
; NumSgprs: 22
; NumVgprs: 47
; ScratchSize: 0
; MemoryBound: 0
; FloatMode: 240
; IeeeMode: 1
; LDSByteSize: 0 bytes/workgroup (compile time only)
; SGPRBlocks: 2
; VGPRBlocks: 5
; NumSGPRsForWavesPerEU: 22
; NumVGPRsForWavesPerEU: 47
; Occupancy: 16
; WaveLimiterHint : 0
; COMPUTE_PGM_RSRC2:SCRATCH_EN: 0
; COMPUTE_PGM_RSRC2:USER_SGPR: 15
; COMPUTE_PGM_RSRC2:TRAP_HANDLER: 0
; COMPUTE_PGM_RSRC2:TGID_X_EN: 1
; COMPUTE_PGM_RSRC2:TGID_Y_EN: 0
; COMPUTE_PGM_RSRC2:TGID_Z_EN: 0
; COMPUTE_PGM_RSRC2:TIDIG_COMP_CNT: 1
	.section	.text._ZN4vllm3moe10topkGatingILi8ELi128ELi4ELi16ELi64Ej6__halfLNS0_11ScoringFuncE1EEEvPKT5_PKbPfiPT4_PiiiibPKf,"axG",@progbits,_ZN4vllm3moe10topkGatingILi8ELi128ELi4ELi16ELi64Ej6__halfLNS0_11ScoringFuncE1EEEvPKT5_PKbPfiPT4_PiiiibPKf,comdat
	.protected	_ZN4vllm3moe10topkGatingILi8ELi128ELi4ELi16ELi64Ej6__halfLNS0_11ScoringFuncE1EEEvPKT5_PKbPfiPT4_PiiiibPKf ; -- Begin function _ZN4vllm3moe10topkGatingILi8ELi128ELi4ELi16ELi64Ej6__halfLNS0_11ScoringFuncE1EEEvPKT5_PKbPfiPT4_PiiiibPKf
	.globl	_ZN4vllm3moe10topkGatingILi8ELi128ELi4ELi16ELi64Ej6__halfLNS0_11ScoringFuncE1EEEvPKT5_PKbPfiPT4_PiiiibPKf
	.p2align	8
	.type	_ZN4vllm3moe10topkGatingILi8ELi128ELi4ELi16ELi64Ej6__halfLNS0_11ScoringFuncE1EEEvPKT5_PKbPfiPT4_PiiiibPKf,@function
_ZN4vllm3moe10topkGatingILi8ELi128ELi4ELi16ELi64Ej6__halfLNS0_11ScoringFuncE1EEEvPKT5_PKbPfiPT4_PiiiibPKf: ; @_ZN4vllm3moe10topkGatingILi8ELi128ELi4ELi16ELi64Ej6__halfLNS0_11ScoringFuncE1EEEvPKT5_PKbPfiPT4_PiiiibPKf
; %bb.0:
	s_load_b32 s18, s[0:1], 0x18
	v_bfe_u32 v1, v0, 10, 10
	v_and_b32_e32 v0, 0x3ff, v0
	s_lshl_b32 s2, s15, 4
	s_delay_alu instid0(VALU_DEP_2) | instskip(NEXT) | instid1(VALU_DEP_2)
	v_lshlrev_b32_e32 v1, 2, v1
	v_lshrrev_b32_e32 v2, 4, v0
	s_delay_alu instid0(VALU_DEP_1) | instskip(SKIP_2) | instid1(VALU_DEP_1)
	v_add3_u32 v16, s2, v1, v2
	s_mov_b32 s2, exec_lo
	s_waitcnt lgkmcnt(0)
	v_cmpx_gt_i32_e64 s18, v16
	s_cbranch_execz .LBB284_37
; %bb.1:
	s_clause 0x1
	s_load_b128 s[4:7], s[0:1], 0x0
	s_load_b64 s[16:17], s[0:1], 0x10
	s_mov_b32 s9, -1
	s_mov_b32 s19, -1
	s_waitcnt lgkmcnt(0)
	s_cmp_eq_u64 s[6:7], 0
	s_cbranch_scc1 .LBB284_3
; %bb.2:
	v_ashrrev_i32_e32 v2, 31, v16
	v_add_co_u32 v1, vcc_lo, s6, v16
	s_delay_alu instid0(VALU_DEP_2) | instskip(SKIP_3) | instid1(VALU_DEP_1)
	v_add_co_ci_u32_e32 v2, vcc_lo, s7, v2, vcc_lo
	global_load_u8 v1, v[1:2], off
	s_waitcnt vmcnt(0)
	v_and_b32_e32 v1, 1, v1
	v_cmp_eq_u32_e32 vcc_lo, 1, v1
	s_xor_b32 s2, vcc_lo, -1
	s_delay_alu instid0(SALU_CYCLE_1)
	s_or_not1_b32 s19, s2, exec_lo
.LBB284_3:
	v_lshlrev_b32_e32 v1, 7, v16
	v_and_b32_e32 v17, 15, v0
	s_load_b64 s[10:11], s[0:1], 0x40
	s_delay_alu instid0(VALU_DEP_2) | instskip(NEXT) | instid1(VALU_DEP_1)
	v_ashrrev_i32_e32 v2, 31, v1
	v_lshlrev_b64 v[0:1], 1, v[1:2]
	s_delay_alu instid0(VALU_DEP_3) | instskip(NEXT) | instid1(VALU_DEP_2)
	v_lshlrev_b32_e32 v2, 4, v17
	v_add_co_u32 v0, vcc_lo, s4, v0
	s_delay_alu instid0(VALU_DEP_3) | instskip(NEXT) | instid1(VALU_DEP_2)
	v_add_co_ci_u32_e32 v1, vcc_lo, s5, v1, vcc_lo
	v_add_co_u32 v0, vcc_lo, v0, v2
	s_delay_alu instid0(VALU_DEP_2)
	v_add_co_ci_u32_e32 v1, vcc_lo, 0, v1, vcc_lo
	s_waitcnt lgkmcnt(0)
	s_cmp_eq_u64 s[10:11], 0
	global_load_b128 v[0:3], v[0:1], off
	s_waitcnt vmcnt(0)
	v_cvt_f32_f16_e32 v4, v0
	v_lshrrev_b32_e32 v0, 16, v0
	v_cvt_f32_f16_e32 v5, v1
	v_lshrrev_b32_e32 v1, 16, v1
	;; [unrolled: 2-line block ×4, first 2 shown]
	v_dual_mul_f32 v4, 0xbfb8aa3b, v4 :: v_dual_mul_f32 v5, 0xbfb8aa3b, v5
	v_cvt_f32_f16_e32 v0, v0
	v_cvt_f32_f16_e32 v1, v1
	;; [unrolled: 1-line block ×4, first 2 shown]
	v_dual_mul_f32 v6, 0xbfb8aa3b, v6 :: v_dual_mul_f32 v7, 0xbfb8aa3b, v7
	v_exp_f32_e32 v4, v4
	v_dual_mul_f32 v0, 0xbfb8aa3b, v0 :: v_dual_mul_f32 v1, 0xbfb8aa3b, v1
	v_exp_f32_e32 v5, v5
	s_delay_alu instid0(VALU_DEP_2)
	v_exp_f32_e32 v6, v6
	v_mul_f32_e32 v2, 0xbfb8aa3b, v2
	v_exp_f32_e32 v7, v7
	v_dual_mul_f32 v3, 0xbfb8aa3b, v3 :: v_dual_lshlrev_b32 v18, 3, v17
	v_exp_f32_e32 v0, v0
	v_exp_f32_e32 v1, v1
	;; [unrolled: 1-line block ×3, first 2 shown]
	s_delay_alu instid0(VALU_DEP_1) | instskip(SKIP_2) | instid1(VALU_DEP_2)
	v_exp_f32_e32 v3, v3
	v_dual_add_f32 v4, 1.0, v4 :: v_dual_add_f32 v5, 1.0, v5
	v_dual_add_f32 v6, 1.0, v6 :: v_dual_add_f32 v7, 1.0, v7
	v_div_scale_f32 v8, null, v4, v4, 1.0
	s_delay_alu instid0(TRANS32_DEP_3) | instskip(NEXT) | instid1(VALU_DEP_4)
	v_dual_add_f32 v0, 1.0, v0 :: v_dual_add_f32 v1, 1.0, v1
	v_div_scale_f32 v10, null, v5, v5, 1.0
	s_delay_alu instid0(VALU_DEP_4) | instskip(NEXT) | instid1(TRANS32_DEP_1)
	v_div_scale_f32 v12, null, v6, v6, 1.0
	v_dual_add_f32 v14, 1.0, v2 :: v_dual_add_f32 v19, 1.0, v3
	v_div_scale_f32 v2, null, v7, v7, 1.0
	v_rcp_f32_e32 v3, v8
	v_div_scale_f32 v20, null, v0, v0, 1.0
	v_rcp_f32_e32 v22, v10
	;; [unrolled: 2-line block ×3, first 2 shown]
	v_rcp_f32_e32 v28, v2
	v_div_scale_f32 v29, null, v19, v19, 1.0
	v_rcp_f32_e32 v30, v20
	v_div_scale_f32 v26, null, v14, v14, 1.0
	v_rcp_f32_e32 v32, v23
	v_fma_f32 v34, -v8, v3, 1.0
	v_rcp_f32_e32 v35, v29
	v_div_scale_f32 v9, vcc_lo, 1.0, v4, 1.0
	v_rcp_f32_e32 v33, v26
	v_fma_f32 v36, -v10, v22, 1.0
	v_fma_f32 v37, -v12, v25, 1.0
	;; [unrolled: 1-line block ×3, first 2 shown]
	v_fmac_f32_e32 v3, v34, v3
	v_fma_f32 v34, -v20, v30, 1.0
	v_fmac_f32_e32 v22, v36, v22
	v_div_scale_f32 v11, s2, 1.0, v5, 1.0
	v_fma_f32 v36, -v23, v32, 1.0
	v_dual_fmac_f32 v25, v37, v25 :: v_dual_fmac_f32 v28, v38, v28
	v_fma_f32 v38, -v29, v35, 1.0
	v_dual_mul_f32 v39, v9, v3 :: v_dual_fmac_f32 v30, v34, v30
	v_div_scale_f32 v21, s5, 1.0, v0, 1.0
	v_div_scale_f32 v24, s6, 1.0, v1, 1.0
	v_fma_f32 v37, -v26, v33, 1.0
	v_mul_f32_e32 v34, v11, v22
	v_dual_fmac_f32 v32, v36, v32 :: v_dual_fmac_f32 v35, v38, v35
	v_fma_f32 v38, -v8, v39, v9
	v_mul_f32_e32 v40, v21, v30
	v_div_scale_f32 v13, s3, 1.0, v6, 1.0
	v_div_scale_f32 v15, s4, 1.0, v7, 1.0
	s_delay_alu instid0(VALU_DEP_4)
	v_fmac_f32_e32 v39, v38, v3
	v_fmac_f32_e32 v33, v37, v33
	v_fma_f32 v41, -v10, v34, v11
	v_mul_f32_e32 v42, v24, v32
	v_fma_f32 v38, -v20, v40, v21
	v_div_scale_f32 v27, s7, 1.0, v14, 1.0
	v_dual_mul_f32 v36, v13, v25 :: v_dual_mul_f32 v37, v15, v28
	v_fmac_f32_e32 v34, v41, v22
	v_fma_f32 v41, -v23, v42, v24
	v_fma_f32 v8, -v8, v39, v9
	v_fmac_f32_e32 v40, v38, v30
	v_fma_f32 v43, -v12, v36, v13
	v_fma_f32 v45, -v2, v37, v15
	v_mul_f32_e32 v44, v27, v33
	v_fmac_f32_e32 v42, v41, v32
	v_div_fmas_f32 v3, v8, v3, v39
	v_fma_f32 v8, -v20, v40, v21
	v_fmac_f32_e32 v37, v45, v28
	v_fma_f32 v9, -v10, v34, v11
	v_fmac_f32_e32 v36, v43, v25
	v_fma_f32 v43, -v26, v44, v27
	s_mov_b32 vcc_lo, s5
	v_fma_f32 v11, -v23, v42, v24
	v_div_fixup_f32 v3, v3, v4, 1.0
	v_div_fmas_f32 v4, v8, v30, v40
	s_mov_b32 vcc_lo, s2
	v_fmac_f32_e32 v44, v43, v33
	v_div_fmas_f32 v8, v9, v22, v34
	s_mov_b32 vcc_lo, s6
	v_fma_f32 v10, -v12, v36, v13
	v_div_fmas_f32 v9, v11, v32, v42
	v_cmp_class_f32_e64 vcc_lo, v3, 0x1f8
	v_fma_f32 v12, -v26, v44, v27
	v_div_fixup_f32 v4, v4, v0, 1.0
	v_div_scale_f32 v31, s8, 1.0, v19, 1.0
	v_cndmask_b32_e32 v0, 0, v3, vcc_lo
	s_mov_b32 vcc_lo, s3
	v_fma_f32 v2, -v2, v37, v15
	v_div_fmas_f32 v3, v10, v25, v36
	s_mov_b32 vcc_lo, s7
	v_div_fixup_f32 v5, v8, v5, 1.0
	v_div_fmas_f32 v8, v12, v33, v44
	s_mov_b32 vcc_lo, s4
	v_div_fixup_f32 v9, v9, v1, 1.0
	v_div_fmas_f32 v10, v2, v28, v37
	v_cmp_class_f32_e64 vcc_lo, v4, 0x1f8
	v_mul_f32_e32 v46, v31, v35
	s_delay_alu instid0(VALU_DEP_3) | instskip(SKIP_1) | instid1(VALU_DEP_3)
	v_div_fixup_f32 v7, v10, v7, 1.0
	v_cndmask_b32_e32 v1, 0, v4, vcc_lo
	v_fma_f32 v45, -v29, v46, v31
	s_mov_b32 vcc_lo, s8
	v_div_fixup_f32 v4, v3, v6, 1.0
	s_delay_alu instid0(VALU_DEP_2) | instskip(NEXT) | instid1(VALU_DEP_1)
	v_fmac_f32_e32 v46, v45, v35
	v_fma_f32 v13, -v29, v46, v31
	s_delay_alu instid0(VALU_DEP_1)
	v_div_fmas_f32 v6, v13, v35, v46
	v_cmp_class_f32_e64 vcc_lo, v5, 0x1f8
	v_cndmask_b32_e32 v2, 0, v5, vcc_lo
	v_cmp_class_f32_e64 vcc_lo, v9, 0x1f8
	v_div_fixup_f32 v5, v8, v14, 1.0
	v_div_fixup_f32 v8, v6, v19, 1.0
	v_cndmask_b32_e32 v3, 0, v9, vcc_lo
	v_cmp_class_f32_e64 vcc_lo, v4, 0x1f8
	v_cndmask_b32_e32 v4, 0, v4, vcc_lo
	v_cmp_class_f32_e64 vcc_lo, v5, 0x1f8
	;; [unrolled: 2-line block ×4, first 2 shown]
	v_cndmask_b32_e32 v7, 0, v8, vcc_lo
	s_cbranch_scc1 .LBB284_31
; %bb.4:
	v_lshlrev_b32_e32 v12, 2, v18
	s_clause 0x1
	global_load_b128 v[8:11], v12, s[10:11]
	global_load_b128 v[12:15], v12, s[10:11] offset:16
	s_waitcnt vmcnt(1)
	v_dual_add_f32 v9, v9, v1 :: v_dual_add_f32 v8, v8, v0
	v_dual_add_f32 v11, v11, v3 :: v_dual_add_f32 v10, v10, v2
	s_waitcnt vmcnt(0)
	v_dual_add_f32 v13, v13, v5 :: v_dual_add_f32 v12, v12, v4
	v_dual_add_f32 v15, v15, v7 :: v_dual_add_f32 v14, v14, v6
	s_cbranch_execnz .LBB284_6
.LBB284_5:
	v_dual_mov_b32 v15, v7 :: v_dual_mov_b32 v14, v6
	v_dual_mov_b32 v13, v5 :: v_dual_mov_b32 v12, v4
	;; [unrolled: 1-line block ×4, first 2 shown]
.LBB284_6:
	s_load_b128 s[8:11], s[0:1], 0x30
	v_cmp_eq_u32_e64 s2, 0, v17
	s_mov_b32 s6, 0
	s_waitcnt lgkmcnt(0)
	s_bitcmp1_b32 s11, 0
	s_cselect_b32 vcc_lo, -1, 0
	s_cmp_gt_i32 s8, 0
	s_cselect_b32 s5, -1, 0
	s_cmp_lt_i32 s8, 1
	s_cbranch_scc1 .LBB284_32
; %bb.7:
	v_mbcnt_lo_u32_b32 v19, -1, 0
	s_load_b128 s[12:15], s[0:1], 0x20
	s_delay_alu instid0(VALU_DEP_1)
	v_dual_mov_b32 v25, v16 :: v_dual_and_b32 v20, 16, v19
	v_xor_b32_e32 v21, 8, v19
	v_xor_b32_e32 v22, 4, v19
	;; [unrolled: 1-line block ×4, first 2 shown]
	v_add_nc_u32_e32 v20, 16, v20
	s_delay_alu instid0(VALU_DEP_1) | instskip(NEXT) | instid1(VALU_DEP_1)
	v_cmp_lt_i32_e64 s0, v21, v20
	v_cndmask_b32_e64 v21, v19, v21, s0
	v_cmp_lt_i32_e64 s0, v22, v20
	s_delay_alu instid0(VALU_DEP_2) | instskip(NEXT) | instid1(VALU_DEP_2)
	v_lshlrev_b32_e32 v21, 2, v21
	v_cndmask_b32_e64 v22, v19, v22, s0
	v_cmp_lt_i32_e64 s0, v23, v20
	s_delay_alu instid0(VALU_DEP_2) | instskip(NEXT) | instid1(VALU_DEP_2)
	v_lshlrev_b32_e32 v22, 2, v22
	v_cndmask_b32_e64 v23, v19, v23, s0
	v_cmp_lt_i32_e64 s0, v24, v20
	v_mul_lo_u32 v20, v16, s8
	s_delay_alu instid0(VALU_DEP_3) | instskip(NEXT) | instid1(VALU_DEP_3)
	v_lshlrev_b32_e32 v23, 2, v23
	v_cndmask_b32_e64 v19, v19, v24, s0
	s_delay_alu instid0(VALU_DEP_1)
	v_dual_mov_b32 v19, 0 :: v_dual_lshlrev_b32 v24, 2, v19
	s_branch .LBB284_10
.LBB284_8:                              ;   in Loop: Header=BB284_10 Depth=1
	s_or_b32 exec_lo, exec_lo, s1
.LBB284_9:                              ;   in Loop: Header=BB284_10 Depth=1
	v_add_nc_u32_e32 v25, s18, v25
	s_cmp_eq_u32 s8, s6
	s_cbranch_scc1 .LBB284_33
.LBB284_10:                             ; =>This Inner Loop Header: Depth=1
	v_cmp_gt_f32_e64 s0, v9, v8
	s_delay_alu instid0(VALU_DEP_1) | instskip(SKIP_2) | instid1(VALU_DEP_3)
	v_cndmask_b32_e64 v27, v8, v9, s0
	v_cndmask_b32_e64 v26, 0, 1, s0
	;; [unrolled: 1-line block ×3, first 2 shown]
	v_cmp_gt_f32_e64 s1, v10, v27
	s_delay_alu instid0(VALU_DEP_1) | instskip(NEXT) | instid1(VALU_DEP_4)
	v_cndmask_b32_e64 v27, v27, v10, s1
	v_cndmask_b32_e64 v26, v26, 2, s1
	s_delay_alu instid0(VALU_DEP_4) | instskip(NEXT) | instid1(VALU_DEP_3)
	v_cndmask_b32_e64 v28, v28, v2, s1
	v_cmp_gt_f32_e64 s3, v11, v27
	s_delay_alu instid0(VALU_DEP_1) | instskip(NEXT) | instid1(VALU_DEP_4)
	v_cndmask_b32_e64 v27, v27, v11, s3
	v_cndmask_b32_e64 v26, v26, 3, s3
	s_delay_alu instid0(VALU_DEP_4) | instskip(NEXT) | instid1(VALU_DEP_3)
	v_cndmask_b32_e64 v28, v28, v3, s3
	v_cmp_gt_f32_e64 s4, v12, v27
	s_delay_alu instid0(VALU_DEP_1) | instskip(NEXT) | instid1(VALU_DEP_4)
	v_cndmask_b32_e64 v27, v27, v12, s4
	v_cndmask_b32_e64 v26, v26, 4, s4
	s_delay_alu instid0(VALU_DEP_4) | instskip(SKIP_1) | instid1(VALU_DEP_3)
	v_cndmask_b32_e64 v28, v28, v4, s4
	s_mov_b32 s4, exec_lo
	v_cmp_gt_f32_e64 s0, v13, v27
	s_delay_alu instid0(VALU_DEP_1) | instskip(SKIP_2) | instid1(VALU_DEP_3)
	v_cndmask_b32_e64 v27, v27, v13, s0
	v_cndmask_b32_e64 v26, v26, 5, s0
	;; [unrolled: 1-line block ×3, first 2 shown]
	v_cmp_gt_f32_e64 s1, v14, v27
	s_delay_alu instid0(VALU_DEP_1) | instskip(NEXT) | instid1(VALU_DEP_4)
	v_cndmask_b32_e64 v27, v27, v14, s1
	v_cndmask_b32_e64 v26, v26, 6, s1
	s_waitcnt lgkmcnt(0)
	v_cndmask_b32_e64 v29, v28, v6, s1
	s_delay_alu instid0(VALU_DEP_3) | instskip(NEXT) | instid1(VALU_DEP_1)
	v_cmp_gt_f32_e64 s0, v15, v27
	v_cndmask_b32_e64 v26, v26, 7, s0
	v_cndmask_b32_e64 v28, v27, v15, s0
	s_delay_alu instid0(VALU_DEP_4) | instskip(NEXT) | instid1(VALU_DEP_3)
	v_cndmask_b32_e64 v27, v29, v7, s0
	v_or_b32_e32 v26, v18, v26
	ds_bpermute_b32 v29, v21, v28
	ds_bpermute_b32 v31, v21, v27
	;; [unrolled: 1-line block ×3, first 2 shown]
	s_waitcnt lgkmcnt(0)
	v_cmp_lt_f32_e64 s3, v28, v29
	v_cmpx_nlt_f32_e32 v28, v29
; %bb.11:                               ;   in Loop: Header=BB284_10 Depth=1
	v_cmp_eq_f32_e64 s0, v28, v29
	v_cmp_lt_i32_e64 s1, v30, v26
	s_delay_alu instid0(VALU_DEP_1) | instskip(SKIP_2) | instid1(SALU_CYCLE_1)
	s_and_b32 s0, s0, s1
	s_and_not1_b32 s1, s3, exec_lo
	s_and_b32 s0, s0, exec_lo
	s_or_b32 s3, s1, s0
; %bb.12:                               ;   in Loop: Header=BB284_10 Depth=1
	s_or_b32 exec_lo, exec_lo, s4
	s_and_saveexec_b32 s0, s3
; %bb.13:                               ;   in Loop: Header=BB284_10 Depth=1
	v_dual_mov_b32 v27, v31 :: v_dual_mov_b32 v28, v29
	v_mov_b32_e32 v26, v30
; %bb.14:                               ;   in Loop: Header=BB284_10 Depth=1
	s_or_b32 exec_lo, exec_lo, s0
	ds_bpermute_b32 v29, v22, v28
	ds_bpermute_b32 v31, v22, v27
	;; [unrolled: 1-line block ×3, first 2 shown]
	s_mov_b32 s4, exec_lo
	s_waitcnt lgkmcnt(2)
	v_cmp_lt_f32_e64 s3, v28, v29
	v_cmpx_nlt_f32_e32 v28, v29
	s_cbranch_execz .LBB284_16
; %bb.15:                               ;   in Loop: Header=BB284_10 Depth=1
	v_cmp_eq_f32_e64 s0, v28, v29
	s_waitcnt lgkmcnt(0)
	v_cmp_lt_i32_e64 s1, v30, v26
	s_delay_alu instid0(VALU_DEP_1) | instskip(SKIP_2) | instid1(SALU_CYCLE_1)
	s_and_b32 s0, s0, s1
	s_and_not1_b32 s1, s3, exec_lo
	s_and_b32 s0, s0, exec_lo
	s_or_b32 s3, s1, s0
.LBB284_16:                             ;   in Loop: Header=BB284_10 Depth=1
	s_or_b32 exec_lo, exec_lo, s4
	s_delay_alu instid0(VALU_DEP_2)
	s_and_saveexec_b32 s0, s3
	s_cbranch_execz .LBB284_18
; %bb.17:                               ;   in Loop: Header=BB284_10 Depth=1
	s_waitcnt lgkmcnt(1)
	v_dual_mov_b32 v27, v31 :: v_dual_mov_b32 v28, v29
	s_waitcnt lgkmcnt(0)
	v_mov_b32_e32 v26, v30
.LBB284_18:                             ;   in Loop: Header=BB284_10 Depth=1
	s_or_b32 exec_lo, exec_lo, s0
	ds_bpermute_b32 v29, v23, v28
	s_waitcnt lgkmcnt(2)
	ds_bpermute_b32 v31, v23, v27
	s_waitcnt lgkmcnt(2)
	ds_bpermute_b32 v30, v23, v26
	s_mov_b32 s4, exec_lo
	s_waitcnt lgkmcnt(2)
	v_cmp_lt_f32_e64 s3, v28, v29
	v_cmpx_nlt_f32_e32 v28, v29
	s_cbranch_execz .LBB284_20
; %bb.19:                               ;   in Loop: Header=BB284_10 Depth=1
	v_cmp_eq_f32_e64 s0, v28, v29
	s_waitcnt lgkmcnt(0)
	v_cmp_lt_i32_e64 s1, v30, v26
	s_delay_alu instid0(VALU_DEP_1) | instskip(SKIP_2) | instid1(SALU_CYCLE_1)
	s_and_b32 s0, s0, s1
	s_and_not1_b32 s1, s3, exec_lo
	s_and_b32 s0, s0, exec_lo
	s_or_b32 s3, s1, s0
.LBB284_20:                             ;   in Loop: Header=BB284_10 Depth=1
	s_or_b32 exec_lo, exec_lo, s4
	s_delay_alu instid0(VALU_DEP_2)
	s_and_saveexec_b32 s0, s3
	s_cbranch_execz .LBB284_22
; %bb.21:                               ;   in Loop: Header=BB284_10 Depth=1
	s_waitcnt lgkmcnt(1)
	v_dual_mov_b32 v27, v31 :: v_dual_mov_b32 v28, v29
	s_waitcnt lgkmcnt(0)
	v_mov_b32_e32 v26, v30
.LBB284_22:                             ;   in Loop: Header=BB284_10 Depth=1
	s_or_b32 exec_lo, exec_lo, s0
	s_waitcnt lgkmcnt(1)
	ds_bpermute_b32 v31, v24, v28
	ds_bpermute_b32 v29, v24, v27
	s_waitcnt lgkmcnt(2)
	ds_bpermute_b32 v30, v24, v26
	s_mov_b32 s4, exec_lo
	s_waitcnt lgkmcnt(2)
	v_cmp_lt_f32_e64 s3, v28, v31
	v_cmpx_nlt_f32_e32 v28, v31
	s_cbranch_execnz .LBB284_26
; %bb.23:                               ;   in Loop: Header=BB284_10 Depth=1
	s_or_b32 exec_lo, exec_lo, s4
	s_delay_alu instid0(VALU_DEP_2)
	s_and_saveexec_b32 s0, s3
	s_cbranch_execnz .LBB284_27
.LBB284_24:                             ;   in Loop: Header=BB284_10 Depth=1
	s_or_b32 exec_lo, exec_lo, s0
	s_and_saveexec_b32 s3, s2
	s_cbranch_execnz .LBB284_28
.LBB284_25:                             ;   in Loop: Header=BB284_10 Depth=1
	s_or_b32 exec_lo, exec_lo, s3
	s_add_i32 s6, s6, 1
	s_delay_alu instid0(SALU_CYCLE_1)
	s_cmp_ge_i32 s6, s8
	s_cbranch_scc1 .LBB284_9
	s_branch .LBB284_29
.LBB284_26:                             ;   in Loop: Header=BB284_10 Depth=1
	v_cmp_eq_f32_e64 s0, v28, v31
	s_waitcnt lgkmcnt(0)
	v_cmp_lt_i32_e64 s1, v30, v26
	s_delay_alu instid0(VALU_DEP_1) | instskip(SKIP_2) | instid1(SALU_CYCLE_1)
	s_and_b32 s0, s0, s1
	s_and_not1_b32 s1, s3, exec_lo
	s_and_b32 s0, s0, exec_lo
	s_or_b32 s3, s1, s0
	s_or_b32 exec_lo, exec_lo, s4
	s_and_saveexec_b32 s0, s3
	s_cbranch_execz .LBB284_24
.LBB284_27:                             ;   in Loop: Header=BB284_10 Depth=1
	s_waitcnt lgkmcnt(0)
	v_dual_mov_b32 v26, v30 :: v_dual_mov_b32 v27, v29
	s_or_b32 exec_lo, exec_lo, s0
	s_and_saveexec_b32 s3, s2
	s_cbranch_execz .LBB284_25
.LBB284_28:                             ;   in Loop: Header=BB284_10 Depth=1
	s_delay_alu instid0(VALU_DEP_1)
	v_dual_add_f32 v35, v19, v27 :: v_dual_add_nc_u32 v28, s6, v20
	v_cmp_le_i32_e64 s0, s9, v26
	v_cmp_gt_i32_e64 s1, s10, v26
	s_waitcnt lgkmcnt(0)
	v_subrev_nc_u32_e32 v30, s9, v26
	v_ashrrev_i32_e32 v29, 31, v28
	v_cndmask_b32_e32 v19, v19, v35, vcc_lo
	s_and_b32 s0, s0, s1
	s_delay_alu instid0(SALU_CYCLE_1) | instskip(NEXT) | instid1(VALU_DEP_2)
	s_and_b32 s0, s19, s0
	v_lshlrev_b64 v[28:29], 2, v[28:29]
	v_cndmask_b32_e64 v34, 0x80, v30, s0
	s_delay_alu instid0(VALU_DEP_2) | instskip(NEXT) | instid1(VALU_DEP_1)
	v_add_co_u32 v30, s0, s16, v28
	v_add_co_ci_u32_e64 v31, s0, s17, v29, s0
	v_add_co_u32 v32, s0, s12, v28
	s_delay_alu instid0(VALU_DEP_1) | instskip(SKIP_1) | instid1(VALU_DEP_1)
	v_add_co_ci_u32_e64 v33, s0, s13, v29, s0
	v_add_co_u32 v28, s0, s14, v28
	v_add_co_ci_u32_e64 v29, s0, s15, v29, s0
	global_store_b32 v[30:31], v27, off
	global_store_b32 v[32:33], v34, off
	;; [unrolled: 1-line block ×3, first 2 shown]
	s_or_b32 exec_lo, exec_lo, s3
	s_add_i32 s6, s6, 1
	s_delay_alu instid0(SALU_CYCLE_1)
	s_cmp_ge_i32 s6, s8
	s_cbranch_scc1 .LBB284_9
.LBB284_29:                             ;   in Loop: Header=BB284_10 Depth=1
	v_ashrrev_i32_e32 v28, 31, v26
	s_mov_b32 s1, exec_lo
	s_delay_alu instid0(VALU_DEP_1) | instskip(NEXT) | instid1(VALU_DEP_1)
	v_lshrrev_b32_e32 v27, 29, v28
	v_add_nc_u32_e32 v27, v26, v27
	s_delay_alu instid0(VALU_DEP_1) | instskip(SKIP_1) | instid1(VALU_DEP_1)
	v_ashrrev_i32_e32 v27, 3, v27
	s_waitcnt lgkmcnt(1)
	v_lshrrev_b32_e32 v29, 28, v27
	s_delay_alu instid0(VALU_DEP_1) | instskip(NEXT) | instid1(VALU_DEP_1)
	v_add_nc_u32_e32 v29, v27, v29
	v_and_b32_e32 v29, -16, v29
	s_delay_alu instid0(VALU_DEP_1) | instskip(NEXT) | instid1(VALU_DEP_1)
	v_sub_nc_u32_e32 v29, v27, v29
	v_cmpx_eq_u32_e64 v17, v29
	s_cbranch_execz .LBB284_8
; %bb.30:                               ;   in Loop: Header=BB284_10 Depth=1
	v_lshrrev_b32_e32 v28, 25, v28
	v_lshlrev_b32_e32 v27, 3, v27
	s_delay_alu instid0(VALU_DEP_2) | instskip(NEXT) | instid1(VALU_DEP_2)
	v_add_nc_u32_e32 v28, v26, v28
	v_sub_nc_u32_e32 v26, v26, v27
	s_delay_alu instid0(VALU_DEP_2) | instskip(NEXT) | instid1(VALU_DEP_1)
	v_ashrrev_i32_e32 v27, 7, v28
	v_lshl_add_u32 v26, v27, 3, v26
	s_delay_alu instid0(VALU_DEP_1) | instskip(NEXT) | instid1(VALU_DEP_1)
	v_cmp_ne_u32_e64 s0, 7, v26
	v_cndmask_b32_e64 v15, 0xc61c4000, v15, s0
	v_cmp_ne_u32_e64 s0, 6, v26
	s_delay_alu instid0(VALU_DEP_1) | instskip(SKIP_1) | instid1(VALU_DEP_1)
	v_cndmask_b32_e64 v14, 0xc61c4000, v14, s0
	v_cmp_ne_u32_e64 s0, 5, v26
	v_cndmask_b32_e64 v13, 0xc61c4000, v13, s0
	v_cmp_ne_u32_e64 s0, 4, v26
	s_delay_alu instid0(VALU_DEP_1) | instskip(SKIP_1) | instid1(VALU_DEP_1)
	v_cndmask_b32_e64 v12, 0xc61c4000, v12, s0
	;; [unrolled: 5-line block ×3, first 2 shown]
	v_cmp_ne_u32_e64 s0, 1, v26
	v_cndmask_b32_e64 v9, 0xc61c4000, v9, s0
	v_cmp_ne_u32_e64 s0, 0, v26
	s_delay_alu instid0(VALU_DEP_1)
	v_cndmask_b32_e64 v8, 0xc61c4000, v8, s0
	s_branch .LBB284_8
.LBB284_31:
                                        ; implicit-def: $vgpr8_vgpr9_vgpr10_vgpr11_vgpr12_vgpr13_vgpr14_vgpr15
	s_and_not1_b32 vcc_lo, exec_lo, s9
	s_cbranch_vccz .LBB284_5
	s_branch .LBB284_6
.LBB284_32:
	v_mov_b32_e32 v19, 0
.LBB284_33:
	v_cmp_eq_u32_e64 s0, 0, v17
	s_delay_alu instid0(VALU_DEP_1) | instskip(NEXT) | instid1(SALU_CYCLE_1)
	s_and_b32 s0, s0, vcc_lo
	s_and_b32 exec_lo, exec_lo, s0
	s_cbranch_execz .LBB284_37
; %bb.34:
	s_and_not1_b32 vcc_lo, exec_lo, s5
	s_cbranch_vccnz .LBB284_37
; %bb.35:
	v_mul_lo_u32 v0, v16, s8
	v_cmp_lt_f32_e32 vcc_lo, 0, v19
	v_cndmask_b32_e32 v2, 1.0, v19, vcc_lo
	s_delay_alu instid0(VALU_DEP_3) | instskip(NEXT) | instid1(VALU_DEP_1)
	v_ashrrev_i32_e32 v1, 31, v0
	v_lshlrev_b64 v[0:1], 2, v[0:1]
	s_delay_alu instid0(VALU_DEP_1) | instskip(NEXT) | instid1(VALU_DEP_2)
	v_add_co_u32 v0, vcc_lo, s16, v0
	v_add_co_ci_u32_e32 v1, vcc_lo, s17, v1, vcc_lo
	.p2align	6
.LBB284_36:                             ; =>This Inner Loop Header: Depth=1
	global_load_b32 v3, v[0:1], off
	s_add_i32 s8, s8, -1
	s_delay_alu instid0(SALU_CYCLE_1) | instskip(SKIP_3) | instid1(VALU_DEP_2)
	s_cmp_lg_u32 s8, 0
	s_waitcnt vmcnt(0)
	v_div_scale_f32 v4, null, v2, v2, v3
	v_div_scale_f32 v7, vcc_lo, v3, v2, v3
	v_rcp_f32_e32 v5, v4
	s_waitcnt_depctr 0xfff
	v_fma_f32 v6, -v4, v5, 1.0
	s_delay_alu instid0(VALU_DEP_1) | instskip(NEXT) | instid1(VALU_DEP_1)
	v_fmac_f32_e32 v5, v6, v5
	v_mul_f32_e32 v6, v7, v5
	s_delay_alu instid0(VALU_DEP_1) | instskip(NEXT) | instid1(VALU_DEP_1)
	v_fma_f32 v8, -v4, v6, v7
	v_fmac_f32_e32 v6, v8, v5
	s_delay_alu instid0(VALU_DEP_1) | instskip(NEXT) | instid1(VALU_DEP_1)
	v_fma_f32 v4, -v4, v6, v7
	v_div_fmas_f32 v4, v4, v5, v6
	s_delay_alu instid0(VALU_DEP_1)
	v_div_fixup_f32 v3, v4, v2, v3
	global_store_b32 v[0:1], v3, off
	v_add_co_u32 v0, vcc_lo, v0, 4
	v_add_co_ci_u32_e32 v1, vcc_lo, 0, v1, vcc_lo
	s_cbranch_scc1 .LBB284_36
.LBB284_37:
	s_nop 0
	s_sendmsg sendmsg(MSG_DEALLOC_VGPRS)
	s_endpgm
	.section	.rodata,"a",@progbits
	.p2align	6, 0x0
	.amdhsa_kernel _ZN4vllm3moe10topkGatingILi8ELi128ELi4ELi16ELi64Ej6__halfLNS0_11ScoringFuncE1EEEvPKT5_PKbPfiPT4_PiiiibPKf
		.amdhsa_group_segment_fixed_size 0
		.amdhsa_private_segment_fixed_size 0
		.amdhsa_kernarg_size 72
		.amdhsa_user_sgpr_count 15
		.amdhsa_user_sgpr_dispatch_ptr 0
		.amdhsa_user_sgpr_queue_ptr 0
		.amdhsa_user_sgpr_kernarg_segment_ptr 1
		.amdhsa_user_sgpr_dispatch_id 0
		.amdhsa_user_sgpr_private_segment_size 0
		.amdhsa_wavefront_size32 1
		.amdhsa_uses_dynamic_stack 0
		.amdhsa_enable_private_segment 0
		.amdhsa_system_sgpr_workgroup_id_x 1
		.amdhsa_system_sgpr_workgroup_id_y 0
		.amdhsa_system_sgpr_workgroup_id_z 0
		.amdhsa_system_sgpr_workgroup_info 0
		.amdhsa_system_vgpr_workitem_id 1
		.amdhsa_next_free_vgpr 47
		.amdhsa_next_free_sgpr 20
		.amdhsa_reserve_vcc 1
		.amdhsa_float_round_mode_32 0
		.amdhsa_float_round_mode_16_64 0
		.amdhsa_float_denorm_mode_32 3
		.amdhsa_float_denorm_mode_16_64 3
		.amdhsa_dx10_clamp 1
		.amdhsa_ieee_mode 1
		.amdhsa_fp16_overflow 0
		.amdhsa_workgroup_processor_mode 1
		.amdhsa_memory_ordered 1
		.amdhsa_forward_progress 0
		.amdhsa_shared_vgpr_count 0
		.amdhsa_exception_fp_ieee_invalid_op 0
		.amdhsa_exception_fp_denorm_src 0
		.amdhsa_exception_fp_ieee_div_zero 0
		.amdhsa_exception_fp_ieee_overflow 0
		.amdhsa_exception_fp_ieee_underflow 0
		.amdhsa_exception_fp_ieee_inexact 0
		.amdhsa_exception_int_div_zero 0
	.end_amdhsa_kernel
	.section	.text._ZN4vllm3moe10topkGatingILi8ELi128ELi4ELi16ELi64Ej6__halfLNS0_11ScoringFuncE1EEEvPKT5_PKbPfiPT4_PiiiibPKf,"axG",@progbits,_ZN4vllm3moe10topkGatingILi8ELi128ELi4ELi16ELi64Ej6__halfLNS0_11ScoringFuncE1EEEvPKT5_PKbPfiPT4_PiiiibPKf,comdat
.Lfunc_end284:
	.size	_ZN4vllm3moe10topkGatingILi8ELi128ELi4ELi16ELi64Ej6__halfLNS0_11ScoringFuncE1EEEvPKT5_PKbPfiPT4_PiiiibPKf, .Lfunc_end284-_ZN4vllm3moe10topkGatingILi8ELi128ELi4ELi16ELi64Ej6__halfLNS0_11ScoringFuncE1EEEvPKT5_PKbPfiPT4_PiiiibPKf
                                        ; -- End function
	.section	.AMDGPU.csdata,"",@progbits
; Kernel info:
; codeLenInByte = 3060
; NumSgprs: 22
; NumVgprs: 47
; ScratchSize: 0
; MemoryBound: 0
; FloatMode: 240
; IeeeMode: 1
; LDSByteSize: 0 bytes/workgroup (compile time only)
; SGPRBlocks: 2
; VGPRBlocks: 5
; NumSGPRsForWavesPerEU: 22
; NumVGPRsForWavesPerEU: 47
; Occupancy: 16
; WaveLimiterHint : 0
; COMPUTE_PGM_RSRC2:SCRATCH_EN: 0
; COMPUTE_PGM_RSRC2:USER_SGPR: 15
; COMPUTE_PGM_RSRC2:TRAP_HANDLER: 0
; COMPUTE_PGM_RSRC2:TGID_X_EN: 1
; COMPUTE_PGM_RSRC2:TGID_Y_EN: 0
; COMPUTE_PGM_RSRC2:TGID_Z_EN: 0
; COMPUTE_PGM_RSRC2:TIDIG_COMP_CNT: 1
	.section	.text._ZN4vllm3moe10topkGatingILi8ELi128ELi4ELi16ELi32Ej6__halfLNS0_11ScoringFuncE1EEEvPKT5_PKbPfiPT4_PiiiibPKf,"axG",@progbits,_ZN4vllm3moe10topkGatingILi8ELi128ELi4ELi16ELi32Ej6__halfLNS0_11ScoringFuncE1EEEvPKT5_PKbPfiPT4_PiiiibPKf,comdat
	.protected	_ZN4vllm3moe10topkGatingILi8ELi128ELi4ELi16ELi32Ej6__halfLNS0_11ScoringFuncE1EEEvPKT5_PKbPfiPT4_PiiiibPKf ; -- Begin function _ZN4vllm3moe10topkGatingILi8ELi128ELi4ELi16ELi32Ej6__halfLNS0_11ScoringFuncE1EEEvPKT5_PKbPfiPT4_PiiiibPKf
	.globl	_ZN4vllm3moe10topkGatingILi8ELi128ELi4ELi16ELi32Ej6__halfLNS0_11ScoringFuncE1EEEvPKT5_PKbPfiPT4_PiiiibPKf
	.p2align	8
	.type	_ZN4vllm3moe10topkGatingILi8ELi128ELi4ELi16ELi32Ej6__halfLNS0_11ScoringFuncE1EEEvPKT5_PKbPfiPT4_PiiiibPKf,@function
_ZN4vllm3moe10topkGatingILi8ELi128ELi4ELi16ELi32Ej6__halfLNS0_11ScoringFuncE1EEEvPKT5_PKbPfiPT4_PiiiibPKf: ; @_ZN4vllm3moe10topkGatingILi8ELi128ELi4ELi16ELi32Ej6__halfLNS0_11ScoringFuncE1EEEvPKT5_PKbPfiPT4_PiiiibPKf
; %bb.0:
	s_load_b32 s18, s[0:1], 0x18
	v_bfe_u32 v1, v0, 10, 10
	v_and_b32_e32 v0, 0x3ff, v0
	s_lshl_b32 s2, s15, 3
	s_delay_alu instid0(VALU_DEP_2) | instskip(NEXT) | instid1(VALU_DEP_2)
	v_lshlrev_b32_e32 v1, 1, v1
	v_lshrrev_b32_e32 v2, 4, v0
	s_delay_alu instid0(VALU_DEP_1) | instskip(SKIP_2) | instid1(VALU_DEP_1)
	v_add3_u32 v16, s2, v1, v2
	s_mov_b32 s2, exec_lo
	s_waitcnt lgkmcnt(0)
	v_cmpx_gt_i32_e64 s18, v16
	s_cbranch_execz .LBB285_37
; %bb.1:
	s_clause 0x1
	s_load_b128 s[4:7], s[0:1], 0x0
	s_load_b64 s[16:17], s[0:1], 0x10
	s_mov_b32 s9, -1
	s_mov_b32 s19, -1
	s_waitcnt lgkmcnt(0)
	s_cmp_eq_u64 s[6:7], 0
	s_cbranch_scc1 .LBB285_3
; %bb.2:
	v_ashrrev_i32_e32 v2, 31, v16
	v_add_co_u32 v1, vcc_lo, s6, v16
	s_delay_alu instid0(VALU_DEP_2) | instskip(SKIP_3) | instid1(VALU_DEP_1)
	v_add_co_ci_u32_e32 v2, vcc_lo, s7, v2, vcc_lo
	global_load_u8 v1, v[1:2], off
	s_waitcnt vmcnt(0)
	v_and_b32_e32 v1, 1, v1
	v_cmp_eq_u32_e32 vcc_lo, 1, v1
	s_xor_b32 s2, vcc_lo, -1
	s_delay_alu instid0(SALU_CYCLE_1)
	s_or_not1_b32 s19, s2, exec_lo
.LBB285_3:
	v_lshlrev_b32_e32 v1, 7, v16
	v_and_b32_e32 v17, 15, v0
	s_load_b64 s[10:11], s[0:1], 0x40
	s_delay_alu instid0(VALU_DEP_2) | instskip(NEXT) | instid1(VALU_DEP_1)
	v_ashrrev_i32_e32 v2, 31, v1
	v_lshlrev_b64 v[0:1], 1, v[1:2]
	s_delay_alu instid0(VALU_DEP_3) | instskip(NEXT) | instid1(VALU_DEP_2)
	v_lshlrev_b32_e32 v2, 4, v17
	v_add_co_u32 v0, vcc_lo, s4, v0
	s_delay_alu instid0(VALU_DEP_3) | instskip(NEXT) | instid1(VALU_DEP_2)
	v_add_co_ci_u32_e32 v1, vcc_lo, s5, v1, vcc_lo
	v_add_co_u32 v0, vcc_lo, v0, v2
	s_delay_alu instid0(VALU_DEP_2)
	v_add_co_ci_u32_e32 v1, vcc_lo, 0, v1, vcc_lo
	s_waitcnt lgkmcnt(0)
	s_cmp_eq_u64 s[10:11], 0
	global_load_b128 v[0:3], v[0:1], off
	s_waitcnt vmcnt(0)
	v_cvt_f32_f16_e32 v4, v0
	v_lshrrev_b32_e32 v0, 16, v0
	v_cvt_f32_f16_e32 v5, v1
	v_lshrrev_b32_e32 v1, 16, v1
	;; [unrolled: 2-line block ×4, first 2 shown]
	v_dual_mul_f32 v4, 0xbfb8aa3b, v4 :: v_dual_mul_f32 v5, 0xbfb8aa3b, v5
	v_cvt_f32_f16_e32 v0, v0
	v_cvt_f32_f16_e32 v1, v1
	;; [unrolled: 1-line block ×4, first 2 shown]
	v_dual_mul_f32 v6, 0xbfb8aa3b, v6 :: v_dual_mul_f32 v7, 0xbfb8aa3b, v7
	v_exp_f32_e32 v4, v4
	v_dual_mul_f32 v0, 0xbfb8aa3b, v0 :: v_dual_mul_f32 v1, 0xbfb8aa3b, v1
	v_exp_f32_e32 v5, v5
	s_delay_alu instid0(VALU_DEP_2)
	v_exp_f32_e32 v6, v6
	v_mul_f32_e32 v2, 0xbfb8aa3b, v2
	v_exp_f32_e32 v7, v7
	v_dual_mul_f32 v3, 0xbfb8aa3b, v3 :: v_dual_lshlrev_b32 v18, 3, v17
	v_exp_f32_e32 v0, v0
	v_exp_f32_e32 v1, v1
	;; [unrolled: 1-line block ×3, first 2 shown]
	s_delay_alu instid0(VALU_DEP_1) | instskip(SKIP_2) | instid1(VALU_DEP_2)
	v_exp_f32_e32 v3, v3
	v_dual_add_f32 v4, 1.0, v4 :: v_dual_add_f32 v5, 1.0, v5
	v_dual_add_f32 v6, 1.0, v6 :: v_dual_add_f32 v7, 1.0, v7
	v_div_scale_f32 v8, null, v4, v4, 1.0
	s_delay_alu instid0(TRANS32_DEP_3) | instskip(NEXT) | instid1(VALU_DEP_4)
	v_dual_add_f32 v0, 1.0, v0 :: v_dual_add_f32 v1, 1.0, v1
	v_div_scale_f32 v10, null, v5, v5, 1.0
	s_delay_alu instid0(VALU_DEP_4) | instskip(NEXT) | instid1(TRANS32_DEP_1)
	v_div_scale_f32 v12, null, v6, v6, 1.0
	v_dual_add_f32 v14, 1.0, v2 :: v_dual_add_f32 v19, 1.0, v3
	v_div_scale_f32 v2, null, v7, v7, 1.0
	v_rcp_f32_e32 v3, v8
	v_div_scale_f32 v20, null, v0, v0, 1.0
	v_rcp_f32_e32 v22, v10
	;; [unrolled: 2-line block ×3, first 2 shown]
	v_rcp_f32_e32 v28, v2
	v_div_scale_f32 v29, null, v19, v19, 1.0
	v_rcp_f32_e32 v30, v20
	v_div_scale_f32 v26, null, v14, v14, 1.0
	v_rcp_f32_e32 v32, v23
	v_fma_f32 v34, -v8, v3, 1.0
	v_rcp_f32_e32 v35, v29
	v_div_scale_f32 v9, vcc_lo, 1.0, v4, 1.0
	v_rcp_f32_e32 v33, v26
	v_fma_f32 v36, -v10, v22, 1.0
	v_fma_f32 v37, -v12, v25, 1.0
	;; [unrolled: 1-line block ×3, first 2 shown]
	v_fmac_f32_e32 v3, v34, v3
	v_fma_f32 v34, -v20, v30, 1.0
	v_fmac_f32_e32 v22, v36, v22
	v_div_scale_f32 v11, s2, 1.0, v5, 1.0
	v_fma_f32 v36, -v23, v32, 1.0
	v_dual_fmac_f32 v25, v37, v25 :: v_dual_fmac_f32 v28, v38, v28
	v_fma_f32 v38, -v29, v35, 1.0
	v_dual_mul_f32 v39, v9, v3 :: v_dual_fmac_f32 v30, v34, v30
	v_div_scale_f32 v21, s5, 1.0, v0, 1.0
	v_div_scale_f32 v24, s6, 1.0, v1, 1.0
	v_fma_f32 v37, -v26, v33, 1.0
	v_mul_f32_e32 v34, v11, v22
	v_dual_fmac_f32 v32, v36, v32 :: v_dual_fmac_f32 v35, v38, v35
	v_fma_f32 v38, -v8, v39, v9
	v_mul_f32_e32 v40, v21, v30
	v_div_scale_f32 v13, s3, 1.0, v6, 1.0
	v_div_scale_f32 v15, s4, 1.0, v7, 1.0
	s_delay_alu instid0(VALU_DEP_4)
	v_fmac_f32_e32 v39, v38, v3
	v_fmac_f32_e32 v33, v37, v33
	v_fma_f32 v41, -v10, v34, v11
	v_mul_f32_e32 v42, v24, v32
	v_fma_f32 v38, -v20, v40, v21
	v_div_scale_f32 v27, s7, 1.0, v14, 1.0
	v_dual_mul_f32 v36, v13, v25 :: v_dual_mul_f32 v37, v15, v28
	v_fmac_f32_e32 v34, v41, v22
	v_fma_f32 v41, -v23, v42, v24
	v_fma_f32 v8, -v8, v39, v9
	v_fmac_f32_e32 v40, v38, v30
	v_fma_f32 v43, -v12, v36, v13
	v_fma_f32 v45, -v2, v37, v15
	v_mul_f32_e32 v44, v27, v33
	v_fmac_f32_e32 v42, v41, v32
	v_div_fmas_f32 v3, v8, v3, v39
	v_fma_f32 v8, -v20, v40, v21
	v_fmac_f32_e32 v37, v45, v28
	v_fma_f32 v9, -v10, v34, v11
	v_fmac_f32_e32 v36, v43, v25
	v_fma_f32 v43, -v26, v44, v27
	s_mov_b32 vcc_lo, s5
	v_fma_f32 v11, -v23, v42, v24
	v_div_fixup_f32 v3, v3, v4, 1.0
	v_div_fmas_f32 v4, v8, v30, v40
	s_mov_b32 vcc_lo, s2
	v_fmac_f32_e32 v44, v43, v33
	v_div_fmas_f32 v8, v9, v22, v34
	s_mov_b32 vcc_lo, s6
	v_fma_f32 v10, -v12, v36, v13
	v_div_fmas_f32 v9, v11, v32, v42
	v_cmp_class_f32_e64 vcc_lo, v3, 0x1f8
	v_fma_f32 v12, -v26, v44, v27
	v_div_fixup_f32 v4, v4, v0, 1.0
	v_div_scale_f32 v31, s8, 1.0, v19, 1.0
	v_cndmask_b32_e32 v0, 0, v3, vcc_lo
	s_mov_b32 vcc_lo, s3
	v_fma_f32 v2, -v2, v37, v15
	v_div_fmas_f32 v3, v10, v25, v36
	s_mov_b32 vcc_lo, s7
	v_div_fixup_f32 v5, v8, v5, 1.0
	v_div_fmas_f32 v8, v12, v33, v44
	s_mov_b32 vcc_lo, s4
	v_div_fixup_f32 v9, v9, v1, 1.0
	v_div_fmas_f32 v10, v2, v28, v37
	v_cmp_class_f32_e64 vcc_lo, v4, 0x1f8
	v_mul_f32_e32 v46, v31, v35
	s_delay_alu instid0(VALU_DEP_3) | instskip(SKIP_1) | instid1(VALU_DEP_3)
	v_div_fixup_f32 v7, v10, v7, 1.0
	v_cndmask_b32_e32 v1, 0, v4, vcc_lo
	v_fma_f32 v45, -v29, v46, v31
	s_mov_b32 vcc_lo, s8
	v_div_fixup_f32 v4, v3, v6, 1.0
	s_delay_alu instid0(VALU_DEP_2) | instskip(NEXT) | instid1(VALU_DEP_1)
	v_fmac_f32_e32 v46, v45, v35
	v_fma_f32 v13, -v29, v46, v31
	s_delay_alu instid0(VALU_DEP_1)
	v_div_fmas_f32 v6, v13, v35, v46
	v_cmp_class_f32_e64 vcc_lo, v5, 0x1f8
	v_cndmask_b32_e32 v2, 0, v5, vcc_lo
	v_cmp_class_f32_e64 vcc_lo, v9, 0x1f8
	v_div_fixup_f32 v5, v8, v14, 1.0
	v_div_fixup_f32 v8, v6, v19, 1.0
	v_cndmask_b32_e32 v3, 0, v9, vcc_lo
	v_cmp_class_f32_e64 vcc_lo, v4, 0x1f8
	v_cndmask_b32_e32 v4, 0, v4, vcc_lo
	v_cmp_class_f32_e64 vcc_lo, v5, 0x1f8
	;; [unrolled: 2-line block ×4, first 2 shown]
	v_cndmask_b32_e32 v7, 0, v8, vcc_lo
	s_cbranch_scc1 .LBB285_31
; %bb.4:
	v_lshlrev_b32_e32 v12, 2, v18
	s_clause 0x1
	global_load_b128 v[8:11], v12, s[10:11]
	global_load_b128 v[12:15], v12, s[10:11] offset:16
	s_waitcnt vmcnt(1)
	v_dual_add_f32 v9, v9, v1 :: v_dual_add_f32 v8, v8, v0
	v_dual_add_f32 v11, v11, v3 :: v_dual_add_f32 v10, v10, v2
	s_waitcnt vmcnt(0)
	v_dual_add_f32 v13, v13, v5 :: v_dual_add_f32 v12, v12, v4
	v_dual_add_f32 v15, v15, v7 :: v_dual_add_f32 v14, v14, v6
	s_cbranch_execnz .LBB285_6
.LBB285_5:
	v_dual_mov_b32 v15, v7 :: v_dual_mov_b32 v14, v6
	v_dual_mov_b32 v13, v5 :: v_dual_mov_b32 v12, v4
	;; [unrolled: 1-line block ×4, first 2 shown]
.LBB285_6:
	s_load_b128 s[8:11], s[0:1], 0x30
	v_cmp_eq_u32_e64 s2, 0, v17
	s_mov_b32 s6, 0
	s_waitcnt lgkmcnt(0)
	s_bitcmp1_b32 s11, 0
	s_cselect_b32 vcc_lo, -1, 0
	s_cmp_gt_i32 s8, 0
	s_cselect_b32 s5, -1, 0
	s_cmp_lt_i32 s8, 1
	s_cbranch_scc1 .LBB285_32
; %bb.7:
	v_mbcnt_lo_u32_b32 v19, -1, 0
	s_load_b128 s[12:15], s[0:1], 0x20
	s_delay_alu instid0(VALU_DEP_1)
	v_dual_mov_b32 v25, v16 :: v_dual_and_b32 v20, 16, v19
	v_xor_b32_e32 v21, 8, v19
	v_xor_b32_e32 v22, 4, v19
	;; [unrolled: 1-line block ×4, first 2 shown]
	v_add_nc_u32_e32 v20, 16, v20
	s_delay_alu instid0(VALU_DEP_1) | instskip(NEXT) | instid1(VALU_DEP_1)
	v_cmp_lt_i32_e64 s0, v21, v20
	v_cndmask_b32_e64 v21, v19, v21, s0
	v_cmp_lt_i32_e64 s0, v22, v20
	s_delay_alu instid0(VALU_DEP_2) | instskip(NEXT) | instid1(VALU_DEP_2)
	v_lshlrev_b32_e32 v21, 2, v21
	v_cndmask_b32_e64 v22, v19, v22, s0
	v_cmp_lt_i32_e64 s0, v23, v20
	s_delay_alu instid0(VALU_DEP_2) | instskip(NEXT) | instid1(VALU_DEP_2)
	v_lshlrev_b32_e32 v22, 2, v22
	v_cndmask_b32_e64 v23, v19, v23, s0
	v_cmp_lt_i32_e64 s0, v24, v20
	v_mul_lo_u32 v20, v16, s8
	s_delay_alu instid0(VALU_DEP_3) | instskip(NEXT) | instid1(VALU_DEP_3)
	v_lshlrev_b32_e32 v23, 2, v23
	v_cndmask_b32_e64 v19, v19, v24, s0
	s_delay_alu instid0(VALU_DEP_1)
	v_dual_mov_b32 v19, 0 :: v_dual_lshlrev_b32 v24, 2, v19
	s_branch .LBB285_10
.LBB285_8:                              ;   in Loop: Header=BB285_10 Depth=1
	s_or_b32 exec_lo, exec_lo, s1
.LBB285_9:                              ;   in Loop: Header=BB285_10 Depth=1
	v_add_nc_u32_e32 v25, s18, v25
	s_cmp_eq_u32 s8, s6
	s_cbranch_scc1 .LBB285_33
.LBB285_10:                             ; =>This Inner Loop Header: Depth=1
	v_cmp_gt_f32_e64 s0, v9, v8
	s_delay_alu instid0(VALU_DEP_1) | instskip(SKIP_2) | instid1(VALU_DEP_3)
	v_cndmask_b32_e64 v27, v8, v9, s0
	v_cndmask_b32_e64 v26, 0, 1, s0
	v_cndmask_b32_e64 v28, v0, v1, s0
	v_cmp_gt_f32_e64 s1, v10, v27
	s_delay_alu instid0(VALU_DEP_1) | instskip(NEXT) | instid1(VALU_DEP_4)
	v_cndmask_b32_e64 v27, v27, v10, s1
	v_cndmask_b32_e64 v26, v26, 2, s1
	s_delay_alu instid0(VALU_DEP_4) | instskip(NEXT) | instid1(VALU_DEP_3)
	v_cndmask_b32_e64 v28, v28, v2, s1
	v_cmp_gt_f32_e64 s3, v11, v27
	s_delay_alu instid0(VALU_DEP_1) | instskip(NEXT) | instid1(VALU_DEP_4)
	v_cndmask_b32_e64 v27, v27, v11, s3
	v_cndmask_b32_e64 v26, v26, 3, s3
	s_delay_alu instid0(VALU_DEP_4) | instskip(NEXT) | instid1(VALU_DEP_3)
	v_cndmask_b32_e64 v28, v28, v3, s3
	v_cmp_gt_f32_e64 s4, v12, v27
	s_delay_alu instid0(VALU_DEP_1) | instskip(NEXT) | instid1(VALU_DEP_4)
	v_cndmask_b32_e64 v27, v27, v12, s4
	v_cndmask_b32_e64 v26, v26, 4, s4
	s_delay_alu instid0(VALU_DEP_4) | instskip(SKIP_1) | instid1(VALU_DEP_3)
	v_cndmask_b32_e64 v28, v28, v4, s4
	s_mov_b32 s4, exec_lo
	v_cmp_gt_f32_e64 s0, v13, v27
	s_delay_alu instid0(VALU_DEP_1) | instskip(SKIP_2) | instid1(VALU_DEP_3)
	v_cndmask_b32_e64 v27, v27, v13, s0
	v_cndmask_b32_e64 v26, v26, 5, s0
	;; [unrolled: 1-line block ×3, first 2 shown]
	v_cmp_gt_f32_e64 s1, v14, v27
	s_delay_alu instid0(VALU_DEP_1) | instskip(NEXT) | instid1(VALU_DEP_4)
	v_cndmask_b32_e64 v27, v27, v14, s1
	v_cndmask_b32_e64 v26, v26, 6, s1
	s_waitcnt lgkmcnt(0)
	v_cndmask_b32_e64 v29, v28, v6, s1
	s_delay_alu instid0(VALU_DEP_3) | instskip(NEXT) | instid1(VALU_DEP_1)
	v_cmp_gt_f32_e64 s0, v15, v27
	v_cndmask_b32_e64 v26, v26, 7, s0
	v_cndmask_b32_e64 v28, v27, v15, s0
	s_delay_alu instid0(VALU_DEP_4) | instskip(NEXT) | instid1(VALU_DEP_3)
	v_cndmask_b32_e64 v27, v29, v7, s0
	v_or_b32_e32 v26, v18, v26
	ds_bpermute_b32 v29, v21, v28
	ds_bpermute_b32 v31, v21, v27
	;; [unrolled: 1-line block ×3, first 2 shown]
	s_waitcnt lgkmcnt(0)
	v_cmp_lt_f32_e64 s3, v28, v29
	v_cmpx_nlt_f32_e32 v28, v29
; %bb.11:                               ;   in Loop: Header=BB285_10 Depth=1
	v_cmp_eq_f32_e64 s0, v28, v29
	v_cmp_lt_i32_e64 s1, v30, v26
	s_delay_alu instid0(VALU_DEP_1) | instskip(SKIP_2) | instid1(SALU_CYCLE_1)
	s_and_b32 s0, s0, s1
	s_and_not1_b32 s1, s3, exec_lo
	s_and_b32 s0, s0, exec_lo
	s_or_b32 s3, s1, s0
; %bb.12:                               ;   in Loop: Header=BB285_10 Depth=1
	s_or_b32 exec_lo, exec_lo, s4
	s_and_saveexec_b32 s0, s3
; %bb.13:                               ;   in Loop: Header=BB285_10 Depth=1
	v_dual_mov_b32 v27, v31 :: v_dual_mov_b32 v28, v29
	v_mov_b32_e32 v26, v30
; %bb.14:                               ;   in Loop: Header=BB285_10 Depth=1
	s_or_b32 exec_lo, exec_lo, s0
	ds_bpermute_b32 v29, v22, v28
	ds_bpermute_b32 v31, v22, v27
	;; [unrolled: 1-line block ×3, first 2 shown]
	s_mov_b32 s4, exec_lo
	s_waitcnt lgkmcnt(2)
	v_cmp_lt_f32_e64 s3, v28, v29
	v_cmpx_nlt_f32_e32 v28, v29
	s_cbranch_execz .LBB285_16
; %bb.15:                               ;   in Loop: Header=BB285_10 Depth=1
	v_cmp_eq_f32_e64 s0, v28, v29
	s_waitcnt lgkmcnt(0)
	v_cmp_lt_i32_e64 s1, v30, v26
	s_delay_alu instid0(VALU_DEP_1) | instskip(SKIP_2) | instid1(SALU_CYCLE_1)
	s_and_b32 s0, s0, s1
	s_and_not1_b32 s1, s3, exec_lo
	s_and_b32 s0, s0, exec_lo
	s_or_b32 s3, s1, s0
.LBB285_16:                             ;   in Loop: Header=BB285_10 Depth=1
	s_or_b32 exec_lo, exec_lo, s4
	s_delay_alu instid0(VALU_DEP_2)
	s_and_saveexec_b32 s0, s3
	s_cbranch_execz .LBB285_18
; %bb.17:                               ;   in Loop: Header=BB285_10 Depth=1
	s_waitcnt lgkmcnt(1)
	v_dual_mov_b32 v27, v31 :: v_dual_mov_b32 v28, v29
	s_waitcnt lgkmcnt(0)
	v_mov_b32_e32 v26, v30
.LBB285_18:                             ;   in Loop: Header=BB285_10 Depth=1
	s_or_b32 exec_lo, exec_lo, s0
	ds_bpermute_b32 v29, v23, v28
	s_waitcnt lgkmcnt(2)
	ds_bpermute_b32 v31, v23, v27
	s_waitcnt lgkmcnt(2)
	ds_bpermute_b32 v30, v23, v26
	s_mov_b32 s4, exec_lo
	s_waitcnt lgkmcnt(2)
	v_cmp_lt_f32_e64 s3, v28, v29
	v_cmpx_nlt_f32_e32 v28, v29
	s_cbranch_execz .LBB285_20
; %bb.19:                               ;   in Loop: Header=BB285_10 Depth=1
	v_cmp_eq_f32_e64 s0, v28, v29
	s_waitcnt lgkmcnt(0)
	v_cmp_lt_i32_e64 s1, v30, v26
	s_delay_alu instid0(VALU_DEP_1) | instskip(SKIP_2) | instid1(SALU_CYCLE_1)
	s_and_b32 s0, s0, s1
	s_and_not1_b32 s1, s3, exec_lo
	s_and_b32 s0, s0, exec_lo
	s_or_b32 s3, s1, s0
.LBB285_20:                             ;   in Loop: Header=BB285_10 Depth=1
	s_or_b32 exec_lo, exec_lo, s4
	s_delay_alu instid0(VALU_DEP_2)
	s_and_saveexec_b32 s0, s3
	s_cbranch_execz .LBB285_22
; %bb.21:                               ;   in Loop: Header=BB285_10 Depth=1
	s_waitcnt lgkmcnt(1)
	v_dual_mov_b32 v27, v31 :: v_dual_mov_b32 v28, v29
	s_waitcnt lgkmcnt(0)
	v_mov_b32_e32 v26, v30
.LBB285_22:                             ;   in Loop: Header=BB285_10 Depth=1
	s_or_b32 exec_lo, exec_lo, s0
	s_waitcnt lgkmcnt(1)
	ds_bpermute_b32 v31, v24, v28
	ds_bpermute_b32 v29, v24, v27
	s_waitcnt lgkmcnt(2)
	ds_bpermute_b32 v30, v24, v26
	s_mov_b32 s4, exec_lo
	s_waitcnt lgkmcnt(2)
	v_cmp_lt_f32_e64 s3, v28, v31
	v_cmpx_nlt_f32_e32 v28, v31
	s_cbranch_execnz .LBB285_26
; %bb.23:                               ;   in Loop: Header=BB285_10 Depth=1
	s_or_b32 exec_lo, exec_lo, s4
	s_delay_alu instid0(VALU_DEP_2)
	s_and_saveexec_b32 s0, s3
	s_cbranch_execnz .LBB285_27
.LBB285_24:                             ;   in Loop: Header=BB285_10 Depth=1
	s_or_b32 exec_lo, exec_lo, s0
	s_and_saveexec_b32 s3, s2
	s_cbranch_execnz .LBB285_28
.LBB285_25:                             ;   in Loop: Header=BB285_10 Depth=1
	s_or_b32 exec_lo, exec_lo, s3
	s_add_i32 s6, s6, 1
	s_delay_alu instid0(SALU_CYCLE_1)
	s_cmp_ge_i32 s6, s8
	s_cbranch_scc1 .LBB285_9
	s_branch .LBB285_29
.LBB285_26:                             ;   in Loop: Header=BB285_10 Depth=1
	v_cmp_eq_f32_e64 s0, v28, v31
	s_waitcnt lgkmcnt(0)
	v_cmp_lt_i32_e64 s1, v30, v26
	s_delay_alu instid0(VALU_DEP_1) | instskip(SKIP_2) | instid1(SALU_CYCLE_1)
	s_and_b32 s0, s0, s1
	s_and_not1_b32 s1, s3, exec_lo
	s_and_b32 s0, s0, exec_lo
	s_or_b32 s3, s1, s0
	s_or_b32 exec_lo, exec_lo, s4
	s_and_saveexec_b32 s0, s3
	s_cbranch_execz .LBB285_24
.LBB285_27:                             ;   in Loop: Header=BB285_10 Depth=1
	s_waitcnt lgkmcnt(0)
	v_dual_mov_b32 v26, v30 :: v_dual_mov_b32 v27, v29
	s_or_b32 exec_lo, exec_lo, s0
	s_and_saveexec_b32 s3, s2
	s_cbranch_execz .LBB285_25
.LBB285_28:                             ;   in Loop: Header=BB285_10 Depth=1
	s_delay_alu instid0(VALU_DEP_1)
	v_dual_add_f32 v35, v19, v27 :: v_dual_add_nc_u32 v28, s6, v20
	v_cmp_le_i32_e64 s0, s9, v26
	v_cmp_gt_i32_e64 s1, s10, v26
	s_waitcnt lgkmcnt(0)
	v_subrev_nc_u32_e32 v30, s9, v26
	v_ashrrev_i32_e32 v29, 31, v28
	v_cndmask_b32_e32 v19, v19, v35, vcc_lo
	s_and_b32 s0, s0, s1
	s_delay_alu instid0(SALU_CYCLE_1) | instskip(NEXT) | instid1(VALU_DEP_2)
	s_and_b32 s0, s19, s0
	v_lshlrev_b64 v[28:29], 2, v[28:29]
	v_cndmask_b32_e64 v34, 0x80, v30, s0
	s_delay_alu instid0(VALU_DEP_2) | instskip(NEXT) | instid1(VALU_DEP_1)
	v_add_co_u32 v30, s0, s16, v28
	v_add_co_ci_u32_e64 v31, s0, s17, v29, s0
	v_add_co_u32 v32, s0, s12, v28
	s_delay_alu instid0(VALU_DEP_1) | instskip(SKIP_1) | instid1(VALU_DEP_1)
	v_add_co_ci_u32_e64 v33, s0, s13, v29, s0
	v_add_co_u32 v28, s0, s14, v28
	v_add_co_ci_u32_e64 v29, s0, s15, v29, s0
	global_store_b32 v[30:31], v27, off
	global_store_b32 v[32:33], v34, off
	;; [unrolled: 1-line block ×3, first 2 shown]
	s_or_b32 exec_lo, exec_lo, s3
	s_add_i32 s6, s6, 1
	s_delay_alu instid0(SALU_CYCLE_1)
	s_cmp_ge_i32 s6, s8
	s_cbranch_scc1 .LBB285_9
.LBB285_29:                             ;   in Loop: Header=BB285_10 Depth=1
	v_ashrrev_i32_e32 v28, 31, v26
	s_mov_b32 s1, exec_lo
	s_delay_alu instid0(VALU_DEP_1) | instskip(NEXT) | instid1(VALU_DEP_1)
	v_lshrrev_b32_e32 v27, 29, v28
	v_add_nc_u32_e32 v27, v26, v27
	s_delay_alu instid0(VALU_DEP_1) | instskip(SKIP_1) | instid1(VALU_DEP_1)
	v_ashrrev_i32_e32 v27, 3, v27
	s_waitcnt lgkmcnt(1)
	v_lshrrev_b32_e32 v29, 28, v27
	s_delay_alu instid0(VALU_DEP_1) | instskip(NEXT) | instid1(VALU_DEP_1)
	v_add_nc_u32_e32 v29, v27, v29
	v_and_b32_e32 v29, -16, v29
	s_delay_alu instid0(VALU_DEP_1) | instskip(NEXT) | instid1(VALU_DEP_1)
	v_sub_nc_u32_e32 v29, v27, v29
	v_cmpx_eq_u32_e64 v17, v29
	s_cbranch_execz .LBB285_8
; %bb.30:                               ;   in Loop: Header=BB285_10 Depth=1
	v_lshrrev_b32_e32 v28, 25, v28
	v_lshlrev_b32_e32 v27, 3, v27
	s_delay_alu instid0(VALU_DEP_2) | instskip(NEXT) | instid1(VALU_DEP_2)
	v_add_nc_u32_e32 v28, v26, v28
	v_sub_nc_u32_e32 v26, v26, v27
	s_delay_alu instid0(VALU_DEP_2) | instskip(NEXT) | instid1(VALU_DEP_1)
	v_ashrrev_i32_e32 v27, 7, v28
	v_lshl_add_u32 v26, v27, 3, v26
	s_delay_alu instid0(VALU_DEP_1) | instskip(NEXT) | instid1(VALU_DEP_1)
	v_cmp_ne_u32_e64 s0, 7, v26
	v_cndmask_b32_e64 v15, 0xc61c4000, v15, s0
	v_cmp_ne_u32_e64 s0, 6, v26
	s_delay_alu instid0(VALU_DEP_1) | instskip(SKIP_1) | instid1(VALU_DEP_1)
	v_cndmask_b32_e64 v14, 0xc61c4000, v14, s0
	v_cmp_ne_u32_e64 s0, 5, v26
	v_cndmask_b32_e64 v13, 0xc61c4000, v13, s0
	v_cmp_ne_u32_e64 s0, 4, v26
	s_delay_alu instid0(VALU_DEP_1) | instskip(SKIP_1) | instid1(VALU_DEP_1)
	v_cndmask_b32_e64 v12, 0xc61c4000, v12, s0
	v_cmp_ne_u32_e64 s0, 3, v26
	v_cndmask_b32_e64 v11, 0xc61c4000, v11, s0
	v_cmp_ne_u32_e64 s0, 2, v26
	s_delay_alu instid0(VALU_DEP_1) | instskip(SKIP_1) | instid1(VALU_DEP_1)
	v_cndmask_b32_e64 v10, 0xc61c4000, v10, s0
	v_cmp_ne_u32_e64 s0, 1, v26
	v_cndmask_b32_e64 v9, 0xc61c4000, v9, s0
	v_cmp_ne_u32_e64 s0, 0, v26
	s_delay_alu instid0(VALU_DEP_1)
	v_cndmask_b32_e64 v8, 0xc61c4000, v8, s0
	s_branch .LBB285_8
.LBB285_31:
                                        ; implicit-def: $vgpr8_vgpr9_vgpr10_vgpr11_vgpr12_vgpr13_vgpr14_vgpr15
	s_and_not1_b32 vcc_lo, exec_lo, s9
	s_cbranch_vccz .LBB285_5
	s_branch .LBB285_6
.LBB285_32:
	v_mov_b32_e32 v19, 0
.LBB285_33:
	v_cmp_eq_u32_e64 s0, 0, v17
	s_delay_alu instid0(VALU_DEP_1) | instskip(NEXT) | instid1(SALU_CYCLE_1)
	s_and_b32 s0, s0, vcc_lo
	s_and_b32 exec_lo, exec_lo, s0
	s_cbranch_execz .LBB285_37
; %bb.34:
	s_and_not1_b32 vcc_lo, exec_lo, s5
	s_cbranch_vccnz .LBB285_37
; %bb.35:
	v_mul_lo_u32 v0, v16, s8
	v_cmp_lt_f32_e32 vcc_lo, 0, v19
	v_cndmask_b32_e32 v2, 1.0, v19, vcc_lo
	s_delay_alu instid0(VALU_DEP_3) | instskip(NEXT) | instid1(VALU_DEP_1)
	v_ashrrev_i32_e32 v1, 31, v0
	v_lshlrev_b64 v[0:1], 2, v[0:1]
	s_delay_alu instid0(VALU_DEP_1) | instskip(NEXT) | instid1(VALU_DEP_2)
	v_add_co_u32 v0, vcc_lo, s16, v0
	v_add_co_ci_u32_e32 v1, vcc_lo, s17, v1, vcc_lo
	.p2align	6
.LBB285_36:                             ; =>This Inner Loop Header: Depth=1
	global_load_b32 v3, v[0:1], off
	s_add_i32 s8, s8, -1
	s_delay_alu instid0(SALU_CYCLE_1) | instskip(SKIP_3) | instid1(VALU_DEP_2)
	s_cmp_lg_u32 s8, 0
	s_waitcnt vmcnt(0)
	v_div_scale_f32 v4, null, v2, v2, v3
	v_div_scale_f32 v7, vcc_lo, v3, v2, v3
	v_rcp_f32_e32 v5, v4
	s_waitcnt_depctr 0xfff
	v_fma_f32 v6, -v4, v5, 1.0
	s_delay_alu instid0(VALU_DEP_1) | instskip(NEXT) | instid1(VALU_DEP_1)
	v_fmac_f32_e32 v5, v6, v5
	v_mul_f32_e32 v6, v7, v5
	s_delay_alu instid0(VALU_DEP_1) | instskip(NEXT) | instid1(VALU_DEP_1)
	v_fma_f32 v8, -v4, v6, v7
	v_fmac_f32_e32 v6, v8, v5
	s_delay_alu instid0(VALU_DEP_1) | instskip(NEXT) | instid1(VALU_DEP_1)
	v_fma_f32 v4, -v4, v6, v7
	v_div_fmas_f32 v4, v4, v5, v6
	s_delay_alu instid0(VALU_DEP_1)
	v_div_fixup_f32 v3, v4, v2, v3
	global_store_b32 v[0:1], v3, off
	v_add_co_u32 v0, vcc_lo, v0, 4
	v_add_co_ci_u32_e32 v1, vcc_lo, 0, v1, vcc_lo
	s_cbranch_scc1 .LBB285_36
.LBB285_37:
	s_nop 0
	s_sendmsg sendmsg(MSG_DEALLOC_VGPRS)
	s_endpgm
	.section	.rodata,"a",@progbits
	.p2align	6, 0x0
	.amdhsa_kernel _ZN4vllm3moe10topkGatingILi8ELi128ELi4ELi16ELi32Ej6__halfLNS0_11ScoringFuncE1EEEvPKT5_PKbPfiPT4_PiiiibPKf
		.amdhsa_group_segment_fixed_size 0
		.amdhsa_private_segment_fixed_size 0
		.amdhsa_kernarg_size 72
		.amdhsa_user_sgpr_count 15
		.amdhsa_user_sgpr_dispatch_ptr 0
		.amdhsa_user_sgpr_queue_ptr 0
		.amdhsa_user_sgpr_kernarg_segment_ptr 1
		.amdhsa_user_sgpr_dispatch_id 0
		.amdhsa_user_sgpr_private_segment_size 0
		.amdhsa_wavefront_size32 1
		.amdhsa_uses_dynamic_stack 0
		.amdhsa_enable_private_segment 0
		.amdhsa_system_sgpr_workgroup_id_x 1
		.amdhsa_system_sgpr_workgroup_id_y 0
		.amdhsa_system_sgpr_workgroup_id_z 0
		.amdhsa_system_sgpr_workgroup_info 0
		.amdhsa_system_vgpr_workitem_id 1
		.amdhsa_next_free_vgpr 47
		.amdhsa_next_free_sgpr 20
		.amdhsa_reserve_vcc 1
		.amdhsa_float_round_mode_32 0
		.amdhsa_float_round_mode_16_64 0
		.amdhsa_float_denorm_mode_32 3
		.amdhsa_float_denorm_mode_16_64 3
		.amdhsa_dx10_clamp 1
		.amdhsa_ieee_mode 1
		.amdhsa_fp16_overflow 0
		.amdhsa_workgroup_processor_mode 1
		.amdhsa_memory_ordered 1
		.amdhsa_forward_progress 0
		.amdhsa_shared_vgpr_count 0
		.amdhsa_exception_fp_ieee_invalid_op 0
		.amdhsa_exception_fp_denorm_src 0
		.amdhsa_exception_fp_ieee_div_zero 0
		.amdhsa_exception_fp_ieee_overflow 0
		.amdhsa_exception_fp_ieee_underflow 0
		.amdhsa_exception_fp_ieee_inexact 0
		.amdhsa_exception_int_div_zero 0
	.end_amdhsa_kernel
	.section	.text._ZN4vllm3moe10topkGatingILi8ELi128ELi4ELi16ELi32Ej6__halfLNS0_11ScoringFuncE1EEEvPKT5_PKbPfiPT4_PiiiibPKf,"axG",@progbits,_ZN4vllm3moe10topkGatingILi8ELi128ELi4ELi16ELi32Ej6__halfLNS0_11ScoringFuncE1EEEvPKT5_PKbPfiPT4_PiiiibPKf,comdat
.Lfunc_end285:
	.size	_ZN4vllm3moe10topkGatingILi8ELi128ELi4ELi16ELi32Ej6__halfLNS0_11ScoringFuncE1EEEvPKT5_PKbPfiPT4_PiiiibPKf, .Lfunc_end285-_ZN4vllm3moe10topkGatingILi8ELi128ELi4ELi16ELi32Ej6__halfLNS0_11ScoringFuncE1EEEvPKT5_PKbPfiPT4_PiiiibPKf
                                        ; -- End function
	.section	.AMDGPU.csdata,"",@progbits
; Kernel info:
; codeLenInByte = 3060
; NumSgprs: 22
; NumVgprs: 47
; ScratchSize: 0
; MemoryBound: 0
; FloatMode: 240
; IeeeMode: 1
; LDSByteSize: 0 bytes/workgroup (compile time only)
; SGPRBlocks: 2
; VGPRBlocks: 5
; NumSGPRsForWavesPerEU: 22
; NumVGPRsForWavesPerEU: 47
; Occupancy: 16
; WaveLimiterHint : 0
; COMPUTE_PGM_RSRC2:SCRATCH_EN: 0
; COMPUTE_PGM_RSRC2:USER_SGPR: 15
; COMPUTE_PGM_RSRC2:TRAP_HANDLER: 0
; COMPUTE_PGM_RSRC2:TGID_X_EN: 1
; COMPUTE_PGM_RSRC2:TGID_Y_EN: 0
; COMPUTE_PGM_RSRC2:TGID_Z_EN: 0
; COMPUTE_PGM_RSRC2:TIDIG_COMP_CNT: 1
	.section	.text._ZN4vllm3moe10topkGatingILi8ELi256ELi4ELi16ELi64Ej6__halfLNS0_11ScoringFuncE1EEEvPKT5_PKbPfiPT4_PiiiibPKf,"axG",@progbits,_ZN4vllm3moe10topkGatingILi8ELi256ELi4ELi16ELi64Ej6__halfLNS0_11ScoringFuncE1EEEvPKT5_PKbPfiPT4_PiiiibPKf,comdat
	.protected	_ZN4vllm3moe10topkGatingILi8ELi256ELi4ELi16ELi64Ej6__halfLNS0_11ScoringFuncE1EEEvPKT5_PKbPfiPT4_PiiiibPKf ; -- Begin function _ZN4vllm3moe10topkGatingILi8ELi256ELi4ELi16ELi64Ej6__halfLNS0_11ScoringFuncE1EEEvPKT5_PKbPfiPT4_PiiiibPKf
	.globl	_ZN4vllm3moe10topkGatingILi8ELi256ELi4ELi16ELi64Ej6__halfLNS0_11ScoringFuncE1EEEvPKT5_PKbPfiPT4_PiiiibPKf
	.p2align	8
	.type	_ZN4vllm3moe10topkGatingILi8ELi256ELi4ELi16ELi64Ej6__halfLNS0_11ScoringFuncE1EEEvPKT5_PKbPfiPT4_PiiiibPKf,@function
_ZN4vllm3moe10topkGatingILi8ELi256ELi4ELi16ELi64Ej6__halfLNS0_11ScoringFuncE1EEEvPKT5_PKbPfiPT4_PiiiibPKf: ; @_ZN4vllm3moe10topkGatingILi8ELi256ELi4ELi16ELi64Ej6__halfLNS0_11ScoringFuncE1EEEvPKT5_PKbPfiPT4_PiiiibPKf
; %bb.0:
	s_load_b32 s18, s[0:1], 0x18
	v_bfe_u32 v1, v0, 10, 10
	v_and_b32_e32 v0, 0x3ff, v0
	s_lshl_b32 s2, s15, 3
	s_delay_alu instid0(VALU_DEP_2) | instskip(NEXT) | instid1(VALU_DEP_2)
	v_lshlrev_b32_e32 v1, 1, v1
	v_lshrrev_b32_e32 v2, 5, v0
	s_delay_alu instid0(VALU_DEP_1) | instskip(SKIP_2) | instid1(VALU_DEP_1)
	v_add3_u32 v16, s2, v1, v2
	s_mov_b32 s2, exec_lo
	s_waitcnt lgkmcnt(0)
	v_cmpx_gt_i32_e64 s18, v16
	s_cbranch_execz .LBB286_41
; %bb.1:
	s_clause 0x1
	s_load_b128 s[4:7], s[0:1], 0x0
	s_load_b64 s[16:17], s[0:1], 0x10
	s_mov_b32 s9, -1
	s_mov_b32 s19, -1
	s_waitcnt lgkmcnt(0)
	s_cmp_eq_u64 s[6:7], 0
	s_cbranch_scc1 .LBB286_3
; %bb.2:
	v_ashrrev_i32_e32 v2, 31, v16
	v_add_co_u32 v1, vcc_lo, s6, v16
	s_delay_alu instid0(VALU_DEP_2) | instskip(SKIP_3) | instid1(VALU_DEP_1)
	v_add_co_ci_u32_e32 v2, vcc_lo, s7, v2, vcc_lo
	global_load_u8 v1, v[1:2], off
	s_waitcnt vmcnt(0)
	v_and_b32_e32 v1, 1, v1
	v_cmp_eq_u32_e32 vcc_lo, 1, v1
	s_xor_b32 s2, vcc_lo, -1
	s_delay_alu instid0(SALU_CYCLE_1)
	s_or_not1_b32 s19, s2, exec_lo
.LBB286_3:
	v_lshlrev_b32_e32 v1, 8, v16
	v_and_b32_e32 v17, 31, v0
	s_load_b64 s[10:11], s[0:1], 0x40
	s_delay_alu instid0(VALU_DEP_2) | instskip(NEXT) | instid1(VALU_DEP_1)
	v_ashrrev_i32_e32 v2, 31, v1
	v_lshlrev_b64 v[0:1], 1, v[1:2]
	s_delay_alu instid0(VALU_DEP_3) | instskip(NEXT) | instid1(VALU_DEP_2)
	v_lshlrev_b32_e32 v2, 4, v17
	v_add_co_u32 v0, vcc_lo, s4, v0
	s_delay_alu instid0(VALU_DEP_3) | instskip(NEXT) | instid1(VALU_DEP_2)
	v_add_co_ci_u32_e32 v1, vcc_lo, s5, v1, vcc_lo
	v_add_co_u32 v0, vcc_lo, v0, v2
	s_delay_alu instid0(VALU_DEP_2)
	v_add_co_ci_u32_e32 v1, vcc_lo, 0, v1, vcc_lo
	s_waitcnt lgkmcnt(0)
	s_cmp_eq_u64 s[10:11], 0
	global_load_b128 v[0:3], v[0:1], off
	s_waitcnt vmcnt(0)
	v_cvt_f32_f16_e32 v4, v0
	v_lshrrev_b32_e32 v0, 16, v0
	v_cvt_f32_f16_e32 v5, v1
	v_lshrrev_b32_e32 v1, 16, v1
	;; [unrolled: 2-line block ×4, first 2 shown]
	v_dual_mul_f32 v4, 0xbfb8aa3b, v4 :: v_dual_mul_f32 v5, 0xbfb8aa3b, v5
	v_cvt_f32_f16_e32 v0, v0
	v_cvt_f32_f16_e32 v1, v1
	;; [unrolled: 1-line block ×4, first 2 shown]
	v_dual_mul_f32 v6, 0xbfb8aa3b, v6 :: v_dual_mul_f32 v7, 0xbfb8aa3b, v7
	v_exp_f32_e32 v4, v4
	v_dual_mul_f32 v0, 0xbfb8aa3b, v0 :: v_dual_mul_f32 v1, 0xbfb8aa3b, v1
	v_exp_f32_e32 v5, v5
	s_delay_alu instid0(VALU_DEP_2)
	v_exp_f32_e32 v6, v6
	v_mul_f32_e32 v2, 0xbfb8aa3b, v2
	v_exp_f32_e32 v7, v7
	v_dual_mul_f32 v3, 0xbfb8aa3b, v3 :: v_dual_lshlrev_b32 v18, 3, v17
	v_exp_f32_e32 v0, v0
	v_exp_f32_e32 v1, v1
	;; [unrolled: 1-line block ×3, first 2 shown]
	s_delay_alu instid0(VALU_DEP_1) | instskip(SKIP_2) | instid1(VALU_DEP_2)
	v_exp_f32_e32 v3, v3
	v_dual_add_f32 v4, 1.0, v4 :: v_dual_add_f32 v5, 1.0, v5
	v_dual_add_f32 v6, 1.0, v6 :: v_dual_add_f32 v7, 1.0, v7
	v_div_scale_f32 v8, null, v4, v4, 1.0
	s_delay_alu instid0(TRANS32_DEP_3) | instskip(NEXT) | instid1(VALU_DEP_4)
	v_dual_add_f32 v0, 1.0, v0 :: v_dual_add_f32 v1, 1.0, v1
	v_div_scale_f32 v10, null, v5, v5, 1.0
	s_delay_alu instid0(VALU_DEP_4) | instskip(NEXT) | instid1(TRANS32_DEP_1)
	v_div_scale_f32 v12, null, v6, v6, 1.0
	v_dual_add_f32 v14, 1.0, v2 :: v_dual_add_f32 v19, 1.0, v3
	v_div_scale_f32 v2, null, v7, v7, 1.0
	v_rcp_f32_e32 v3, v8
	v_div_scale_f32 v20, null, v0, v0, 1.0
	v_rcp_f32_e32 v22, v10
	v_div_scale_f32 v23, null, v1, v1, 1.0
	v_rcp_f32_e32 v25, v12
	v_rcp_f32_e32 v28, v2
	v_div_scale_f32 v29, null, v19, v19, 1.0
	v_rcp_f32_e32 v30, v20
	v_div_scale_f32 v26, null, v14, v14, 1.0
	v_rcp_f32_e32 v32, v23
	v_fma_f32 v34, -v8, v3, 1.0
	v_rcp_f32_e32 v35, v29
	v_div_scale_f32 v9, vcc_lo, 1.0, v4, 1.0
	v_rcp_f32_e32 v33, v26
	v_fma_f32 v36, -v10, v22, 1.0
	v_fma_f32 v37, -v12, v25, 1.0
	;; [unrolled: 1-line block ×3, first 2 shown]
	v_fmac_f32_e32 v3, v34, v3
	v_fma_f32 v34, -v20, v30, 1.0
	v_fmac_f32_e32 v22, v36, v22
	v_div_scale_f32 v11, s2, 1.0, v5, 1.0
	v_fma_f32 v36, -v23, v32, 1.0
	v_dual_fmac_f32 v25, v37, v25 :: v_dual_fmac_f32 v28, v38, v28
	v_fma_f32 v38, -v29, v35, 1.0
	v_dual_mul_f32 v39, v9, v3 :: v_dual_fmac_f32 v30, v34, v30
	v_div_scale_f32 v21, s5, 1.0, v0, 1.0
	v_div_scale_f32 v24, s6, 1.0, v1, 1.0
	v_fma_f32 v37, -v26, v33, 1.0
	v_mul_f32_e32 v34, v11, v22
	v_dual_fmac_f32 v32, v36, v32 :: v_dual_fmac_f32 v35, v38, v35
	v_fma_f32 v38, -v8, v39, v9
	v_mul_f32_e32 v40, v21, v30
	v_div_scale_f32 v13, s3, 1.0, v6, 1.0
	v_div_scale_f32 v15, s4, 1.0, v7, 1.0
	s_delay_alu instid0(VALU_DEP_4)
	v_fmac_f32_e32 v39, v38, v3
	v_fmac_f32_e32 v33, v37, v33
	v_fma_f32 v41, -v10, v34, v11
	v_mul_f32_e32 v42, v24, v32
	v_fma_f32 v38, -v20, v40, v21
	v_div_scale_f32 v27, s7, 1.0, v14, 1.0
	v_dual_mul_f32 v36, v13, v25 :: v_dual_mul_f32 v37, v15, v28
	v_fmac_f32_e32 v34, v41, v22
	v_fma_f32 v41, -v23, v42, v24
	v_fma_f32 v8, -v8, v39, v9
	v_fmac_f32_e32 v40, v38, v30
	v_fma_f32 v43, -v12, v36, v13
	v_fma_f32 v45, -v2, v37, v15
	v_mul_f32_e32 v44, v27, v33
	v_fmac_f32_e32 v42, v41, v32
	v_div_fmas_f32 v3, v8, v3, v39
	v_fma_f32 v8, -v20, v40, v21
	v_fmac_f32_e32 v37, v45, v28
	v_fma_f32 v9, -v10, v34, v11
	v_fmac_f32_e32 v36, v43, v25
	v_fma_f32 v43, -v26, v44, v27
	s_mov_b32 vcc_lo, s5
	v_fma_f32 v11, -v23, v42, v24
	v_div_fixup_f32 v3, v3, v4, 1.0
	v_div_fmas_f32 v4, v8, v30, v40
	s_mov_b32 vcc_lo, s2
	v_fmac_f32_e32 v44, v43, v33
	v_div_fmas_f32 v8, v9, v22, v34
	s_mov_b32 vcc_lo, s6
	v_fma_f32 v10, -v12, v36, v13
	v_div_fmas_f32 v9, v11, v32, v42
	v_cmp_class_f32_e64 vcc_lo, v3, 0x1f8
	v_fma_f32 v12, -v26, v44, v27
	v_div_fixup_f32 v4, v4, v0, 1.0
	v_div_scale_f32 v31, s8, 1.0, v19, 1.0
	v_cndmask_b32_e32 v0, 0, v3, vcc_lo
	s_mov_b32 vcc_lo, s3
	v_fma_f32 v2, -v2, v37, v15
	v_div_fmas_f32 v3, v10, v25, v36
	s_mov_b32 vcc_lo, s7
	v_div_fixup_f32 v5, v8, v5, 1.0
	v_div_fmas_f32 v8, v12, v33, v44
	s_mov_b32 vcc_lo, s4
	v_div_fixup_f32 v9, v9, v1, 1.0
	v_div_fmas_f32 v10, v2, v28, v37
	v_cmp_class_f32_e64 vcc_lo, v4, 0x1f8
	v_mul_f32_e32 v46, v31, v35
	s_delay_alu instid0(VALU_DEP_3) | instskip(SKIP_1) | instid1(VALU_DEP_3)
	v_div_fixup_f32 v7, v10, v7, 1.0
	v_cndmask_b32_e32 v1, 0, v4, vcc_lo
	v_fma_f32 v45, -v29, v46, v31
	s_mov_b32 vcc_lo, s8
	v_div_fixup_f32 v4, v3, v6, 1.0
	s_delay_alu instid0(VALU_DEP_2) | instskip(NEXT) | instid1(VALU_DEP_1)
	v_fmac_f32_e32 v46, v45, v35
	v_fma_f32 v13, -v29, v46, v31
	s_delay_alu instid0(VALU_DEP_1)
	v_div_fmas_f32 v6, v13, v35, v46
	v_cmp_class_f32_e64 vcc_lo, v5, 0x1f8
	v_cndmask_b32_e32 v2, 0, v5, vcc_lo
	v_cmp_class_f32_e64 vcc_lo, v9, 0x1f8
	v_div_fixup_f32 v5, v8, v14, 1.0
	v_div_fixup_f32 v8, v6, v19, 1.0
	v_cndmask_b32_e32 v3, 0, v9, vcc_lo
	v_cmp_class_f32_e64 vcc_lo, v4, 0x1f8
	v_cndmask_b32_e32 v4, 0, v4, vcc_lo
	v_cmp_class_f32_e64 vcc_lo, v5, 0x1f8
	;; [unrolled: 2-line block ×4, first 2 shown]
	v_cndmask_b32_e32 v7, 0, v8, vcc_lo
	s_cbranch_scc1 .LBB286_35
; %bb.4:
	v_lshlrev_b32_e32 v12, 2, v18
	s_clause 0x1
	global_load_b128 v[8:11], v12, s[10:11]
	global_load_b128 v[12:15], v12, s[10:11] offset:16
	s_waitcnt vmcnt(1)
	v_dual_add_f32 v9, v9, v1 :: v_dual_add_f32 v8, v8, v0
	v_dual_add_f32 v11, v11, v3 :: v_dual_add_f32 v10, v10, v2
	s_waitcnt vmcnt(0)
	v_dual_add_f32 v13, v13, v5 :: v_dual_add_f32 v12, v12, v4
	v_dual_add_f32 v15, v15, v7 :: v_dual_add_f32 v14, v14, v6
	s_cbranch_execnz .LBB286_6
.LBB286_5:
	v_dual_mov_b32 v15, v7 :: v_dual_mov_b32 v14, v6
	v_dual_mov_b32 v13, v5 :: v_dual_mov_b32 v12, v4
	;; [unrolled: 1-line block ×4, first 2 shown]
.LBB286_6:
	s_load_b128 s[8:11], s[0:1], 0x30
	v_cmp_eq_u32_e64 s2, 0, v17
	s_mov_b32 s6, 0
	s_waitcnt lgkmcnt(0)
	s_bitcmp1_b32 s11, 0
	s_cselect_b32 vcc_lo, -1, 0
	s_cmp_gt_i32 s8, 0
	s_cselect_b32 s5, -1, 0
	s_cmp_lt_i32 s8, 1
	s_cbranch_scc1 .LBB286_36
; %bb.7:
	v_mbcnt_lo_u32_b32 v20, -1, 0
	s_load_b128 s[12:15], s[0:1], 0x20
	v_mul_lo_u32 v19, v16, s8
	v_mov_b32_e32 v26, v16
	s_delay_alu instid0(VALU_DEP_3)
	v_xor_b32_e32 v21, 16, v20
	v_xor_b32_e32 v22, 8, v20
	;; [unrolled: 1-line block ×5, first 2 shown]
	v_cmp_gt_i32_e64 s0, 32, v21
	s_delay_alu instid0(VALU_DEP_1) | instskip(SKIP_1) | instid1(VALU_DEP_2)
	v_cndmask_b32_e64 v21, v20, v21, s0
	v_cmp_gt_i32_e64 s0, 32, v22
	v_lshlrev_b32_e32 v21, 2, v21
	s_delay_alu instid0(VALU_DEP_2) | instskip(SKIP_1) | instid1(VALU_DEP_2)
	v_cndmask_b32_e64 v22, v20, v22, s0
	v_cmp_gt_i32_e64 s0, 32, v23
	v_lshlrev_b32_e32 v22, 2, v22
	s_delay_alu instid0(VALU_DEP_2) | instskip(SKIP_1) | instid1(VALU_DEP_2)
	;; [unrolled: 4-line block ×3, first 2 shown]
	v_cndmask_b32_e64 v24, v20, v24, s0
	v_cmp_gt_i32_e64 s0, 32, v25
	v_lshlrev_b32_e32 v24, 2, v24
	s_delay_alu instid0(VALU_DEP_2) | instskip(NEXT) | instid1(VALU_DEP_1)
	v_cndmask_b32_e64 v20, v20, v25, s0
	v_dual_mov_b32 v20, 0 :: v_dual_lshlrev_b32 v25, 2, v20
	s_branch .LBB286_10
.LBB286_8:                              ;   in Loop: Header=BB286_10 Depth=1
	s_or_b32 exec_lo, exec_lo, s1
.LBB286_9:                              ;   in Loop: Header=BB286_10 Depth=1
	v_add_nc_u32_e32 v26, s18, v26
	s_cmp_eq_u32 s8, s6
	s_cbranch_scc1 .LBB286_37
.LBB286_10:                             ; =>This Inner Loop Header: Depth=1
	v_cmp_gt_f32_e64 s0, v9, v8
	s_delay_alu instid0(VALU_DEP_1) | instskip(SKIP_2) | instid1(VALU_DEP_3)
	v_cndmask_b32_e64 v28, v8, v9, s0
	v_cndmask_b32_e64 v27, 0, 1, s0
	;; [unrolled: 1-line block ×3, first 2 shown]
	v_cmp_gt_f32_e64 s1, v10, v28
	s_delay_alu instid0(VALU_DEP_1) | instskip(NEXT) | instid1(VALU_DEP_4)
	v_cndmask_b32_e64 v28, v28, v10, s1
	v_cndmask_b32_e64 v27, v27, 2, s1
	s_delay_alu instid0(VALU_DEP_4) | instskip(NEXT) | instid1(VALU_DEP_3)
	v_cndmask_b32_e64 v29, v29, v2, s1
	v_cmp_gt_f32_e64 s3, v11, v28
	s_delay_alu instid0(VALU_DEP_1) | instskip(NEXT) | instid1(VALU_DEP_4)
	v_cndmask_b32_e64 v28, v28, v11, s3
	v_cndmask_b32_e64 v27, v27, 3, s3
	s_delay_alu instid0(VALU_DEP_4) | instskip(NEXT) | instid1(VALU_DEP_3)
	v_cndmask_b32_e64 v29, v29, v3, s3
	v_cmp_gt_f32_e64 s4, v12, v28
	s_delay_alu instid0(VALU_DEP_1) | instskip(NEXT) | instid1(VALU_DEP_4)
	v_cndmask_b32_e64 v28, v28, v12, s4
	v_cndmask_b32_e64 v27, v27, 4, s4
	s_delay_alu instid0(VALU_DEP_4) | instskip(SKIP_1) | instid1(VALU_DEP_3)
	v_cndmask_b32_e64 v29, v29, v4, s4
	s_mov_b32 s4, exec_lo
	v_cmp_gt_f32_e64 s0, v13, v28
	s_delay_alu instid0(VALU_DEP_1) | instskip(SKIP_2) | instid1(VALU_DEP_3)
	v_cndmask_b32_e64 v28, v28, v13, s0
	v_cndmask_b32_e64 v27, v27, 5, s0
	v_cndmask_b32_e64 v29, v29, v5, s0
	v_cmp_gt_f32_e64 s1, v14, v28
	s_delay_alu instid0(VALU_DEP_1) | instskip(NEXT) | instid1(VALU_DEP_4)
	v_cndmask_b32_e64 v28, v28, v14, s1
	v_cndmask_b32_e64 v27, v27, 6, s1
	s_waitcnt lgkmcnt(0)
	v_cndmask_b32_e64 v30, v29, v6, s1
	s_delay_alu instid0(VALU_DEP_3) | instskip(NEXT) | instid1(VALU_DEP_1)
	v_cmp_gt_f32_e64 s0, v15, v28
	v_cndmask_b32_e64 v27, v27, 7, s0
	v_cndmask_b32_e64 v29, v28, v15, s0
	s_delay_alu instid0(VALU_DEP_4) | instskip(NEXT) | instid1(VALU_DEP_3)
	v_cndmask_b32_e64 v28, v30, v7, s0
	v_or_b32_e32 v27, v18, v27
	ds_bpermute_b32 v30, v21, v29
	ds_bpermute_b32 v32, v21, v28
	;; [unrolled: 1-line block ×3, first 2 shown]
	s_waitcnt lgkmcnt(0)
	v_cmp_lt_f32_e64 s3, v29, v30
	v_cmpx_nlt_f32_e32 v29, v30
; %bb.11:                               ;   in Loop: Header=BB286_10 Depth=1
	v_cmp_eq_f32_e64 s0, v29, v30
	v_cmp_lt_i32_e64 s1, v31, v27
	s_delay_alu instid0(VALU_DEP_1) | instskip(SKIP_2) | instid1(SALU_CYCLE_1)
	s_and_b32 s0, s0, s1
	s_and_not1_b32 s1, s3, exec_lo
	s_and_b32 s0, s0, exec_lo
	s_or_b32 s3, s1, s0
; %bb.12:                               ;   in Loop: Header=BB286_10 Depth=1
	s_or_b32 exec_lo, exec_lo, s4
	s_and_saveexec_b32 s0, s3
; %bb.13:                               ;   in Loop: Header=BB286_10 Depth=1
	v_dual_mov_b32 v28, v32 :: v_dual_mov_b32 v29, v30
	v_mov_b32_e32 v27, v31
; %bb.14:                               ;   in Loop: Header=BB286_10 Depth=1
	s_or_b32 exec_lo, exec_lo, s0
	ds_bpermute_b32 v30, v22, v29
	ds_bpermute_b32 v32, v22, v28
	;; [unrolled: 1-line block ×3, first 2 shown]
	s_mov_b32 s4, exec_lo
	s_waitcnt lgkmcnt(2)
	v_cmp_lt_f32_e64 s3, v29, v30
	v_cmpx_nlt_f32_e32 v29, v30
	s_cbranch_execz .LBB286_16
; %bb.15:                               ;   in Loop: Header=BB286_10 Depth=1
	v_cmp_eq_f32_e64 s0, v29, v30
	s_waitcnt lgkmcnt(0)
	v_cmp_lt_i32_e64 s1, v31, v27
	s_delay_alu instid0(VALU_DEP_1) | instskip(SKIP_2) | instid1(SALU_CYCLE_1)
	s_and_b32 s0, s0, s1
	s_and_not1_b32 s1, s3, exec_lo
	s_and_b32 s0, s0, exec_lo
	s_or_b32 s3, s1, s0
.LBB286_16:                             ;   in Loop: Header=BB286_10 Depth=1
	s_or_b32 exec_lo, exec_lo, s4
	s_delay_alu instid0(VALU_DEP_2)
	s_and_saveexec_b32 s0, s3
	s_cbranch_execz .LBB286_18
; %bb.17:                               ;   in Loop: Header=BB286_10 Depth=1
	s_waitcnt lgkmcnt(1)
	v_dual_mov_b32 v28, v32 :: v_dual_mov_b32 v29, v30
	s_waitcnt lgkmcnt(0)
	v_mov_b32_e32 v27, v31
.LBB286_18:                             ;   in Loop: Header=BB286_10 Depth=1
	s_or_b32 exec_lo, exec_lo, s0
	ds_bpermute_b32 v30, v23, v29
	s_waitcnt lgkmcnt(2)
	ds_bpermute_b32 v32, v23, v28
	s_waitcnt lgkmcnt(2)
	ds_bpermute_b32 v31, v23, v27
	s_mov_b32 s4, exec_lo
	s_waitcnt lgkmcnt(2)
	v_cmp_lt_f32_e64 s3, v29, v30
	v_cmpx_nlt_f32_e32 v29, v30
	s_cbranch_execz .LBB286_20
; %bb.19:                               ;   in Loop: Header=BB286_10 Depth=1
	v_cmp_eq_f32_e64 s0, v29, v30
	s_waitcnt lgkmcnt(0)
	v_cmp_lt_i32_e64 s1, v31, v27
	s_delay_alu instid0(VALU_DEP_1) | instskip(SKIP_2) | instid1(SALU_CYCLE_1)
	s_and_b32 s0, s0, s1
	s_and_not1_b32 s1, s3, exec_lo
	s_and_b32 s0, s0, exec_lo
	s_or_b32 s3, s1, s0
.LBB286_20:                             ;   in Loop: Header=BB286_10 Depth=1
	s_or_b32 exec_lo, exec_lo, s4
	s_delay_alu instid0(VALU_DEP_2)
	s_and_saveexec_b32 s0, s3
	s_cbranch_execz .LBB286_22
; %bb.21:                               ;   in Loop: Header=BB286_10 Depth=1
	s_waitcnt lgkmcnt(1)
	v_dual_mov_b32 v28, v32 :: v_dual_mov_b32 v29, v30
	s_waitcnt lgkmcnt(0)
	v_mov_b32_e32 v27, v31
.LBB286_22:                             ;   in Loop: Header=BB286_10 Depth=1
	s_or_b32 exec_lo, exec_lo, s0
	ds_bpermute_b32 v30, v24, v29
	s_waitcnt lgkmcnt(2)
	ds_bpermute_b32 v32, v24, v28
	s_waitcnt lgkmcnt(2)
	ds_bpermute_b32 v31, v24, v27
	s_mov_b32 s4, exec_lo
	s_waitcnt lgkmcnt(2)
	v_cmp_lt_f32_e64 s3, v29, v30
	v_cmpx_nlt_f32_e32 v29, v30
	s_cbranch_execz .LBB286_24
; %bb.23:                               ;   in Loop: Header=BB286_10 Depth=1
	v_cmp_eq_f32_e64 s0, v29, v30
	s_waitcnt lgkmcnt(0)
	v_cmp_lt_i32_e64 s1, v31, v27
	s_delay_alu instid0(VALU_DEP_1) | instskip(SKIP_2) | instid1(SALU_CYCLE_1)
	s_and_b32 s0, s0, s1
	s_and_not1_b32 s1, s3, exec_lo
	s_and_b32 s0, s0, exec_lo
	s_or_b32 s3, s1, s0
.LBB286_24:                             ;   in Loop: Header=BB286_10 Depth=1
	s_or_b32 exec_lo, exec_lo, s4
	s_delay_alu instid0(VALU_DEP_2)
	s_and_saveexec_b32 s0, s3
	s_cbranch_execz .LBB286_26
; %bb.25:                               ;   in Loop: Header=BB286_10 Depth=1
	s_waitcnt lgkmcnt(1)
	v_dual_mov_b32 v28, v32 :: v_dual_mov_b32 v29, v30
	s_waitcnt lgkmcnt(0)
	v_mov_b32_e32 v27, v31
.LBB286_26:                             ;   in Loop: Header=BB286_10 Depth=1
	s_or_b32 exec_lo, exec_lo, s0
	s_waitcnt lgkmcnt(1)
	ds_bpermute_b32 v32, v25, v29
	ds_bpermute_b32 v30, v25, v28
	s_waitcnt lgkmcnt(2)
	ds_bpermute_b32 v31, v25, v27
	s_mov_b32 s4, exec_lo
	s_waitcnt lgkmcnt(2)
	v_cmp_lt_f32_e64 s3, v29, v32
	v_cmpx_nlt_f32_e32 v29, v32
	s_cbranch_execnz .LBB286_30
; %bb.27:                               ;   in Loop: Header=BB286_10 Depth=1
	s_or_b32 exec_lo, exec_lo, s4
	s_delay_alu instid0(VALU_DEP_2)
	s_and_saveexec_b32 s0, s3
	s_cbranch_execnz .LBB286_31
.LBB286_28:                             ;   in Loop: Header=BB286_10 Depth=1
	s_or_b32 exec_lo, exec_lo, s0
	s_and_saveexec_b32 s3, s2
	s_cbranch_execnz .LBB286_32
.LBB286_29:                             ;   in Loop: Header=BB286_10 Depth=1
	s_or_b32 exec_lo, exec_lo, s3
	s_add_i32 s6, s6, 1
	s_delay_alu instid0(SALU_CYCLE_1)
	s_cmp_ge_i32 s6, s8
	s_cbranch_scc1 .LBB286_9
	s_branch .LBB286_33
.LBB286_30:                             ;   in Loop: Header=BB286_10 Depth=1
	v_cmp_eq_f32_e64 s0, v29, v32
	s_waitcnt lgkmcnt(0)
	v_cmp_lt_i32_e64 s1, v31, v27
	s_delay_alu instid0(VALU_DEP_1) | instskip(SKIP_2) | instid1(SALU_CYCLE_1)
	s_and_b32 s0, s0, s1
	s_and_not1_b32 s1, s3, exec_lo
	s_and_b32 s0, s0, exec_lo
	s_or_b32 s3, s1, s0
	s_or_b32 exec_lo, exec_lo, s4
	s_and_saveexec_b32 s0, s3
	s_cbranch_execz .LBB286_28
.LBB286_31:                             ;   in Loop: Header=BB286_10 Depth=1
	s_waitcnt lgkmcnt(0)
	v_dual_mov_b32 v27, v31 :: v_dual_mov_b32 v28, v30
	s_or_b32 exec_lo, exec_lo, s0
	s_and_saveexec_b32 s3, s2
	s_cbranch_execz .LBB286_29
.LBB286_32:                             ;   in Loop: Header=BB286_10 Depth=1
	s_delay_alu instid0(VALU_DEP_1)
	v_dual_add_f32 v36, v20, v28 :: v_dual_add_nc_u32 v29, s6, v19
	v_cmp_le_i32_e64 s0, s9, v27
	v_cmp_gt_i32_e64 s1, s10, v27
	s_waitcnt lgkmcnt(0)
	v_subrev_nc_u32_e32 v31, s9, v27
	v_ashrrev_i32_e32 v30, 31, v29
	v_cndmask_b32_e32 v20, v20, v36, vcc_lo
	s_and_b32 s0, s0, s1
	s_delay_alu instid0(SALU_CYCLE_1) | instskip(NEXT) | instid1(VALU_DEP_2)
	s_and_b32 s0, s19, s0
	v_lshlrev_b64 v[29:30], 2, v[29:30]
	v_cndmask_b32_e64 v35, 0x100, v31, s0
	s_delay_alu instid0(VALU_DEP_2) | instskip(NEXT) | instid1(VALU_DEP_1)
	v_add_co_u32 v31, s0, s16, v29
	v_add_co_ci_u32_e64 v32, s0, s17, v30, s0
	v_add_co_u32 v33, s0, s12, v29
	s_delay_alu instid0(VALU_DEP_1) | instskip(SKIP_1) | instid1(VALU_DEP_1)
	v_add_co_ci_u32_e64 v34, s0, s13, v30, s0
	v_add_co_u32 v29, s0, s14, v29
	v_add_co_ci_u32_e64 v30, s0, s15, v30, s0
	global_store_b32 v[31:32], v28, off
	global_store_b32 v[33:34], v35, off
	;; [unrolled: 1-line block ×3, first 2 shown]
	s_or_b32 exec_lo, exec_lo, s3
	s_add_i32 s6, s6, 1
	s_delay_alu instid0(SALU_CYCLE_1)
	s_cmp_ge_i32 s6, s8
	s_cbranch_scc1 .LBB286_9
.LBB286_33:                             ;   in Loop: Header=BB286_10 Depth=1
	v_ashrrev_i32_e32 v28, 31, v27
	s_mov_b32 s1, exec_lo
	s_delay_alu instid0(VALU_DEP_1) | instskip(NEXT) | instid1(VALU_DEP_1)
	v_lshrrev_b32_e32 v29, 29, v28
	v_add_nc_u32_e32 v29, v27, v29
	s_waitcnt lgkmcnt(1)
	s_delay_alu instid0(VALU_DEP_1) | instskip(SKIP_1) | instid1(VALU_DEP_2)
	v_ashrrev_i32_e32 v30, 31, v29
	v_ashrrev_i32_e32 v29, 3, v29
	v_lshrrev_b32_e32 v30, 27, v30
	s_delay_alu instid0(VALU_DEP_1) | instskip(NEXT) | instid1(VALU_DEP_1)
	v_add_nc_u32_e32 v30, v29, v30
	v_and_b32_e32 v30, 0xffffffe0, v30
	s_delay_alu instid0(VALU_DEP_1) | instskip(NEXT) | instid1(VALU_DEP_1)
	v_sub_nc_u32_e32 v30, v29, v30
	v_cmpx_eq_u32_e64 v17, v30
	s_cbranch_execz .LBB286_8
; %bb.34:                               ;   in Loop: Header=BB286_10 Depth=1
	v_lshrrev_b32_e32 v28, 24, v28
	v_lshlrev_b32_e32 v29, 3, v29
	s_delay_alu instid0(VALU_DEP_2) | instskip(NEXT) | instid1(VALU_DEP_2)
	v_add_nc_u32_e32 v28, v27, v28
	v_sub_nc_u32_e32 v27, v27, v29
	s_delay_alu instid0(VALU_DEP_2) | instskip(NEXT) | instid1(VALU_DEP_1)
	v_ashrrev_i32_e32 v28, 8, v28
	v_lshl_add_u32 v27, v28, 3, v27
	s_delay_alu instid0(VALU_DEP_1) | instskip(NEXT) | instid1(VALU_DEP_1)
	v_cmp_ne_u32_e64 s0, 7, v27
	v_cndmask_b32_e64 v15, 0xc61c4000, v15, s0
	v_cmp_ne_u32_e64 s0, 6, v27
	s_delay_alu instid0(VALU_DEP_1) | instskip(SKIP_1) | instid1(VALU_DEP_1)
	v_cndmask_b32_e64 v14, 0xc61c4000, v14, s0
	v_cmp_ne_u32_e64 s0, 5, v27
	v_cndmask_b32_e64 v13, 0xc61c4000, v13, s0
	v_cmp_ne_u32_e64 s0, 4, v27
	s_delay_alu instid0(VALU_DEP_1) | instskip(SKIP_1) | instid1(VALU_DEP_1)
	v_cndmask_b32_e64 v12, 0xc61c4000, v12, s0
	;; [unrolled: 5-line block ×3, first 2 shown]
	v_cmp_ne_u32_e64 s0, 1, v27
	v_cndmask_b32_e64 v9, 0xc61c4000, v9, s0
	v_cmp_ne_u32_e64 s0, 0, v27
	s_delay_alu instid0(VALU_DEP_1)
	v_cndmask_b32_e64 v8, 0xc61c4000, v8, s0
	s_branch .LBB286_8
.LBB286_35:
                                        ; implicit-def: $vgpr8_vgpr9_vgpr10_vgpr11_vgpr12_vgpr13_vgpr14_vgpr15
	s_and_not1_b32 vcc_lo, exec_lo, s9
	s_cbranch_vccz .LBB286_5
	s_branch .LBB286_6
.LBB286_36:
	v_mov_b32_e32 v20, 0
.LBB286_37:
	v_cmp_eq_u32_e64 s0, 0, v17
	s_delay_alu instid0(VALU_DEP_1) | instskip(NEXT) | instid1(SALU_CYCLE_1)
	s_and_b32 s0, s0, vcc_lo
	s_and_b32 exec_lo, exec_lo, s0
	s_cbranch_execz .LBB286_41
; %bb.38:
	s_and_not1_b32 vcc_lo, exec_lo, s5
	s_cbranch_vccnz .LBB286_41
; %bb.39:
	v_mul_lo_u32 v0, v16, s8
	v_cmp_lt_f32_e32 vcc_lo, 0, v20
	v_cndmask_b32_e32 v2, 1.0, v20, vcc_lo
	s_delay_alu instid0(VALU_DEP_3) | instskip(NEXT) | instid1(VALU_DEP_1)
	v_ashrrev_i32_e32 v1, 31, v0
	v_lshlrev_b64 v[0:1], 2, v[0:1]
	s_delay_alu instid0(VALU_DEP_1) | instskip(NEXT) | instid1(VALU_DEP_2)
	v_add_co_u32 v0, vcc_lo, s16, v0
	v_add_co_ci_u32_e32 v1, vcc_lo, s17, v1, vcc_lo
	.p2align	6
.LBB286_40:                             ; =>This Inner Loop Header: Depth=1
	global_load_b32 v3, v[0:1], off
	s_add_i32 s8, s8, -1
	s_delay_alu instid0(SALU_CYCLE_1) | instskip(SKIP_3) | instid1(VALU_DEP_2)
	s_cmp_lg_u32 s8, 0
	s_waitcnt vmcnt(0)
	v_div_scale_f32 v4, null, v2, v2, v3
	v_div_scale_f32 v7, vcc_lo, v3, v2, v3
	v_rcp_f32_e32 v5, v4
	s_waitcnt_depctr 0xfff
	v_fma_f32 v6, -v4, v5, 1.0
	s_delay_alu instid0(VALU_DEP_1) | instskip(NEXT) | instid1(VALU_DEP_1)
	v_fmac_f32_e32 v5, v6, v5
	v_mul_f32_e32 v6, v7, v5
	s_delay_alu instid0(VALU_DEP_1) | instskip(NEXT) | instid1(VALU_DEP_1)
	v_fma_f32 v8, -v4, v6, v7
	v_fmac_f32_e32 v6, v8, v5
	s_delay_alu instid0(VALU_DEP_1) | instskip(NEXT) | instid1(VALU_DEP_1)
	v_fma_f32 v4, -v4, v6, v7
	v_div_fmas_f32 v4, v4, v5, v6
	s_delay_alu instid0(VALU_DEP_1)
	v_div_fixup_f32 v3, v4, v2, v3
	global_store_b32 v[0:1], v3, off
	v_add_co_u32 v0, vcc_lo, v0, 4
	v_add_co_ci_u32_e32 v1, vcc_lo, 0, v1, vcc_lo
	s_cbranch_scc1 .LBB286_40
.LBB286_41:
	s_nop 0
	s_sendmsg sendmsg(MSG_DEALLOC_VGPRS)
	s_endpgm
	.section	.rodata,"a",@progbits
	.p2align	6, 0x0
	.amdhsa_kernel _ZN4vllm3moe10topkGatingILi8ELi256ELi4ELi16ELi64Ej6__halfLNS0_11ScoringFuncE1EEEvPKT5_PKbPfiPT4_PiiiibPKf
		.amdhsa_group_segment_fixed_size 0
		.amdhsa_private_segment_fixed_size 0
		.amdhsa_kernarg_size 72
		.amdhsa_user_sgpr_count 15
		.amdhsa_user_sgpr_dispatch_ptr 0
		.amdhsa_user_sgpr_queue_ptr 0
		.amdhsa_user_sgpr_kernarg_segment_ptr 1
		.amdhsa_user_sgpr_dispatch_id 0
		.amdhsa_user_sgpr_private_segment_size 0
		.amdhsa_wavefront_size32 1
		.amdhsa_uses_dynamic_stack 0
		.amdhsa_enable_private_segment 0
		.amdhsa_system_sgpr_workgroup_id_x 1
		.amdhsa_system_sgpr_workgroup_id_y 0
		.amdhsa_system_sgpr_workgroup_id_z 0
		.amdhsa_system_sgpr_workgroup_info 0
		.amdhsa_system_vgpr_workitem_id 1
		.amdhsa_next_free_vgpr 47
		.amdhsa_next_free_sgpr 20
		.amdhsa_reserve_vcc 1
		.amdhsa_float_round_mode_32 0
		.amdhsa_float_round_mode_16_64 0
		.amdhsa_float_denorm_mode_32 3
		.amdhsa_float_denorm_mode_16_64 3
		.amdhsa_dx10_clamp 1
		.amdhsa_ieee_mode 1
		.amdhsa_fp16_overflow 0
		.amdhsa_workgroup_processor_mode 1
		.amdhsa_memory_ordered 1
		.amdhsa_forward_progress 0
		.amdhsa_shared_vgpr_count 0
		.amdhsa_exception_fp_ieee_invalid_op 0
		.amdhsa_exception_fp_denorm_src 0
		.amdhsa_exception_fp_ieee_div_zero 0
		.amdhsa_exception_fp_ieee_overflow 0
		.amdhsa_exception_fp_ieee_underflow 0
		.amdhsa_exception_fp_ieee_inexact 0
		.amdhsa_exception_int_div_zero 0
	.end_amdhsa_kernel
	.section	.text._ZN4vllm3moe10topkGatingILi8ELi256ELi4ELi16ELi64Ej6__halfLNS0_11ScoringFuncE1EEEvPKT5_PKbPfiPT4_PiiiibPKf,"axG",@progbits,_ZN4vllm3moe10topkGatingILi8ELi256ELi4ELi16ELi64Ej6__halfLNS0_11ScoringFuncE1EEEvPKT5_PKbPfiPT4_PiiiibPKf,comdat
.Lfunc_end286:
	.size	_ZN4vllm3moe10topkGatingILi8ELi256ELi4ELi16ELi64Ej6__halfLNS0_11ScoringFuncE1EEEvPKT5_PKbPfiPT4_PiiiibPKf, .Lfunc_end286-_ZN4vllm3moe10topkGatingILi8ELi256ELi4ELi16ELi64Ej6__halfLNS0_11ScoringFuncE1EEEvPKT5_PKbPfiPT4_PiiiibPKf
                                        ; -- End function
	.section	.AMDGPU.csdata,"",@progbits
; Kernel info:
; codeLenInByte = 3220
; NumSgprs: 22
; NumVgprs: 47
; ScratchSize: 0
; MemoryBound: 0
; FloatMode: 240
; IeeeMode: 1
; LDSByteSize: 0 bytes/workgroup (compile time only)
; SGPRBlocks: 2
; VGPRBlocks: 5
; NumSGPRsForWavesPerEU: 22
; NumVGPRsForWavesPerEU: 47
; Occupancy: 16
; WaveLimiterHint : 0
; COMPUTE_PGM_RSRC2:SCRATCH_EN: 0
; COMPUTE_PGM_RSRC2:USER_SGPR: 15
; COMPUTE_PGM_RSRC2:TRAP_HANDLER: 0
; COMPUTE_PGM_RSRC2:TGID_X_EN: 1
; COMPUTE_PGM_RSRC2:TGID_Y_EN: 0
; COMPUTE_PGM_RSRC2:TGID_Z_EN: 0
; COMPUTE_PGM_RSRC2:TIDIG_COMP_CNT: 1
	.section	.text._ZN4vllm3moe10topkGatingILi8ELi256ELi4ELi16ELi32Ej6__halfLNS0_11ScoringFuncE1EEEvPKT5_PKbPfiPT4_PiiiibPKf,"axG",@progbits,_ZN4vllm3moe10topkGatingILi8ELi256ELi4ELi16ELi32Ej6__halfLNS0_11ScoringFuncE1EEEvPKT5_PKbPfiPT4_PiiiibPKf,comdat
	.protected	_ZN4vllm3moe10topkGatingILi8ELi256ELi4ELi16ELi32Ej6__halfLNS0_11ScoringFuncE1EEEvPKT5_PKbPfiPT4_PiiiibPKf ; -- Begin function _ZN4vllm3moe10topkGatingILi8ELi256ELi4ELi16ELi32Ej6__halfLNS0_11ScoringFuncE1EEEvPKT5_PKbPfiPT4_PiiiibPKf
	.globl	_ZN4vllm3moe10topkGatingILi8ELi256ELi4ELi16ELi32Ej6__halfLNS0_11ScoringFuncE1EEEvPKT5_PKbPfiPT4_PiiiibPKf
	.p2align	8
	.type	_ZN4vllm3moe10topkGatingILi8ELi256ELi4ELi16ELi32Ej6__halfLNS0_11ScoringFuncE1EEEvPKT5_PKbPfiPT4_PiiiibPKf,@function
_ZN4vllm3moe10topkGatingILi8ELi256ELi4ELi16ELi32Ej6__halfLNS0_11ScoringFuncE1EEEvPKT5_PKbPfiPT4_PiiiibPKf: ; @_ZN4vllm3moe10topkGatingILi8ELi256ELi4ELi16ELi32Ej6__halfLNS0_11ScoringFuncE1EEEvPKT5_PKbPfiPT4_PiiiibPKf
; %bb.0:
	s_load_b32 s18, s[0:1], 0x18
	v_and_b32_e32 v1, 0x3ff, v0
	v_bfe_u32 v0, v0, 10, 10
	s_lshl_b32 s2, s15, 2
	s_delay_alu instid0(VALU_DEP_2) | instskip(NEXT) | instid1(VALU_DEP_1)
	v_lshrrev_b32_e32 v2, 5, v1
	v_add3_u32 v16, s2, v0, v2
	s_mov_b32 s2, exec_lo
	s_waitcnt lgkmcnt(0)
	s_delay_alu instid0(VALU_DEP_1)
	v_cmpx_gt_i32_e64 s18, v16
	s_cbranch_execz .LBB287_41
; %bb.1:
	s_clause 0x1
	s_load_b128 s[4:7], s[0:1], 0x0
	s_load_b64 s[16:17], s[0:1], 0x10
	s_mov_b32 s9, -1
	s_mov_b32 s19, -1
	s_waitcnt lgkmcnt(0)
	s_cmp_eq_u64 s[6:7], 0
	s_cbranch_scc1 .LBB287_3
; %bb.2:
	v_ashrrev_i32_e32 v0, 31, v16
	v_add_co_u32 v2, vcc_lo, s6, v16
	s_delay_alu instid0(VALU_DEP_2) | instskip(SKIP_3) | instid1(VALU_DEP_1)
	v_add_co_ci_u32_e32 v3, vcc_lo, s7, v0, vcc_lo
	global_load_u8 v0, v[2:3], off
	s_waitcnt vmcnt(0)
	v_and_b32_e32 v0, 1, v0
	v_cmp_eq_u32_e32 vcc_lo, 1, v0
	s_xor_b32 s2, vcc_lo, -1
	s_delay_alu instid0(SALU_CYCLE_1)
	s_or_not1_b32 s19, s2, exec_lo
.LBB287_3:
	v_lshlrev_b32_e32 v2, 8, v16
	v_and_b32_e32 v17, 31, v1
	s_load_b64 s[10:11], s[0:1], 0x40
	s_delay_alu instid0(VALU_DEP_2) | instskip(NEXT) | instid1(VALU_DEP_1)
	v_ashrrev_i32_e32 v3, 31, v2
	v_lshlrev_b64 v[0:1], 1, v[2:3]
	s_delay_alu instid0(VALU_DEP_3) | instskip(NEXT) | instid1(VALU_DEP_2)
	v_lshlrev_b32_e32 v2, 4, v17
	v_add_co_u32 v0, vcc_lo, s4, v0
	s_delay_alu instid0(VALU_DEP_3) | instskip(NEXT) | instid1(VALU_DEP_2)
	v_add_co_ci_u32_e32 v1, vcc_lo, s5, v1, vcc_lo
	v_add_co_u32 v0, vcc_lo, v0, v2
	s_delay_alu instid0(VALU_DEP_2)
	v_add_co_ci_u32_e32 v1, vcc_lo, 0, v1, vcc_lo
	s_waitcnt lgkmcnt(0)
	s_cmp_eq_u64 s[10:11], 0
	global_load_b128 v[0:3], v[0:1], off
	s_waitcnt vmcnt(0)
	v_cvt_f32_f16_e32 v4, v0
	v_cvt_f32_f16_e32 v5, v1
	v_lshrrev_b32_e32 v1, 16, v1
	v_lshrrev_b32_e32 v0, 16, v0
	v_cvt_f32_f16_e32 v6, v2
	v_cvt_f32_f16_e32 v7, v3
	v_lshrrev_b32_e32 v3, 16, v3
	v_cvt_f32_f16_e32 v1, v1
	v_mul_f32_e32 v4, 0xbfb8aa3b, v4
	v_cvt_f32_f16_e32 v0, v0
	v_mul_f32_e32 v7, 0xbfb8aa3b, v7
	v_cvt_f32_f16_e32 v3, v3
	v_dual_mul_f32 v6, 0xbfb8aa3b, v6 :: v_dual_mul_f32 v1, 0xbfb8aa3b, v1
	v_exp_f32_e32 v4, v4
	s_delay_alu instid0(VALU_DEP_2) | instskip(NEXT) | instid1(VALU_DEP_2)
	v_dual_mul_f32 v0, 0xbfb8aa3b, v0 :: v_dual_mul_f32 v3, 0xbfb8aa3b, v3
	v_exp_f32_e32 v6, v6
	s_delay_alu instid0(VALU_DEP_2)
	v_exp_f32_e32 v1, v1
	v_lshrrev_b32_e32 v2, 16, v2
	v_mul_f32_e32 v5, 0xbfb8aa3b, v5
	v_exp_f32_e32 v3, v3
	v_exp_f32_e32 v7, v7
	;; [unrolled: 1-line block ×3, first 2 shown]
	v_add_f32_e32 v4, 1.0, v4
	v_cvt_f32_f16_e32 v2, v2
	v_exp_f32_e32 v5, v5
	v_dual_add_f32 v6, 1.0, v6 :: v_dual_add_f32 v1, 1.0, v1
	s_delay_alu instid0(VALU_DEP_3) | instskip(NEXT) | instid1(VALU_DEP_3)
	v_div_scale_f32 v8, null, v4, v4, 1.0
	v_dual_add_f32 v19, 1.0, v3 :: v_dual_mul_f32 v2, 0xbfb8aa3b, v2
	s_delay_alu instid0(VALU_DEP_3) | instskip(NEXT) | instid1(VALU_DEP_3)
	v_div_scale_f32 v12, null, v6, v6, 1.0
	v_rcp_f32_e32 v3, v8
	s_waitcnt_depctr 0xfff
	v_add_f32_e32 v5, 1.0, v5
	v_exp_f32_e32 v2, v2
	v_rcp_f32_e32 v25, v12
	v_dual_add_f32 v7, 1.0, v7 :: v_dual_lshlrev_b32 v18, 3, v17
	s_delay_alu instid0(VALU_DEP_2) | instskip(SKIP_3) | instid1(VALU_DEP_4)
	v_div_scale_f32 v10, null, v5, v5, 1.0
	v_div_scale_f32 v29, null, v19, v19, 1.0
	v_fma_f32 v34, -v8, v3, 1.0
	v_add_f32_e32 v0, 1.0, v0
	v_rcp_f32_e32 v22, v10
	s_delay_alu instid0(TRANS32_DEP_2) | instskip(NEXT) | instid1(TRANS32_DEP_3)
	v_fma_f32 v37, -v12, v25, 1.0
	v_add_f32_e32 v14, 1.0, v2
	v_div_scale_f32 v2, null, v7, v7, 1.0
	v_fmac_f32_e32 v3, v34, v3
	s_delay_alu instid0(VALU_DEP_4) | instskip(SKIP_3) | instid1(VALU_DEP_2)
	v_fmac_f32_e32 v25, v37, v25
	v_div_scale_f32 v20, null, v0, v0, 1.0
	v_div_scale_f32 v26, null, v14, v14, 1.0
	v_rcp_f32_e32 v28, v2
	v_rcp_f32_e32 v30, v20
	v_div_scale_f32 v23, null, v1, v1, 1.0
	s_delay_alu instid0(VALU_DEP_2) | instskip(SKIP_2) | instid1(VALU_DEP_2)
	v_rcp_f32_e32 v33, v26
	v_rcp_f32_e32 v35, v29
	v_div_scale_f32 v9, vcc_lo, 1.0, v4, 1.0
	v_rcp_f32_e32 v32, v23
	v_fma_f32 v36, -v10, v22, 1.0
	v_fma_f32 v38, -v2, v28, 1.0
	;; [unrolled: 1-line block ×3, first 2 shown]
	v_div_scale_f32 v11, s2, 1.0, v5, 1.0
	v_div_scale_f32 v15, s4, 1.0, v7, 1.0
	;; [unrolled: 1-line block ×3, first 2 shown]
	v_dual_fmac_f32 v22, v36, v22 :: v_dual_mul_f32 v39, v9, v3
	v_fma_f32 v37, -v26, v33, 1.0
	v_fmac_f32_e32 v28, v38, v28
	v_fma_f32 v38, -v29, v35, 1.0
	v_fmac_f32_e32 v30, v34, v30
	v_fma_f32 v36, -v23, v32, 1.0
	v_dual_mul_f32 v34, v11, v22 :: v_dual_fmac_f32 v33, v37, v33
	s_delay_alu instid0(VALU_DEP_4)
	v_fmac_f32_e32 v35, v38, v35
	v_mul_f32_e32 v37, v15, v28
	v_fma_f32 v38, -v8, v39, v9
	v_mul_f32_e32 v40, v21, v30
	v_fmac_f32_e32 v32, v36, v32
	v_div_scale_f32 v24, s6, 1.0, v1, 1.0
	s_delay_alu instid0(VALU_DEP_4) | instskip(NEXT) | instid1(VALU_DEP_4)
	v_fmac_f32_e32 v39, v38, v3
	v_fma_f32 v38, -v20, v40, v21
	v_div_scale_f32 v13, s3, 1.0, v6, 1.0
	v_fma_f32 v41, -v10, v34, v11
	s_delay_alu instid0(VALU_DEP_4) | instskip(NEXT) | instid1(VALU_DEP_4)
	v_fma_f32 v8, -v8, v39, v9
	v_fmac_f32_e32 v40, v38, v30
	v_mul_f32_e32 v42, v24, v32
	v_div_scale_f32 v27, s7, 1.0, v14, 1.0
	s_delay_alu instid0(VALU_DEP_4) | instskip(NEXT) | instid1(VALU_DEP_4)
	v_div_fmas_f32 v3, v8, v3, v39
	v_fma_f32 v8, -v20, v40, v21
	s_mov_b32 vcc_lo, s5
	v_fmac_f32_e32 v34, v41, v22
	v_fma_f32 v41, -v23, v42, v24
	v_div_fixup_f32 v3, v3, v4, 1.0
	v_div_fmas_f32 v4, v8, v30, v40
	v_fma_f32 v45, -v2, v37, v15
	v_mul_f32_e32 v44, v27, v33
	v_fmac_f32_e32 v42, v41, v32
	v_div_scale_f32 v31, s8, 1.0, v19, 1.0
	s_delay_alu instid0(VALU_DEP_4)
	v_fmac_f32_e32 v37, v45, v28
	v_div_fixup_f32 v4, v4, v0, 1.0
	v_mul_f32_e32 v36, v13, v25
	v_fma_f32 v9, -v10, v34, v11
	v_fma_f32 v11, -v23, v42, v24
	s_mov_b32 vcc_lo, s2
	v_mul_f32_e32 v46, v31, v35
	v_fma_f32 v43, -v12, v36, v13
	v_div_fmas_f32 v8, v9, v22, v34
	s_mov_b32 vcc_lo, s6
	v_fma_f32 v2, -v2, v37, v15
	v_div_fmas_f32 v9, v11, v32, v42
	v_fmac_f32_e32 v36, v43, v25
	v_fma_f32 v43, -v26, v44, v27
	v_cmp_class_f32_e64 vcc_lo, v3, 0x1f8
	v_fma_f32 v45, -v29, v46, v31
	v_div_fixup_f32 v5, v8, v5, 1.0
	v_fma_f32 v10, -v12, v36, v13
	v_fmac_f32_e32 v44, v43, v33
	v_cndmask_b32_e32 v0, 0, v3, vcc_lo
	s_mov_b32 vcc_lo, s3
	v_fmac_f32_e32 v46, v45, v35
	v_div_fmas_f32 v3, v10, v25, v36
	v_fma_f32 v12, -v26, v44, v27
	s_mov_b32 vcc_lo, s7
	v_div_fixup_f32 v9, v9, v1, 1.0
	v_fma_f32 v13, -v29, v46, v31
	s_delay_alu instid0(VALU_DEP_3) | instskip(SKIP_3) | instid1(VALU_DEP_2)
	v_div_fmas_f32 v8, v12, v33, v44
	s_mov_b32 vcc_lo, s4
	v_div_fmas_f32 v10, v2, v28, v37
	v_cmp_class_f32_e64 vcc_lo, v4, 0x1f8
	v_div_fixup_f32 v7, v10, v7, 1.0
	v_cndmask_b32_e32 v1, 0, v4, vcc_lo
	s_mov_b32 vcc_lo, s8
	v_div_fixup_f32 v4, v3, v6, 1.0
	v_div_fmas_f32 v6, v13, v35, v46
	v_cmp_class_f32_e64 vcc_lo, v5, 0x1f8
	v_cndmask_b32_e32 v2, 0, v5, vcc_lo
	v_cmp_class_f32_e64 vcc_lo, v9, 0x1f8
	v_div_fixup_f32 v5, v8, v14, 1.0
	v_div_fixup_f32 v8, v6, v19, 1.0
	v_cndmask_b32_e32 v3, 0, v9, vcc_lo
	v_cmp_class_f32_e64 vcc_lo, v4, 0x1f8
	v_cndmask_b32_e32 v4, 0, v4, vcc_lo
	v_cmp_class_f32_e64 vcc_lo, v5, 0x1f8
	;; [unrolled: 2-line block ×4, first 2 shown]
	v_cndmask_b32_e32 v7, 0, v8, vcc_lo
	s_cbranch_scc1 .LBB287_35
; %bb.4:
	v_lshlrev_b32_e32 v12, 2, v18
	s_clause 0x1
	global_load_b128 v[8:11], v12, s[10:11]
	global_load_b128 v[12:15], v12, s[10:11] offset:16
	s_waitcnt vmcnt(1)
	v_dual_add_f32 v9, v9, v1 :: v_dual_add_f32 v8, v8, v0
	v_dual_add_f32 v11, v11, v3 :: v_dual_add_f32 v10, v10, v2
	s_waitcnt vmcnt(0)
	v_dual_add_f32 v13, v13, v5 :: v_dual_add_f32 v12, v12, v4
	v_dual_add_f32 v15, v15, v7 :: v_dual_add_f32 v14, v14, v6
	s_cbranch_execnz .LBB287_6
.LBB287_5:
	v_dual_mov_b32 v15, v7 :: v_dual_mov_b32 v14, v6
	v_dual_mov_b32 v13, v5 :: v_dual_mov_b32 v12, v4
	;; [unrolled: 1-line block ×4, first 2 shown]
.LBB287_6:
	s_load_b128 s[8:11], s[0:1], 0x30
	v_cmp_eq_u32_e64 s2, 0, v17
	s_mov_b32 s6, 0
	s_waitcnt lgkmcnt(0)
	s_bitcmp1_b32 s11, 0
	s_cselect_b32 vcc_lo, -1, 0
	s_cmp_gt_i32 s8, 0
	s_cselect_b32 s5, -1, 0
	s_cmp_lt_i32 s8, 1
	s_cbranch_scc1 .LBB287_36
; %bb.7:
	v_mbcnt_lo_u32_b32 v20, -1, 0
	s_load_b128 s[12:15], s[0:1], 0x20
	v_mul_lo_u32 v19, v16, s8
	v_mov_b32_e32 v26, v16
	s_delay_alu instid0(VALU_DEP_3)
	v_xor_b32_e32 v21, 16, v20
	v_xor_b32_e32 v22, 8, v20
	;; [unrolled: 1-line block ×5, first 2 shown]
	v_cmp_gt_i32_e64 s0, 32, v21
	s_delay_alu instid0(VALU_DEP_1) | instskip(SKIP_1) | instid1(VALU_DEP_2)
	v_cndmask_b32_e64 v21, v20, v21, s0
	v_cmp_gt_i32_e64 s0, 32, v22
	v_lshlrev_b32_e32 v21, 2, v21
	s_delay_alu instid0(VALU_DEP_2) | instskip(SKIP_1) | instid1(VALU_DEP_2)
	v_cndmask_b32_e64 v22, v20, v22, s0
	v_cmp_gt_i32_e64 s0, 32, v23
	v_lshlrev_b32_e32 v22, 2, v22
	s_delay_alu instid0(VALU_DEP_2) | instskip(SKIP_1) | instid1(VALU_DEP_2)
	;; [unrolled: 4-line block ×3, first 2 shown]
	v_cndmask_b32_e64 v24, v20, v24, s0
	v_cmp_gt_i32_e64 s0, 32, v25
	v_lshlrev_b32_e32 v24, 2, v24
	s_delay_alu instid0(VALU_DEP_2) | instskip(NEXT) | instid1(VALU_DEP_1)
	v_cndmask_b32_e64 v20, v20, v25, s0
	v_dual_mov_b32 v20, 0 :: v_dual_lshlrev_b32 v25, 2, v20
	s_branch .LBB287_10
.LBB287_8:                              ;   in Loop: Header=BB287_10 Depth=1
	s_or_b32 exec_lo, exec_lo, s1
.LBB287_9:                              ;   in Loop: Header=BB287_10 Depth=1
	v_add_nc_u32_e32 v26, s18, v26
	s_cmp_eq_u32 s8, s6
	s_cbranch_scc1 .LBB287_37
.LBB287_10:                             ; =>This Inner Loop Header: Depth=1
	v_cmp_gt_f32_e64 s0, v9, v8
	s_delay_alu instid0(VALU_DEP_1) | instskip(SKIP_2) | instid1(VALU_DEP_3)
	v_cndmask_b32_e64 v28, v8, v9, s0
	v_cndmask_b32_e64 v27, 0, 1, s0
	;; [unrolled: 1-line block ×3, first 2 shown]
	v_cmp_gt_f32_e64 s1, v10, v28
	s_delay_alu instid0(VALU_DEP_1) | instskip(NEXT) | instid1(VALU_DEP_4)
	v_cndmask_b32_e64 v28, v28, v10, s1
	v_cndmask_b32_e64 v27, v27, 2, s1
	s_delay_alu instid0(VALU_DEP_4) | instskip(NEXT) | instid1(VALU_DEP_3)
	v_cndmask_b32_e64 v29, v29, v2, s1
	v_cmp_gt_f32_e64 s3, v11, v28
	s_delay_alu instid0(VALU_DEP_1) | instskip(NEXT) | instid1(VALU_DEP_4)
	v_cndmask_b32_e64 v28, v28, v11, s3
	v_cndmask_b32_e64 v27, v27, 3, s3
	s_delay_alu instid0(VALU_DEP_4) | instskip(NEXT) | instid1(VALU_DEP_3)
	v_cndmask_b32_e64 v29, v29, v3, s3
	v_cmp_gt_f32_e64 s4, v12, v28
	s_delay_alu instid0(VALU_DEP_1) | instskip(NEXT) | instid1(VALU_DEP_4)
	v_cndmask_b32_e64 v28, v28, v12, s4
	v_cndmask_b32_e64 v27, v27, 4, s4
	s_delay_alu instid0(VALU_DEP_4) | instskip(SKIP_1) | instid1(VALU_DEP_3)
	v_cndmask_b32_e64 v29, v29, v4, s4
	s_mov_b32 s4, exec_lo
	v_cmp_gt_f32_e64 s0, v13, v28
	s_delay_alu instid0(VALU_DEP_1) | instskip(SKIP_2) | instid1(VALU_DEP_3)
	v_cndmask_b32_e64 v28, v28, v13, s0
	v_cndmask_b32_e64 v27, v27, 5, s0
	;; [unrolled: 1-line block ×3, first 2 shown]
	v_cmp_gt_f32_e64 s1, v14, v28
	s_delay_alu instid0(VALU_DEP_1) | instskip(NEXT) | instid1(VALU_DEP_4)
	v_cndmask_b32_e64 v28, v28, v14, s1
	v_cndmask_b32_e64 v27, v27, 6, s1
	s_waitcnt lgkmcnt(0)
	v_cndmask_b32_e64 v30, v29, v6, s1
	s_delay_alu instid0(VALU_DEP_3) | instskip(NEXT) | instid1(VALU_DEP_1)
	v_cmp_gt_f32_e64 s0, v15, v28
	v_cndmask_b32_e64 v27, v27, 7, s0
	v_cndmask_b32_e64 v29, v28, v15, s0
	s_delay_alu instid0(VALU_DEP_4) | instskip(NEXT) | instid1(VALU_DEP_3)
	v_cndmask_b32_e64 v28, v30, v7, s0
	v_or_b32_e32 v27, v18, v27
	ds_bpermute_b32 v30, v21, v29
	ds_bpermute_b32 v32, v21, v28
	;; [unrolled: 1-line block ×3, first 2 shown]
	s_waitcnt lgkmcnt(0)
	v_cmp_lt_f32_e64 s3, v29, v30
	v_cmpx_nlt_f32_e32 v29, v30
; %bb.11:                               ;   in Loop: Header=BB287_10 Depth=1
	v_cmp_eq_f32_e64 s0, v29, v30
	v_cmp_lt_i32_e64 s1, v31, v27
	s_delay_alu instid0(VALU_DEP_1) | instskip(SKIP_2) | instid1(SALU_CYCLE_1)
	s_and_b32 s0, s0, s1
	s_and_not1_b32 s1, s3, exec_lo
	s_and_b32 s0, s0, exec_lo
	s_or_b32 s3, s1, s0
; %bb.12:                               ;   in Loop: Header=BB287_10 Depth=1
	s_or_b32 exec_lo, exec_lo, s4
	s_and_saveexec_b32 s0, s3
; %bb.13:                               ;   in Loop: Header=BB287_10 Depth=1
	v_dual_mov_b32 v28, v32 :: v_dual_mov_b32 v29, v30
	v_mov_b32_e32 v27, v31
; %bb.14:                               ;   in Loop: Header=BB287_10 Depth=1
	s_or_b32 exec_lo, exec_lo, s0
	ds_bpermute_b32 v30, v22, v29
	ds_bpermute_b32 v32, v22, v28
	;; [unrolled: 1-line block ×3, first 2 shown]
	s_mov_b32 s4, exec_lo
	s_waitcnt lgkmcnt(2)
	v_cmp_lt_f32_e64 s3, v29, v30
	v_cmpx_nlt_f32_e32 v29, v30
	s_cbranch_execz .LBB287_16
; %bb.15:                               ;   in Loop: Header=BB287_10 Depth=1
	v_cmp_eq_f32_e64 s0, v29, v30
	s_waitcnt lgkmcnt(0)
	v_cmp_lt_i32_e64 s1, v31, v27
	s_delay_alu instid0(VALU_DEP_1) | instskip(SKIP_2) | instid1(SALU_CYCLE_1)
	s_and_b32 s0, s0, s1
	s_and_not1_b32 s1, s3, exec_lo
	s_and_b32 s0, s0, exec_lo
	s_or_b32 s3, s1, s0
.LBB287_16:                             ;   in Loop: Header=BB287_10 Depth=1
	s_or_b32 exec_lo, exec_lo, s4
	s_delay_alu instid0(VALU_DEP_2)
	s_and_saveexec_b32 s0, s3
	s_cbranch_execz .LBB287_18
; %bb.17:                               ;   in Loop: Header=BB287_10 Depth=1
	s_waitcnt lgkmcnt(1)
	v_dual_mov_b32 v28, v32 :: v_dual_mov_b32 v29, v30
	s_waitcnt lgkmcnt(0)
	v_mov_b32_e32 v27, v31
.LBB287_18:                             ;   in Loop: Header=BB287_10 Depth=1
	s_or_b32 exec_lo, exec_lo, s0
	ds_bpermute_b32 v30, v23, v29
	s_waitcnt lgkmcnt(2)
	ds_bpermute_b32 v32, v23, v28
	s_waitcnt lgkmcnt(2)
	ds_bpermute_b32 v31, v23, v27
	s_mov_b32 s4, exec_lo
	s_waitcnt lgkmcnt(2)
	v_cmp_lt_f32_e64 s3, v29, v30
	v_cmpx_nlt_f32_e32 v29, v30
	s_cbranch_execz .LBB287_20
; %bb.19:                               ;   in Loop: Header=BB287_10 Depth=1
	v_cmp_eq_f32_e64 s0, v29, v30
	s_waitcnt lgkmcnt(0)
	v_cmp_lt_i32_e64 s1, v31, v27
	s_delay_alu instid0(VALU_DEP_1) | instskip(SKIP_2) | instid1(SALU_CYCLE_1)
	s_and_b32 s0, s0, s1
	s_and_not1_b32 s1, s3, exec_lo
	s_and_b32 s0, s0, exec_lo
	s_or_b32 s3, s1, s0
.LBB287_20:                             ;   in Loop: Header=BB287_10 Depth=1
	s_or_b32 exec_lo, exec_lo, s4
	s_delay_alu instid0(VALU_DEP_2)
	s_and_saveexec_b32 s0, s3
	s_cbranch_execz .LBB287_22
; %bb.21:                               ;   in Loop: Header=BB287_10 Depth=1
	s_waitcnt lgkmcnt(1)
	v_dual_mov_b32 v28, v32 :: v_dual_mov_b32 v29, v30
	s_waitcnt lgkmcnt(0)
	v_mov_b32_e32 v27, v31
.LBB287_22:                             ;   in Loop: Header=BB287_10 Depth=1
	s_or_b32 exec_lo, exec_lo, s0
	ds_bpermute_b32 v30, v24, v29
	s_waitcnt lgkmcnt(2)
	ds_bpermute_b32 v32, v24, v28
	s_waitcnt lgkmcnt(2)
	ds_bpermute_b32 v31, v24, v27
	s_mov_b32 s4, exec_lo
	s_waitcnt lgkmcnt(2)
	v_cmp_lt_f32_e64 s3, v29, v30
	v_cmpx_nlt_f32_e32 v29, v30
	s_cbranch_execz .LBB287_24
; %bb.23:                               ;   in Loop: Header=BB287_10 Depth=1
	v_cmp_eq_f32_e64 s0, v29, v30
	s_waitcnt lgkmcnt(0)
	v_cmp_lt_i32_e64 s1, v31, v27
	s_delay_alu instid0(VALU_DEP_1) | instskip(SKIP_2) | instid1(SALU_CYCLE_1)
	s_and_b32 s0, s0, s1
	s_and_not1_b32 s1, s3, exec_lo
	s_and_b32 s0, s0, exec_lo
	s_or_b32 s3, s1, s0
.LBB287_24:                             ;   in Loop: Header=BB287_10 Depth=1
	s_or_b32 exec_lo, exec_lo, s4
	s_delay_alu instid0(VALU_DEP_2)
	s_and_saveexec_b32 s0, s3
	s_cbranch_execz .LBB287_26
; %bb.25:                               ;   in Loop: Header=BB287_10 Depth=1
	s_waitcnt lgkmcnt(1)
	v_dual_mov_b32 v28, v32 :: v_dual_mov_b32 v29, v30
	s_waitcnt lgkmcnt(0)
	v_mov_b32_e32 v27, v31
.LBB287_26:                             ;   in Loop: Header=BB287_10 Depth=1
	s_or_b32 exec_lo, exec_lo, s0
	s_waitcnt lgkmcnt(1)
	ds_bpermute_b32 v32, v25, v29
	ds_bpermute_b32 v30, v25, v28
	s_waitcnt lgkmcnt(2)
	ds_bpermute_b32 v31, v25, v27
	s_mov_b32 s4, exec_lo
	s_waitcnt lgkmcnt(2)
	v_cmp_lt_f32_e64 s3, v29, v32
	v_cmpx_nlt_f32_e32 v29, v32
	s_cbranch_execnz .LBB287_30
; %bb.27:                               ;   in Loop: Header=BB287_10 Depth=1
	s_or_b32 exec_lo, exec_lo, s4
	s_delay_alu instid0(VALU_DEP_2)
	s_and_saveexec_b32 s0, s3
	s_cbranch_execnz .LBB287_31
.LBB287_28:                             ;   in Loop: Header=BB287_10 Depth=1
	s_or_b32 exec_lo, exec_lo, s0
	s_and_saveexec_b32 s3, s2
	s_cbranch_execnz .LBB287_32
.LBB287_29:                             ;   in Loop: Header=BB287_10 Depth=1
	s_or_b32 exec_lo, exec_lo, s3
	s_add_i32 s6, s6, 1
	s_delay_alu instid0(SALU_CYCLE_1)
	s_cmp_ge_i32 s6, s8
	s_cbranch_scc1 .LBB287_9
	s_branch .LBB287_33
.LBB287_30:                             ;   in Loop: Header=BB287_10 Depth=1
	v_cmp_eq_f32_e64 s0, v29, v32
	s_waitcnt lgkmcnt(0)
	v_cmp_lt_i32_e64 s1, v31, v27
	s_delay_alu instid0(VALU_DEP_1) | instskip(SKIP_2) | instid1(SALU_CYCLE_1)
	s_and_b32 s0, s0, s1
	s_and_not1_b32 s1, s3, exec_lo
	s_and_b32 s0, s0, exec_lo
	s_or_b32 s3, s1, s0
	s_or_b32 exec_lo, exec_lo, s4
	s_and_saveexec_b32 s0, s3
	s_cbranch_execz .LBB287_28
.LBB287_31:                             ;   in Loop: Header=BB287_10 Depth=1
	s_waitcnt lgkmcnt(0)
	v_dual_mov_b32 v27, v31 :: v_dual_mov_b32 v28, v30
	s_or_b32 exec_lo, exec_lo, s0
	s_and_saveexec_b32 s3, s2
	s_cbranch_execz .LBB287_29
.LBB287_32:                             ;   in Loop: Header=BB287_10 Depth=1
	s_delay_alu instid0(VALU_DEP_1)
	v_dual_add_f32 v36, v20, v28 :: v_dual_add_nc_u32 v29, s6, v19
	v_cmp_le_i32_e64 s0, s9, v27
	v_cmp_gt_i32_e64 s1, s10, v27
	s_waitcnt lgkmcnt(0)
	v_subrev_nc_u32_e32 v31, s9, v27
	v_ashrrev_i32_e32 v30, 31, v29
	v_cndmask_b32_e32 v20, v20, v36, vcc_lo
	s_and_b32 s0, s0, s1
	s_delay_alu instid0(SALU_CYCLE_1) | instskip(NEXT) | instid1(VALU_DEP_2)
	s_and_b32 s0, s19, s0
	v_lshlrev_b64 v[29:30], 2, v[29:30]
	v_cndmask_b32_e64 v35, 0x100, v31, s0
	s_delay_alu instid0(VALU_DEP_2) | instskip(NEXT) | instid1(VALU_DEP_1)
	v_add_co_u32 v31, s0, s16, v29
	v_add_co_ci_u32_e64 v32, s0, s17, v30, s0
	v_add_co_u32 v33, s0, s12, v29
	s_delay_alu instid0(VALU_DEP_1) | instskip(SKIP_1) | instid1(VALU_DEP_1)
	v_add_co_ci_u32_e64 v34, s0, s13, v30, s0
	v_add_co_u32 v29, s0, s14, v29
	v_add_co_ci_u32_e64 v30, s0, s15, v30, s0
	global_store_b32 v[31:32], v28, off
	global_store_b32 v[33:34], v35, off
	;; [unrolled: 1-line block ×3, first 2 shown]
	s_or_b32 exec_lo, exec_lo, s3
	s_add_i32 s6, s6, 1
	s_delay_alu instid0(SALU_CYCLE_1)
	s_cmp_ge_i32 s6, s8
	s_cbranch_scc1 .LBB287_9
.LBB287_33:                             ;   in Loop: Header=BB287_10 Depth=1
	v_ashrrev_i32_e32 v28, 31, v27
	s_mov_b32 s1, exec_lo
	s_delay_alu instid0(VALU_DEP_1) | instskip(NEXT) | instid1(VALU_DEP_1)
	v_lshrrev_b32_e32 v29, 29, v28
	v_add_nc_u32_e32 v29, v27, v29
	s_waitcnt lgkmcnt(1)
	s_delay_alu instid0(VALU_DEP_1) | instskip(SKIP_1) | instid1(VALU_DEP_2)
	v_ashrrev_i32_e32 v30, 31, v29
	v_ashrrev_i32_e32 v29, 3, v29
	v_lshrrev_b32_e32 v30, 27, v30
	s_delay_alu instid0(VALU_DEP_1) | instskip(NEXT) | instid1(VALU_DEP_1)
	v_add_nc_u32_e32 v30, v29, v30
	v_and_b32_e32 v30, 0xffffffe0, v30
	s_delay_alu instid0(VALU_DEP_1) | instskip(NEXT) | instid1(VALU_DEP_1)
	v_sub_nc_u32_e32 v30, v29, v30
	v_cmpx_eq_u32_e64 v17, v30
	s_cbranch_execz .LBB287_8
; %bb.34:                               ;   in Loop: Header=BB287_10 Depth=1
	v_lshrrev_b32_e32 v28, 24, v28
	v_lshlrev_b32_e32 v29, 3, v29
	s_delay_alu instid0(VALU_DEP_2) | instskip(NEXT) | instid1(VALU_DEP_2)
	v_add_nc_u32_e32 v28, v27, v28
	v_sub_nc_u32_e32 v27, v27, v29
	s_delay_alu instid0(VALU_DEP_2) | instskip(NEXT) | instid1(VALU_DEP_1)
	v_ashrrev_i32_e32 v28, 8, v28
	v_lshl_add_u32 v27, v28, 3, v27
	s_delay_alu instid0(VALU_DEP_1) | instskip(NEXT) | instid1(VALU_DEP_1)
	v_cmp_ne_u32_e64 s0, 7, v27
	v_cndmask_b32_e64 v15, 0xc61c4000, v15, s0
	v_cmp_ne_u32_e64 s0, 6, v27
	s_delay_alu instid0(VALU_DEP_1) | instskip(SKIP_1) | instid1(VALU_DEP_1)
	v_cndmask_b32_e64 v14, 0xc61c4000, v14, s0
	v_cmp_ne_u32_e64 s0, 5, v27
	v_cndmask_b32_e64 v13, 0xc61c4000, v13, s0
	v_cmp_ne_u32_e64 s0, 4, v27
	s_delay_alu instid0(VALU_DEP_1) | instskip(SKIP_1) | instid1(VALU_DEP_1)
	v_cndmask_b32_e64 v12, 0xc61c4000, v12, s0
	;; [unrolled: 5-line block ×3, first 2 shown]
	v_cmp_ne_u32_e64 s0, 1, v27
	v_cndmask_b32_e64 v9, 0xc61c4000, v9, s0
	v_cmp_ne_u32_e64 s0, 0, v27
	s_delay_alu instid0(VALU_DEP_1)
	v_cndmask_b32_e64 v8, 0xc61c4000, v8, s0
	s_branch .LBB287_8
.LBB287_35:
                                        ; implicit-def: $vgpr8_vgpr9_vgpr10_vgpr11_vgpr12_vgpr13_vgpr14_vgpr15
	s_and_not1_b32 vcc_lo, exec_lo, s9
	s_cbranch_vccz .LBB287_5
	s_branch .LBB287_6
.LBB287_36:
	v_mov_b32_e32 v20, 0
.LBB287_37:
	v_cmp_eq_u32_e64 s0, 0, v17
	s_delay_alu instid0(VALU_DEP_1) | instskip(NEXT) | instid1(SALU_CYCLE_1)
	s_and_b32 s0, s0, vcc_lo
	s_and_b32 exec_lo, exec_lo, s0
	s_cbranch_execz .LBB287_41
; %bb.38:
	s_and_not1_b32 vcc_lo, exec_lo, s5
	s_cbranch_vccnz .LBB287_41
; %bb.39:
	v_mul_lo_u32 v0, v16, s8
	v_cmp_lt_f32_e32 vcc_lo, 0, v20
	v_cndmask_b32_e32 v2, 1.0, v20, vcc_lo
	s_delay_alu instid0(VALU_DEP_3) | instskip(NEXT) | instid1(VALU_DEP_1)
	v_ashrrev_i32_e32 v1, 31, v0
	v_lshlrev_b64 v[0:1], 2, v[0:1]
	s_delay_alu instid0(VALU_DEP_1) | instskip(NEXT) | instid1(VALU_DEP_2)
	v_add_co_u32 v0, vcc_lo, s16, v0
	v_add_co_ci_u32_e32 v1, vcc_lo, s17, v1, vcc_lo
	.p2align	6
.LBB287_40:                             ; =>This Inner Loop Header: Depth=1
	global_load_b32 v3, v[0:1], off
	s_add_i32 s8, s8, -1
	s_delay_alu instid0(SALU_CYCLE_1) | instskip(SKIP_3) | instid1(VALU_DEP_2)
	s_cmp_lg_u32 s8, 0
	s_waitcnt vmcnt(0)
	v_div_scale_f32 v4, null, v2, v2, v3
	v_div_scale_f32 v7, vcc_lo, v3, v2, v3
	v_rcp_f32_e32 v5, v4
	s_waitcnt_depctr 0xfff
	v_fma_f32 v6, -v4, v5, 1.0
	s_delay_alu instid0(VALU_DEP_1) | instskip(NEXT) | instid1(VALU_DEP_1)
	v_fmac_f32_e32 v5, v6, v5
	v_mul_f32_e32 v6, v7, v5
	s_delay_alu instid0(VALU_DEP_1) | instskip(NEXT) | instid1(VALU_DEP_1)
	v_fma_f32 v8, -v4, v6, v7
	v_fmac_f32_e32 v6, v8, v5
	s_delay_alu instid0(VALU_DEP_1) | instskip(NEXT) | instid1(VALU_DEP_1)
	v_fma_f32 v4, -v4, v6, v7
	v_div_fmas_f32 v4, v4, v5, v6
	s_delay_alu instid0(VALU_DEP_1)
	v_div_fixup_f32 v3, v4, v2, v3
	global_store_b32 v[0:1], v3, off
	v_add_co_u32 v0, vcc_lo, v0, 4
	v_add_co_ci_u32_e32 v1, vcc_lo, 0, v1, vcc_lo
	s_cbranch_scc1 .LBB287_40
.LBB287_41:
	s_nop 0
	s_sendmsg sendmsg(MSG_DEALLOC_VGPRS)
	s_endpgm
	.section	.rodata,"a",@progbits
	.p2align	6, 0x0
	.amdhsa_kernel _ZN4vllm3moe10topkGatingILi8ELi256ELi4ELi16ELi32Ej6__halfLNS0_11ScoringFuncE1EEEvPKT5_PKbPfiPT4_PiiiibPKf
		.amdhsa_group_segment_fixed_size 0
		.amdhsa_private_segment_fixed_size 0
		.amdhsa_kernarg_size 72
		.amdhsa_user_sgpr_count 15
		.amdhsa_user_sgpr_dispatch_ptr 0
		.amdhsa_user_sgpr_queue_ptr 0
		.amdhsa_user_sgpr_kernarg_segment_ptr 1
		.amdhsa_user_sgpr_dispatch_id 0
		.amdhsa_user_sgpr_private_segment_size 0
		.amdhsa_wavefront_size32 1
		.amdhsa_uses_dynamic_stack 0
		.amdhsa_enable_private_segment 0
		.amdhsa_system_sgpr_workgroup_id_x 1
		.amdhsa_system_sgpr_workgroup_id_y 0
		.amdhsa_system_sgpr_workgroup_id_z 0
		.amdhsa_system_sgpr_workgroup_info 0
		.amdhsa_system_vgpr_workitem_id 1
		.amdhsa_next_free_vgpr 47
		.amdhsa_next_free_sgpr 20
		.amdhsa_reserve_vcc 1
		.amdhsa_float_round_mode_32 0
		.amdhsa_float_round_mode_16_64 0
		.amdhsa_float_denorm_mode_32 3
		.amdhsa_float_denorm_mode_16_64 3
		.amdhsa_dx10_clamp 1
		.amdhsa_ieee_mode 1
		.amdhsa_fp16_overflow 0
		.amdhsa_workgroup_processor_mode 1
		.amdhsa_memory_ordered 1
		.amdhsa_forward_progress 0
		.amdhsa_shared_vgpr_count 0
		.amdhsa_exception_fp_ieee_invalid_op 0
		.amdhsa_exception_fp_denorm_src 0
		.amdhsa_exception_fp_ieee_div_zero 0
		.amdhsa_exception_fp_ieee_overflow 0
		.amdhsa_exception_fp_ieee_underflow 0
		.amdhsa_exception_fp_ieee_inexact 0
		.amdhsa_exception_int_div_zero 0
	.end_amdhsa_kernel
	.section	.text._ZN4vllm3moe10topkGatingILi8ELi256ELi4ELi16ELi32Ej6__halfLNS0_11ScoringFuncE1EEEvPKT5_PKbPfiPT4_PiiiibPKf,"axG",@progbits,_ZN4vllm3moe10topkGatingILi8ELi256ELi4ELi16ELi32Ej6__halfLNS0_11ScoringFuncE1EEEvPKT5_PKbPfiPT4_PiiiibPKf,comdat
.Lfunc_end287:
	.size	_ZN4vllm3moe10topkGatingILi8ELi256ELi4ELi16ELi32Ej6__halfLNS0_11ScoringFuncE1EEEvPKT5_PKbPfiPT4_PiiiibPKf, .Lfunc_end287-_ZN4vllm3moe10topkGatingILi8ELi256ELi4ELi16ELi32Ej6__halfLNS0_11ScoringFuncE1EEEvPKT5_PKbPfiPT4_PiiiibPKf
                                        ; -- End function
	.section	.AMDGPU.csdata,"",@progbits
; Kernel info:
; codeLenInByte = 3248
; NumSgprs: 22
; NumVgprs: 47
; ScratchSize: 0
; MemoryBound: 0
; FloatMode: 240
; IeeeMode: 1
; LDSByteSize: 0 bytes/workgroup (compile time only)
; SGPRBlocks: 2
; VGPRBlocks: 5
; NumSGPRsForWavesPerEU: 22
; NumVGPRsForWavesPerEU: 47
; Occupancy: 16
; WaveLimiterHint : 0
; COMPUTE_PGM_RSRC2:SCRATCH_EN: 0
; COMPUTE_PGM_RSRC2:USER_SGPR: 15
; COMPUTE_PGM_RSRC2:TRAP_HANDLER: 0
; COMPUTE_PGM_RSRC2:TGID_X_EN: 1
; COMPUTE_PGM_RSRC2:TGID_Y_EN: 0
; COMPUTE_PGM_RSRC2:TGID_Z_EN: 0
; COMPUTE_PGM_RSRC2:TIDIG_COMP_CNT: 1
	.section	.text._ZN4vllm3moe10topkGatingILi8ELi512ELi4ELi16ELi64Ej6__halfLNS0_11ScoringFuncE1EEEvPKT5_PKbPfiPT4_PiiiibPKf,"axG",@progbits,_ZN4vllm3moe10topkGatingILi8ELi512ELi4ELi16ELi64Ej6__halfLNS0_11ScoringFuncE1EEEvPKT5_PKbPfiPT4_PiiiibPKf,comdat
	.protected	_ZN4vllm3moe10topkGatingILi8ELi512ELi4ELi16ELi64Ej6__halfLNS0_11ScoringFuncE1EEEvPKT5_PKbPfiPT4_PiiiibPKf ; -- Begin function _ZN4vllm3moe10topkGatingILi8ELi512ELi4ELi16ELi64Ej6__halfLNS0_11ScoringFuncE1EEEvPKT5_PKbPfiPT4_PiiiibPKf
	.globl	_ZN4vllm3moe10topkGatingILi8ELi512ELi4ELi16ELi64Ej6__halfLNS0_11ScoringFuncE1EEEvPKT5_PKbPfiPT4_PiiiibPKf
	.p2align	8
	.type	_ZN4vllm3moe10topkGatingILi8ELi512ELi4ELi16ELi64Ej6__halfLNS0_11ScoringFuncE1EEEvPKT5_PKbPfiPT4_PiiiibPKf,@function
_ZN4vllm3moe10topkGatingILi8ELi512ELi4ELi16ELi64Ej6__halfLNS0_11ScoringFuncE1EEEvPKT5_PKbPfiPT4_PiiiibPKf: ; @_ZN4vllm3moe10topkGatingILi8ELi512ELi4ELi16ELi64Ej6__halfLNS0_11ScoringFuncE1EEEvPKT5_PKbPfiPT4_PiiiibPKf
; %bb.0:
	s_load_b32 s18, s[0:1], 0x18
	v_and_b32_e32 v1, 0x3ff, v0
	v_bfe_u32 v0, v0, 10, 10
	s_lshl_b32 s2, s15, 2
	s_delay_alu instid0(VALU_DEP_2) | instskip(NEXT) | instid1(VALU_DEP_1)
	v_lshrrev_b32_e32 v2, 6, v1
	v_add3_u32 v16, s2, v0, v2
	s_mov_b32 s2, exec_lo
	s_waitcnt lgkmcnt(0)
	s_delay_alu instid0(VALU_DEP_1)
	v_cmpx_gt_i32_e64 s18, v16
	s_cbranch_execz .LBB288_45
; %bb.1:
	s_clause 0x1
	s_load_b128 s[4:7], s[0:1], 0x0
	s_load_b64 s[16:17], s[0:1], 0x10
	s_mov_b32 s9, -1
	s_mov_b32 s19, -1
	s_waitcnt lgkmcnt(0)
	s_cmp_eq_u64 s[6:7], 0
	s_cbranch_scc1 .LBB288_3
; %bb.2:
	v_ashrrev_i32_e32 v0, 31, v16
	v_add_co_u32 v2, vcc_lo, s6, v16
	s_delay_alu instid0(VALU_DEP_2) | instskip(SKIP_3) | instid1(VALU_DEP_1)
	v_add_co_ci_u32_e32 v3, vcc_lo, s7, v0, vcc_lo
	global_load_u8 v0, v[2:3], off
	s_waitcnt vmcnt(0)
	v_and_b32_e32 v0, 1, v0
	v_cmp_eq_u32_e32 vcc_lo, 1, v0
	s_xor_b32 s2, vcc_lo, -1
	s_delay_alu instid0(SALU_CYCLE_1)
	s_or_not1_b32 s19, s2, exec_lo
.LBB288_3:
	v_lshlrev_b32_e32 v2, 9, v16
	v_and_b32_e32 v17, 63, v1
	s_load_b64 s[10:11], s[0:1], 0x40
	s_delay_alu instid0(VALU_DEP_2) | instskip(NEXT) | instid1(VALU_DEP_1)
	v_ashrrev_i32_e32 v3, 31, v2
	v_lshlrev_b64 v[0:1], 1, v[2:3]
	s_delay_alu instid0(VALU_DEP_3) | instskip(NEXT) | instid1(VALU_DEP_2)
	v_lshlrev_b32_e32 v2, 4, v17
	v_add_co_u32 v0, vcc_lo, s4, v0
	s_delay_alu instid0(VALU_DEP_3) | instskip(NEXT) | instid1(VALU_DEP_2)
	v_add_co_ci_u32_e32 v1, vcc_lo, s5, v1, vcc_lo
	v_add_co_u32 v0, vcc_lo, v0, v2
	s_delay_alu instid0(VALU_DEP_2)
	v_add_co_ci_u32_e32 v1, vcc_lo, 0, v1, vcc_lo
	s_waitcnt lgkmcnt(0)
	s_cmp_eq_u64 s[10:11], 0
	global_load_b128 v[0:3], v[0:1], off
	s_waitcnt vmcnt(0)
	v_cvt_f32_f16_e32 v4, v0
	v_cvt_f32_f16_e32 v5, v1
	v_lshrrev_b32_e32 v1, 16, v1
	v_lshrrev_b32_e32 v0, 16, v0
	v_cvt_f32_f16_e32 v6, v2
	v_cvt_f32_f16_e32 v7, v3
	v_lshrrev_b32_e32 v3, 16, v3
	v_cvt_f32_f16_e32 v1, v1
	v_mul_f32_e32 v4, 0xbfb8aa3b, v4
	v_cvt_f32_f16_e32 v0, v0
	v_mul_f32_e32 v7, 0xbfb8aa3b, v7
	v_cvt_f32_f16_e32 v3, v3
	v_dual_mul_f32 v6, 0xbfb8aa3b, v6 :: v_dual_mul_f32 v1, 0xbfb8aa3b, v1
	v_exp_f32_e32 v4, v4
	s_delay_alu instid0(VALU_DEP_2) | instskip(NEXT) | instid1(VALU_DEP_2)
	v_dual_mul_f32 v0, 0xbfb8aa3b, v0 :: v_dual_mul_f32 v3, 0xbfb8aa3b, v3
	v_exp_f32_e32 v6, v6
	s_delay_alu instid0(VALU_DEP_2)
	v_exp_f32_e32 v1, v1
	v_lshrrev_b32_e32 v2, 16, v2
	v_mul_f32_e32 v5, 0xbfb8aa3b, v5
	v_exp_f32_e32 v3, v3
	v_exp_f32_e32 v7, v7
	;; [unrolled: 1-line block ×3, first 2 shown]
	v_add_f32_e32 v4, 1.0, v4
	v_cvt_f32_f16_e32 v2, v2
	v_exp_f32_e32 v5, v5
	v_dual_add_f32 v6, 1.0, v6 :: v_dual_add_f32 v1, 1.0, v1
	s_delay_alu instid0(VALU_DEP_3) | instskip(NEXT) | instid1(VALU_DEP_3)
	v_div_scale_f32 v8, null, v4, v4, 1.0
	v_dual_add_f32 v19, 1.0, v3 :: v_dual_mul_f32 v2, 0xbfb8aa3b, v2
	s_delay_alu instid0(VALU_DEP_3) | instskip(NEXT) | instid1(VALU_DEP_3)
	v_div_scale_f32 v12, null, v6, v6, 1.0
	v_rcp_f32_e32 v3, v8
	s_waitcnt_depctr 0xfff
	v_add_f32_e32 v5, 1.0, v5
	v_exp_f32_e32 v2, v2
	v_rcp_f32_e32 v25, v12
	v_dual_add_f32 v7, 1.0, v7 :: v_dual_lshlrev_b32 v18, 3, v17
	s_delay_alu instid0(VALU_DEP_2) | instskip(SKIP_3) | instid1(VALU_DEP_4)
	v_div_scale_f32 v10, null, v5, v5, 1.0
	v_div_scale_f32 v29, null, v19, v19, 1.0
	v_fma_f32 v34, -v8, v3, 1.0
	v_add_f32_e32 v0, 1.0, v0
	v_rcp_f32_e32 v22, v10
	s_delay_alu instid0(TRANS32_DEP_2) | instskip(NEXT) | instid1(TRANS32_DEP_3)
	v_fma_f32 v37, -v12, v25, 1.0
	v_add_f32_e32 v14, 1.0, v2
	v_div_scale_f32 v2, null, v7, v7, 1.0
	v_fmac_f32_e32 v3, v34, v3
	s_delay_alu instid0(VALU_DEP_4) | instskip(SKIP_3) | instid1(VALU_DEP_2)
	v_fmac_f32_e32 v25, v37, v25
	v_div_scale_f32 v20, null, v0, v0, 1.0
	v_div_scale_f32 v26, null, v14, v14, 1.0
	v_rcp_f32_e32 v28, v2
	v_rcp_f32_e32 v30, v20
	v_div_scale_f32 v23, null, v1, v1, 1.0
	s_delay_alu instid0(VALU_DEP_2) | instskip(SKIP_2) | instid1(VALU_DEP_2)
	v_rcp_f32_e32 v33, v26
	v_rcp_f32_e32 v35, v29
	v_div_scale_f32 v9, vcc_lo, 1.0, v4, 1.0
	v_rcp_f32_e32 v32, v23
	v_fma_f32 v36, -v10, v22, 1.0
	v_fma_f32 v38, -v2, v28, 1.0
	;; [unrolled: 1-line block ×3, first 2 shown]
	v_div_scale_f32 v11, s2, 1.0, v5, 1.0
	v_div_scale_f32 v15, s4, 1.0, v7, 1.0
	;; [unrolled: 1-line block ×3, first 2 shown]
	v_dual_fmac_f32 v22, v36, v22 :: v_dual_mul_f32 v39, v9, v3
	v_fma_f32 v37, -v26, v33, 1.0
	v_fmac_f32_e32 v28, v38, v28
	v_fma_f32 v38, -v29, v35, 1.0
	v_fmac_f32_e32 v30, v34, v30
	v_fma_f32 v36, -v23, v32, 1.0
	v_dual_mul_f32 v34, v11, v22 :: v_dual_fmac_f32 v33, v37, v33
	s_delay_alu instid0(VALU_DEP_4)
	v_fmac_f32_e32 v35, v38, v35
	v_mul_f32_e32 v37, v15, v28
	v_fma_f32 v38, -v8, v39, v9
	v_mul_f32_e32 v40, v21, v30
	v_fmac_f32_e32 v32, v36, v32
	v_div_scale_f32 v24, s6, 1.0, v1, 1.0
	s_delay_alu instid0(VALU_DEP_4) | instskip(NEXT) | instid1(VALU_DEP_4)
	v_fmac_f32_e32 v39, v38, v3
	v_fma_f32 v38, -v20, v40, v21
	v_div_scale_f32 v13, s3, 1.0, v6, 1.0
	v_fma_f32 v41, -v10, v34, v11
	s_delay_alu instid0(VALU_DEP_4) | instskip(NEXT) | instid1(VALU_DEP_4)
	v_fma_f32 v8, -v8, v39, v9
	v_fmac_f32_e32 v40, v38, v30
	v_mul_f32_e32 v42, v24, v32
	v_div_scale_f32 v27, s7, 1.0, v14, 1.0
	s_delay_alu instid0(VALU_DEP_4) | instskip(NEXT) | instid1(VALU_DEP_4)
	v_div_fmas_f32 v3, v8, v3, v39
	v_fma_f32 v8, -v20, v40, v21
	s_mov_b32 vcc_lo, s5
	v_fmac_f32_e32 v34, v41, v22
	v_fma_f32 v41, -v23, v42, v24
	v_div_fixup_f32 v3, v3, v4, 1.0
	v_div_fmas_f32 v4, v8, v30, v40
	v_fma_f32 v45, -v2, v37, v15
	v_mul_f32_e32 v44, v27, v33
	v_fmac_f32_e32 v42, v41, v32
	v_div_scale_f32 v31, s8, 1.0, v19, 1.0
	s_delay_alu instid0(VALU_DEP_4)
	v_fmac_f32_e32 v37, v45, v28
	v_div_fixup_f32 v4, v4, v0, 1.0
	v_mul_f32_e32 v36, v13, v25
	v_fma_f32 v9, -v10, v34, v11
	v_fma_f32 v11, -v23, v42, v24
	s_mov_b32 vcc_lo, s2
	v_mul_f32_e32 v46, v31, v35
	v_fma_f32 v43, -v12, v36, v13
	v_div_fmas_f32 v8, v9, v22, v34
	s_mov_b32 vcc_lo, s6
	v_fma_f32 v2, -v2, v37, v15
	v_div_fmas_f32 v9, v11, v32, v42
	v_fmac_f32_e32 v36, v43, v25
	v_fma_f32 v43, -v26, v44, v27
	v_cmp_class_f32_e64 vcc_lo, v3, 0x1f8
	v_fma_f32 v45, -v29, v46, v31
	v_div_fixup_f32 v5, v8, v5, 1.0
	v_fma_f32 v10, -v12, v36, v13
	v_fmac_f32_e32 v44, v43, v33
	v_cndmask_b32_e32 v0, 0, v3, vcc_lo
	s_mov_b32 vcc_lo, s3
	v_fmac_f32_e32 v46, v45, v35
	v_div_fmas_f32 v3, v10, v25, v36
	v_fma_f32 v12, -v26, v44, v27
	s_mov_b32 vcc_lo, s7
	v_div_fixup_f32 v9, v9, v1, 1.0
	v_fma_f32 v13, -v29, v46, v31
	s_delay_alu instid0(VALU_DEP_3) | instskip(SKIP_3) | instid1(VALU_DEP_2)
	v_div_fmas_f32 v8, v12, v33, v44
	s_mov_b32 vcc_lo, s4
	v_div_fmas_f32 v10, v2, v28, v37
	v_cmp_class_f32_e64 vcc_lo, v4, 0x1f8
	v_div_fixup_f32 v7, v10, v7, 1.0
	v_cndmask_b32_e32 v1, 0, v4, vcc_lo
	s_mov_b32 vcc_lo, s8
	v_div_fixup_f32 v4, v3, v6, 1.0
	v_div_fmas_f32 v6, v13, v35, v46
	v_cmp_class_f32_e64 vcc_lo, v5, 0x1f8
	v_cndmask_b32_e32 v2, 0, v5, vcc_lo
	v_cmp_class_f32_e64 vcc_lo, v9, 0x1f8
	v_div_fixup_f32 v5, v8, v14, 1.0
	v_div_fixup_f32 v8, v6, v19, 1.0
	v_cndmask_b32_e32 v3, 0, v9, vcc_lo
	v_cmp_class_f32_e64 vcc_lo, v4, 0x1f8
	v_cndmask_b32_e32 v4, 0, v4, vcc_lo
	v_cmp_class_f32_e64 vcc_lo, v5, 0x1f8
	;; [unrolled: 2-line block ×4, first 2 shown]
	v_cndmask_b32_e32 v7, 0, v8, vcc_lo
	s_cbranch_scc1 .LBB288_39
; %bb.4:
	v_lshlrev_b32_e32 v12, 2, v18
	s_clause 0x1
	global_load_b128 v[8:11], v12, s[10:11]
	global_load_b128 v[12:15], v12, s[10:11] offset:16
	s_waitcnt vmcnt(1)
	v_dual_add_f32 v9, v9, v1 :: v_dual_add_f32 v8, v8, v0
	v_dual_add_f32 v11, v11, v3 :: v_dual_add_f32 v10, v10, v2
	s_waitcnt vmcnt(0)
	v_dual_add_f32 v13, v13, v5 :: v_dual_add_f32 v12, v12, v4
	v_dual_add_f32 v15, v15, v7 :: v_dual_add_f32 v14, v14, v6
	s_cbranch_execnz .LBB288_6
.LBB288_5:
	v_dual_mov_b32 v15, v7 :: v_dual_mov_b32 v14, v6
	v_dual_mov_b32 v13, v5 :: v_dual_mov_b32 v12, v4
	;; [unrolled: 1-line block ×4, first 2 shown]
.LBB288_6:
	s_load_b128 s[8:11], s[0:1], 0x30
	v_cmp_eq_u32_e64 s2, 0, v17
	s_mov_b32 s6, 0
	s_waitcnt lgkmcnt(0)
	s_bitcmp1_b32 s11, 0
	s_cselect_b32 vcc_lo, -1, 0
	s_cmp_gt_i32 s8, 0
	s_cselect_b32 s5, -1, 0
	s_cmp_lt_i32 s8, 1
	s_cbranch_scc1 .LBB288_40
; %bb.7:
	v_mbcnt_lo_u32_b32 v20, -1, 0
	s_load_b128 s[12:15], s[0:1], 0x20
	v_mul_lo_u32 v19, v16, s8
	v_mov_b32_e32 v27, v16
	s_delay_alu instid0(VALU_DEP_3)
	v_or_b32_e32 v21, 32, v20
	v_xor_b32_e32 v22, 16, v20
	v_xor_b32_e32 v23, 8, v20
	;; [unrolled: 1-line block ×4, first 2 shown]
	v_cmp_gt_i32_e64 s0, 64, v21
	v_xor_b32_e32 v26, 1, v20
	s_delay_alu instid0(VALU_DEP_2) | instskip(SKIP_1) | instid1(VALU_DEP_2)
	v_cndmask_b32_e64 v21, v20, v21, s0
	v_cmp_gt_i32_e64 s0, 64, v22
	v_lshlrev_b32_e32 v21, 2, v21
	s_delay_alu instid0(VALU_DEP_2) | instskip(SKIP_1) | instid1(VALU_DEP_2)
	v_cndmask_b32_e64 v22, v20, v22, s0
	v_cmp_gt_i32_e64 s0, 64, v23
	v_lshlrev_b32_e32 v22, 2, v22
	;; [unrolled: 4-line block ×5, first 2 shown]
	s_delay_alu instid0(VALU_DEP_2) | instskip(NEXT) | instid1(VALU_DEP_1)
	v_cndmask_b32_e64 v20, v20, v26, s0
	v_lshlrev_b32_e32 v26, 2, v20
	v_mov_b32_e32 v20, 0
	s_branch .LBB288_10
.LBB288_8:                              ;   in Loop: Header=BB288_10 Depth=1
	s_or_b32 exec_lo, exec_lo, s1
.LBB288_9:                              ;   in Loop: Header=BB288_10 Depth=1
	v_add_nc_u32_e32 v27, s18, v27
	s_cmp_eq_u32 s8, s6
	s_cbranch_scc1 .LBB288_41
.LBB288_10:                             ; =>This Inner Loop Header: Depth=1
	v_cmp_gt_f32_e64 s0, v9, v8
	s_delay_alu instid0(VALU_DEP_1) | instskip(SKIP_2) | instid1(VALU_DEP_3)
	v_cndmask_b32_e64 v29, v8, v9, s0
	v_cndmask_b32_e64 v28, 0, 1, s0
	;; [unrolled: 1-line block ×3, first 2 shown]
	v_cmp_gt_f32_e64 s1, v10, v29
	s_delay_alu instid0(VALU_DEP_1) | instskip(NEXT) | instid1(VALU_DEP_4)
	v_cndmask_b32_e64 v29, v29, v10, s1
	v_cndmask_b32_e64 v28, v28, 2, s1
	s_delay_alu instid0(VALU_DEP_4) | instskip(NEXT) | instid1(VALU_DEP_3)
	v_cndmask_b32_e64 v30, v30, v2, s1
	v_cmp_gt_f32_e64 s3, v11, v29
	s_delay_alu instid0(VALU_DEP_1) | instskip(NEXT) | instid1(VALU_DEP_4)
	v_cndmask_b32_e64 v29, v29, v11, s3
	v_cndmask_b32_e64 v28, v28, 3, s3
	s_delay_alu instid0(VALU_DEP_4) | instskip(NEXT) | instid1(VALU_DEP_3)
	v_cndmask_b32_e64 v30, v30, v3, s3
	v_cmp_gt_f32_e64 s4, v12, v29
	s_delay_alu instid0(VALU_DEP_1) | instskip(NEXT) | instid1(VALU_DEP_4)
	v_cndmask_b32_e64 v29, v29, v12, s4
	v_cndmask_b32_e64 v28, v28, 4, s4
	s_delay_alu instid0(VALU_DEP_4) | instskip(SKIP_1) | instid1(VALU_DEP_3)
	v_cndmask_b32_e64 v30, v30, v4, s4
	s_mov_b32 s4, exec_lo
	v_cmp_gt_f32_e64 s0, v13, v29
	s_delay_alu instid0(VALU_DEP_1) | instskip(SKIP_2) | instid1(VALU_DEP_3)
	v_cndmask_b32_e64 v29, v29, v13, s0
	v_cndmask_b32_e64 v28, v28, 5, s0
	v_cndmask_b32_e64 v30, v30, v5, s0
	v_cmp_gt_f32_e64 s1, v14, v29
	s_delay_alu instid0(VALU_DEP_1) | instskip(NEXT) | instid1(VALU_DEP_4)
	v_cndmask_b32_e64 v29, v29, v14, s1
	v_cndmask_b32_e64 v28, v28, 6, s1
	s_waitcnt lgkmcnt(0)
	v_cndmask_b32_e64 v31, v30, v6, s1
	s_delay_alu instid0(VALU_DEP_3) | instskip(NEXT) | instid1(VALU_DEP_1)
	v_cmp_gt_f32_e64 s0, v15, v29
	v_cndmask_b32_e64 v28, v28, 7, s0
	v_cndmask_b32_e64 v30, v29, v15, s0
	s_delay_alu instid0(VALU_DEP_4) | instskip(NEXT) | instid1(VALU_DEP_3)
	v_cndmask_b32_e64 v29, v31, v7, s0
	v_or_b32_e32 v28, v18, v28
	ds_bpermute_b32 v31, v21, v30
	ds_bpermute_b32 v33, v21, v29
	;; [unrolled: 1-line block ×3, first 2 shown]
	s_waitcnt lgkmcnt(0)
	v_cmp_lt_f32_e64 s3, v30, v31
	v_cmpx_nlt_f32_e32 v30, v31
; %bb.11:                               ;   in Loop: Header=BB288_10 Depth=1
	v_cmp_eq_f32_e64 s0, v30, v31
	v_cmp_lt_i32_e64 s1, v32, v28
	s_delay_alu instid0(VALU_DEP_1) | instskip(SKIP_2) | instid1(SALU_CYCLE_1)
	s_and_b32 s0, s0, s1
	s_and_not1_b32 s1, s3, exec_lo
	s_and_b32 s0, s0, exec_lo
	s_or_b32 s3, s1, s0
; %bb.12:                               ;   in Loop: Header=BB288_10 Depth=1
	s_or_b32 exec_lo, exec_lo, s4
	s_and_saveexec_b32 s0, s3
; %bb.13:                               ;   in Loop: Header=BB288_10 Depth=1
	v_dual_mov_b32 v29, v33 :: v_dual_mov_b32 v30, v31
	v_mov_b32_e32 v28, v32
; %bb.14:                               ;   in Loop: Header=BB288_10 Depth=1
	s_or_b32 exec_lo, exec_lo, s0
	ds_bpermute_b32 v31, v22, v30
	ds_bpermute_b32 v33, v22, v29
	;; [unrolled: 1-line block ×3, first 2 shown]
	s_mov_b32 s4, exec_lo
	s_waitcnt lgkmcnt(2)
	v_cmp_lt_f32_e64 s3, v30, v31
	v_cmpx_nlt_f32_e32 v30, v31
	s_cbranch_execz .LBB288_16
; %bb.15:                               ;   in Loop: Header=BB288_10 Depth=1
	v_cmp_eq_f32_e64 s0, v30, v31
	s_waitcnt lgkmcnt(0)
	v_cmp_lt_i32_e64 s1, v32, v28
	s_delay_alu instid0(VALU_DEP_1) | instskip(SKIP_2) | instid1(SALU_CYCLE_1)
	s_and_b32 s0, s0, s1
	s_and_not1_b32 s1, s3, exec_lo
	s_and_b32 s0, s0, exec_lo
	s_or_b32 s3, s1, s0
.LBB288_16:                             ;   in Loop: Header=BB288_10 Depth=1
	s_or_b32 exec_lo, exec_lo, s4
	s_delay_alu instid0(VALU_DEP_2)
	s_and_saveexec_b32 s0, s3
	s_cbranch_execz .LBB288_18
; %bb.17:                               ;   in Loop: Header=BB288_10 Depth=1
	s_waitcnt lgkmcnt(1)
	v_dual_mov_b32 v29, v33 :: v_dual_mov_b32 v30, v31
	s_waitcnt lgkmcnt(0)
	v_mov_b32_e32 v28, v32
.LBB288_18:                             ;   in Loop: Header=BB288_10 Depth=1
	s_or_b32 exec_lo, exec_lo, s0
	ds_bpermute_b32 v31, v23, v30
	s_waitcnt lgkmcnt(2)
	ds_bpermute_b32 v33, v23, v29
	s_waitcnt lgkmcnt(2)
	ds_bpermute_b32 v32, v23, v28
	s_mov_b32 s4, exec_lo
	s_waitcnt lgkmcnt(2)
	v_cmp_lt_f32_e64 s3, v30, v31
	v_cmpx_nlt_f32_e32 v30, v31
	s_cbranch_execz .LBB288_20
; %bb.19:                               ;   in Loop: Header=BB288_10 Depth=1
	v_cmp_eq_f32_e64 s0, v30, v31
	s_waitcnt lgkmcnt(0)
	v_cmp_lt_i32_e64 s1, v32, v28
	s_delay_alu instid0(VALU_DEP_1) | instskip(SKIP_2) | instid1(SALU_CYCLE_1)
	s_and_b32 s0, s0, s1
	s_and_not1_b32 s1, s3, exec_lo
	s_and_b32 s0, s0, exec_lo
	s_or_b32 s3, s1, s0
.LBB288_20:                             ;   in Loop: Header=BB288_10 Depth=1
	s_or_b32 exec_lo, exec_lo, s4
	s_delay_alu instid0(VALU_DEP_2)
	s_and_saveexec_b32 s0, s3
	s_cbranch_execz .LBB288_22
; %bb.21:                               ;   in Loop: Header=BB288_10 Depth=1
	s_waitcnt lgkmcnt(1)
	v_dual_mov_b32 v29, v33 :: v_dual_mov_b32 v30, v31
	s_waitcnt lgkmcnt(0)
	v_mov_b32_e32 v28, v32
.LBB288_22:                             ;   in Loop: Header=BB288_10 Depth=1
	s_or_b32 exec_lo, exec_lo, s0
	ds_bpermute_b32 v31, v24, v30
	s_waitcnt lgkmcnt(2)
	ds_bpermute_b32 v33, v24, v29
	s_waitcnt lgkmcnt(2)
	ds_bpermute_b32 v32, v24, v28
	s_mov_b32 s4, exec_lo
	s_waitcnt lgkmcnt(2)
	v_cmp_lt_f32_e64 s3, v30, v31
	v_cmpx_nlt_f32_e32 v30, v31
	s_cbranch_execz .LBB288_24
; %bb.23:                               ;   in Loop: Header=BB288_10 Depth=1
	v_cmp_eq_f32_e64 s0, v30, v31
	s_waitcnt lgkmcnt(0)
	v_cmp_lt_i32_e64 s1, v32, v28
	s_delay_alu instid0(VALU_DEP_1) | instskip(SKIP_2) | instid1(SALU_CYCLE_1)
	s_and_b32 s0, s0, s1
	s_and_not1_b32 s1, s3, exec_lo
	s_and_b32 s0, s0, exec_lo
	s_or_b32 s3, s1, s0
.LBB288_24:                             ;   in Loop: Header=BB288_10 Depth=1
	s_or_b32 exec_lo, exec_lo, s4
	s_delay_alu instid0(VALU_DEP_2)
	s_and_saveexec_b32 s0, s3
	s_cbranch_execz .LBB288_26
; %bb.25:                               ;   in Loop: Header=BB288_10 Depth=1
	s_waitcnt lgkmcnt(1)
	v_dual_mov_b32 v29, v33 :: v_dual_mov_b32 v30, v31
	s_waitcnt lgkmcnt(0)
	v_mov_b32_e32 v28, v32
.LBB288_26:                             ;   in Loop: Header=BB288_10 Depth=1
	s_or_b32 exec_lo, exec_lo, s0
	ds_bpermute_b32 v31, v25, v30
	s_waitcnt lgkmcnt(2)
	ds_bpermute_b32 v33, v25, v29
	s_waitcnt lgkmcnt(2)
	ds_bpermute_b32 v32, v25, v28
	s_mov_b32 s4, exec_lo
	s_waitcnt lgkmcnt(2)
	v_cmp_lt_f32_e64 s3, v30, v31
	v_cmpx_nlt_f32_e32 v30, v31
	s_cbranch_execz .LBB288_28
; %bb.27:                               ;   in Loop: Header=BB288_10 Depth=1
	v_cmp_eq_f32_e64 s0, v30, v31
	s_waitcnt lgkmcnt(0)
	v_cmp_lt_i32_e64 s1, v32, v28
	s_delay_alu instid0(VALU_DEP_1) | instskip(SKIP_2) | instid1(SALU_CYCLE_1)
	s_and_b32 s0, s0, s1
	s_and_not1_b32 s1, s3, exec_lo
	s_and_b32 s0, s0, exec_lo
	s_or_b32 s3, s1, s0
.LBB288_28:                             ;   in Loop: Header=BB288_10 Depth=1
	s_or_b32 exec_lo, exec_lo, s4
	s_delay_alu instid0(VALU_DEP_2)
	s_and_saveexec_b32 s0, s3
	s_cbranch_execz .LBB288_30
; %bb.29:                               ;   in Loop: Header=BB288_10 Depth=1
	s_waitcnt lgkmcnt(1)
	v_dual_mov_b32 v29, v33 :: v_dual_mov_b32 v30, v31
	s_waitcnt lgkmcnt(0)
	v_mov_b32_e32 v28, v32
.LBB288_30:                             ;   in Loop: Header=BB288_10 Depth=1
	s_or_b32 exec_lo, exec_lo, s0
	s_waitcnt lgkmcnt(1)
	ds_bpermute_b32 v33, v26, v30
	ds_bpermute_b32 v31, v26, v29
	s_waitcnt lgkmcnt(2)
	ds_bpermute_b32 v32, v26, v28
	s_mov_b32 s4, exec_lo
	s_waitcnt lgkmcnt(2)
	v_cmp_lt_f32_e64 s3, v30, v33
	v_cmpx_nlt_f32_e32 v30, v33
	s_cbranch_execnz .LBB288_34
; %bb.31:                               ;   in Loop: Header=BB288_10 Depth=1
	s_or_b32 exec_lo, exec_lo, s4
	s_delay_alu instid0(VALU_DEP_2)
	s_and_saveexec_b32 s0, s3
	s_cbranch_execnz .LBB288_35
.LBB288_32:                             ;   in Loop: Header=BB288_10 Depth=1
	s_or_b32 exec_lo, exec_lo, s0
	s_and_saveexec_b32 s3, s2
	s_cbranch_execnz .LBB288_36
.LBB288_33:                             ;   in Loop: Header=BB288_10 Depth=1
	s_or_b32 exec_lo, exec_lo, s3
	s_add_i32 s6, s6, 1
	s_delay_alu instid0(SALU_CYCLE_1)
	s_cmp_ge_i32 s6, s8
	s_cbranch_scc1 .LBB288_9
	s_branch .LBB288_37
.LBB288_34:                             ;   in Loop: Header=BB288_10 Depth=1
	v_cmp_eq_f32_e64 s0, v30, v33
	s_waitcnt lgkmcnt(0)
	v_cmp_lt_i32_e64 s1, v32, v28
	s_delay_alu instid0(VALU_DEP_1) | instskip(SKIP_2) | instid1(SALU_CYCLE_1)
	s_and_b32 s0, s0, s1
	s_and_not1_b32 s1, s3, exec_lo
	s_and_b32 s0, s0, exec_lo
	s_or_b32 s3, s1, s0
	s_or_b32 exec_lo, exec_lo, s4
	s_and_saveexec_b32 s0, s3
	s_cbranch_execz .LBB288_32
.LBB288_35:                             ;   in Loop: Header=BB288_10 Depth=1
	s_waitcnt lgkmcnt(0)
	v_dual_mov_b32 v28, v32 :: v_dual_mov_b32 v29, v31
	s_or_b32 exec_lo, exec_lo, s0
	s_and_saveexec_b32 s3, s2
	s_cbranch_execz .LBB288_33
.LBB288_36:                             ;   in Loop: Header=BB288_10 Depth=1
	s_delay_alu instid0(VALU_DEP_1)
	v_dual_add_f32 v37, v20, v29 :: v_dual_add_nc_u32 v30, s6, v19
	v_cmp_le_i32_e64 s0, s9, v28
	v_cmp_gt_i32_e64 s1, s10, v28
	s_waitcnt lgkmcnt(0)
	v_subrev_nc_u32_e32 v32, s9, v28
	v_ashrrev_i32_e32 v31, 31, v30
	v_cndmask_b32_e32 v20, v20, v37, vcc_lo
	s_and_b32 s0, s0, s1
	s_delay_alu instid0(SALU_CYCLE_1) | instskip(NEXT) | instid1(VALU_DEP_2)
	s_and_b32 s0, s19, s0
	v_lshlrev_b64 v[30:31], 2, v[30:31]
	v_cndmask_b32_e64 v36, 0x200, v32, s0
	s_delay_alu instid0(VALU_DEP_2) | instskip(NEXT) | instid1(VALU_DEP_1)
	v_add_co_u32 v32, s0, s16, v30
	v_add_co_ci_u32_e64 v33, s0, s17, v31, s0
	v_add_co_u32 v34, s0, s12, v30
	s_delay_alu instid0(VALU_DEP_1) | instskip(SKIP_1) | instid1(VALU_DEP_1)
	v_add_co_ci_u32_e64 v35, s0, s13, v31, s0
	v_add_co_u32 v30, s0, s14, v30
	v_add_co_ci_u32_e64 v31, s0, s15, v31, s0
	global_store_b32 v[32:33], v29, off
	global_store_b32 v[34:35], v36, off
	;; [unrolled: 1-line block ×3, first 2 shown]
	s_or_b32 exec_lo, exec_lo, s3
	s_add_i32 s6, s6, 1
	s_delay_alu instid0(SALU_CYCLE_1)
	s_cmp_ge_i32 s6, s8
	s_cbranch_scc1 .LBB288_9
.LBB288_37:                             ;   in Loop: Header=BB288_10 Depth=1
	v_ashrrev_i32_e32 v29, 31, v28
	s_mov_b32 s1, exec_lo
	s_delay_alu instid0(VALU_DEP_1) | instskip(NEXT) | instid1(VALU_DEP_1)
	v_lshrrev_b32_e32 v30, 29, v29
	v_add_nc_u32_e32 v30, v28, v30
	s_waitcnt lgkmcnt(1)
	s_delay_alu instid0(VALU_DEP_1) | instskip(SKIP_1) | instid1(VALU_DEP_2)
	v_ashrrev_i32_e32 v31, 31, v30
	v_ashrrev_i32_e32 v30, 3, v30
	v_lshrrev_b32_e32 v31, 26, v31
	s_delay_alu instid0(VALU_DEP_1) | instskip(NEXT) | instid1(VALU_DEP_1)
	v_add_nc_u32_e32 v31, v30, v31
	v_and_b32_e32 v31, 0xffffffc0, v31
	s_delay_alu instid0(VALU_DEP_1) | instskip(NEXT) | instid1(VALU_DEP_1)
	v_sub_nc_u32_e32 v31, v30, v31
	v_cmpx_eq_u32_e64 v17, v31
	s_cbranch_execz .LBB288_8
; %bb.38:                               ;   in Loop: Header=BB288_10 Depth=1
	v_lshrrev_b32_e32 v29, 23, v29
	v_lshlrev_b32_e32 v30, 3, v30
	s_delay_alu instid0(VALU_DEP_2) | instskip(NEXT) | instid1(VALU_DEP_2)
	v_add_nc_u32_e32 v29, v28, v29
	v_sub_nc_u32_e32 v28, v28, v30
	s_delay_alu instid0(VALU_DEP_2) | instskip(NEXT) | instid1(VALU_DEP_1)
	v_ashrrev_i32_e32 v29, 9, v29
	v_lshl_add_u32 v28, v29, 3, v28
	s_delay_alu instid0(VALU_DEP_1) | instskip(NEXT) | instid1(VALU_DEP_1)
	v_cmp_ne_u32_e64 s0, 7, v28
	v_cndmask_b32_e64 v15, 0xc61c4000, v15, s0
	v_cmp_ne_u32_e64 s0, 6, v28
	s_delay_alu instid0(VALU_DEP_1) | instskip(SKIP_1) | instid1(VALU_DEP_1)
	v_cndmask_b32_e64 v14, 0xc61c4000, v14, s0
	v_cmp_ne_u32_e64 s0, 5, v28
	v_cndmask_b32_e64 v13, 0xc61c4000, v13, s0
	v_cmp_ne_u32_e64 s0, 4, v28
	s_delay_alu instid0(VALU_DEP_1) | instskip(SKIP_1) | instid1(VALU_DEP_1)
	v_cndmask_b32_e64 v12, 0xc61c4000, v12, s0
	;; [unrolled: 5-line block ×3, first 2 shown]
	v_cmp_ne_u32_e64 s0, 1, v28
	v_cndmask_b32_e64 v9, 0xc61c4000, v9, s0
	v_cmp_ne_u32_e64 s0, 0, v28
	s_delay_alu instid0(VALU_DEP_1)
	v_cndmask_b32_e64 v8, 0xc61c4000, v8, s0
	s_branch .LBB288_8
.LBB288_39:
                                        ; implicit-def: $vgpr8_vgpr9_vgpr10_vgpr11_vgpr12_vgpr13_vgpr14_vgpr15
	s_and_not1_b32 vcc_lo, exec_lo, s9
	s_cbranch_vccz .LBB288_5
	s_branch .LBB288_6
.LBB288_40:
	v_mov_b32_e32 v20, 0
.LBB288_41:
	v_cmp_eq_u32_e64 s0, 0, v17
	s_delay_alu instid0(VALU_DEP_1) | instskip(NEXT) | instid1(SALU_CYCLE_1)
	s_and_b32 s0, s0, vcc_lo
	s_and_b32 exec_lo, exec_lo, s0
	s_cbranch_execz .LBB288_45
; %bb.42:
	s_and_not1_b32 vcc_lo, exec_lo, s5
	s_cbranch_vccnz .LBB288_45
; %bb.43:
	v_mul_lo_u32 v0, v16, s8
	v_cmp_lt_f32_e32 vcc_lo, 0, v20
	v_cndmask_b32_e32 v2, 1.0, v20, vcc_lo
	s_delay_alu instid0(VALU_DEP_3) | instskip(NEXT) | instid1(VALU_DEP_1)
	v_ashrrev_i32_e32 v1, 31, v0
	v_lshlrev_b64 v[0:1], 2, v[0:1]
	s_delay_alu instid0(VALU_DEP_1) | instskip(NEXT) | instid1(VALU_DEP_2)
	v_add_co_u32 v0, vcc_lo, s16, v0
	v_add_co_ci_u32_e32 v1, vcc_lo, s17, v1, vcc_lo
	.p2align	6
.LBB288_44:                             ; =>This Inner Loop Header: Depth=1
	global_load_b32 v3, v[0:1], off
	s_add_i32 s8, s8, -1
	s_delay_alu instid0(SALU_CYCLE_1) | instskip(SKIP_3) | instid1(VALU_DEP_2)
	s_cmp_lg_u32 s8, 0
	s_waitcnt vmcnt(0)
	v_div_scale_f32 v4, null, v2, v2, v3
	v_div_scale_f32 v7, vcc_lo, v3, v2, v3
	v_rcp_f32_e32 v5, v4
	s_waitcnt_depctr 0xfff
	v_fma_f32 v6, -v4, v5, 1.0
	s_delay_alu instid0(VALU_DEP_1) | instskip(NEXT) | instid1(VALU_DEP_1)
	v_fmac_f32_e32 v5, v6, v5
	v_mul_f32_e32 v6, v7, v5
	s_delay_alu instid0(VALU_DEP_1) | instskip(NEXT) | instid1(VALU_DEP_1)
	v_fma_f32 v8, -v4, v6, v7
	v_fmac_f32_e32 v6, v8, v5
	s_delay_alu instid0(VALU_DEP_1) | instskip(NEXT) | instid1(VALU_DEP_1)
	v_fma_f32 v4, -v4, v6, v7
	v_div_fmas_f32 v4, v4, v5, v6
	s_delay_alu instid0(VALU_DEP_1)
	v_div_fixup_f32 v3, v4, v2, v3
	global_store_b32 v[0:1], v3, off
	v_add_co_u32 v0, vcc_lo, v0, 4
	v_add_co_ci_u32_e32 v1, vcc_lo, 0, v1, vcc_lo
	s_cbranch_scc1 .LBB288_44
.LBB288_45:
	s_nop 0
	s_sendmsg sendmsg(MSG_DEALLOC_VGPRS)
	s_endpgm
	.section	.rodata,"a",@progbits
	.p2align	6, 0x0
	.amdhsa_kernel _ZN4vllm3moe10topkGatingILi8ELi512ELi4ELi16ELi64Ej6__halfLNS0_11ScoringFuncE1EEEvPKT5_PKbPfiPT4_PiiiibPKf
		.amdhsa_group_segment_fixed_size 0
		.amdhsa_private_segment_fixed_size 0
		.amdhsa_kernarg_size 72
		.amdhsa_user_sgpr_count 15
		.amdhsa_user_sgpr_dispatch_ptr 0
		.amdhsa_user_sgpr_queue_ptr 0
		.amdhsa_user_sgpr_kernarg_segment_ptr 1
		.amdhsa_user_sgpr_dispatch_id 0
		.amdhsa_user_sgpr_private_segment_size 0
		.amdhsa_wavefront_size32 1
		.amdhsa_uses_dynamic_stack 0
		.amdhsa_enable_private_segment 0
		.amdhsa_system_sgpr_workgroup_id_x 1
		.amdhsa_system_sgpr_workgroup_id_y 0
		.amdhsa_system_sgpr_workgroup_id_z 0
		.amdhsa_system_sgpr_workgroup_info 0
		.amdhsa_system_vgpr_workitem_id 1
		.amdhsa_next_free_vgpr 47
		.amdhsa_next_free_sgpr 20
		.amdhsa_reserve_vcc 1
		.amdhsa_float_round_mode_32 0
		.amdhsa_float_round_mode_16_64 0
		.amdhsa_float_denorm_mode_32 3
		.amdhsa_float_denorm_mode_16_64 3
		.amdhsa_dx10_clamp 1
		.amdhsa_ieee_mode 1
		.amdhsa_fp16_overflow 0
		.amdhsa_workgroup_processor_mode 1
		.amdhsa_memory_ordered 1
		.amdhsa_forward_progress 0
		.amdhsa_shared_vgpr_count 0
		.amdhsa_exception_fp_ieee_invalid_op 0
		.amdhsa_exception_fp_denorm_src 0
		.amdhsa_exception_fp_ieee_div_zero 0
		.amdhsa_exception_fp_ieee_overflow 0
		.amdhsa_exception_fp_ieee_underflow 0
		.amdhsa_exception_fp_ieee_inexact 0
		.amdhsa_exception_int_div_zero 0
	.end_amdhsa_kernel
	.section	.text._ZN4vllm3moe10topkGatingILi8ELi512ELi4ELi16ELi64Ej6__halfLNS0_11ScoringFuncE1EEEvPKT5_PKbPfiPT4_PiiiibPKf,"axG",@progbits,_ZN4vllm3moe10topkGatingILi8ELi512ELi4ELi16ELi64Ej6__halfLNS0_11ScoringFuncE1EEEvPKT5_PKbPfiPT4_PiiiibPKf,comdat
.Lfunc_end288:
	.size	_ZN4vllm3moe10topkGatingILi8ELi512ELi4ELi16ELi64Ej6__halfLNS0_11ScoringFuncE1EEEvPKT5_PKbPfiPT4_PiiiibPKf, .Lfunc_end288-_ZN4vllm3moe10topkGatingILi8ELi512ELi4ELi16ELi64Ej6__halfLNS0_11ScoringFuncE1EEEvPKT5_PKbPfiPT4_PiiiibPKf
                                        ; -- End function
	.section	.AMDGPU.csdata,"",@progbits
; Kernel info:
; codeLenInByte = 3412
; NumSgprs: 22
; NumVgprs: 47
; ScratchSize: 0
; MemoryBound: 0
; FloatMode: 240
; IeeeMode: 1
; LDSByteSize: 0 bytes/workgroup (compile time only)
; SGPRBlocks: 2
; VGPRBlocks: 5
; NumSGPRsForWavesPerEU: 22
; NumVGPRsForWavesPerEU: 47
; Occupancy: 16
; WaveLimiterHint : 0
; COMPUTE_PGM_RSRC2:SCRATCH_EN: 0
; COMPUTE_PGM_RSRC2:USER_SGPR: 15
; COMPUTE_PGM_RSRC2:TRAP_HANDLER: 0
; COMPUTE_PGM_RSRC2:TGID_X_EN: 1
; COMPUTE_PGM_RSRC2:TGID_Y_EN: 0
; COMPUTE_PGM_RSRC2:TGID_Z_EN: 0
; COMPUTE_PGM_RSRC2:TIDIG_COMP_CNT: 1
	.section	.text._ZN4vllm3moe10topkGatingILi16ELi512ELi4ELi16ELi32Ej6__halfLNS0_11ScoringFuncE1EEEvPKT5_PKbPfiPT4_PiiiibPKf,"axG",@progbits,_ZN4vllm3moe10topkGatingILi16ELi512ELi4ELi16ELi32Ej6__halfLNS0_11ScoringFuncE1EEEvPKT5_PKbPfiPT4_PiiiibPKf,comdat
	.protected	_ZN4vllm3moe10topkGatingILi16ELi512ELi4ELi16ELi32Ej6__halfLNS0_11ScoringFuncE1EEEvPKT5_PKbPfiPT4_PiiiibPKf ; -- Begin function _ZN4vllm3moe10topkGatingILi16ELi512ELi4ELi16ELi32Ej6__halfLNS0_11ScoringFuncE1EEEvPKT5_PKbPfiPT4_PiiiibPKf
	.globl	_ZN4vllm3moe10topkGatingILi16ELi512ELi4ELi16ELi32Ej6__halfLNS0_11ScoringFuncE1EEEvPKT5_PKbPfiPT4_PiiiibPKf
	.p2align	8
	.type	_ZN4vllm3moe10topkGatingILi16ELi512ELi4ELi16ELi32Ej6__halfLNS0_11ScoringFuncE1EEEvPKT5_PKbPfiPT4_PiiiibPKf,@function
_ZN4vllm3moe10topkGatingILi16ELi512ELi4ELi16ELi32Ej6__halfLNS0_11ScoringFuncE1EEEvPKT5_PKbPfiPT4_PiiiibPKf: ; @_ZN4vllm3moe10topkGatingILi16ELi512ELi4ELi16ELi32Ej6__halfLNS0_11ScoringFuncE1EEEvPKT5_PKbPfiPT4_PiiiibPKf
; %bb.0:
	s_load_b32 s22, s[0:1], 0x18
	v_and_b32_e32 v1, 0x3ff, v0
	v_bfe_u32 v0, v0, 10, 10
	s_lshl_b32 s2, s15, 2
	s_delay_alu instid0(VALU_DEP_2) | instskip(NEXT) | instid1(VALU_DEP_1)
	v_lshrrev_b32_e32 v2, 5, v1
	v_add3_u32 v32, s2, v0, v2
	s_mov_b32 s2, exec_lo
	s_waitcnt lgkmcnt(0)
	s_delay_alu instid0(VALU_DEP_1)
	v_cmpx_gt_i32_e64 s22, v32
	s_cbranch_execz .LBB289_41
; %bb.1:
	s_clause 0x1
	s_load_b128 s[4:7], s[0:1], 0x0
	s_load_b64 s[20:21], s[0:1], 0x10
	s_mov_b32 s17, -1
	s_mov_b32 s23, -1
	s_waitcnt lgkmcnt(0)
	s_cmp_eq_u64 s[6:7], 0
	s_cbranch_scc1 .LBB289_3
; %bb.2:
	v_ashrrev_i32_e32 v0, 31, v32
	v_add_co_u32 v2, vcc_lo, s6, v32
	s_delay_alu instid0(VALU_DEP_2) | instskip(SKIP_3) | instid1(VALU_DEP_1)
	v_add_co_ci_u32_e32 v3, vcc_lo, s7, v0, vcc_lo
	global_load_u8 v0, v[2:3], off
	s_waitcnt vmcnt(0)
	v_and_b32_e32 v0, 1, v0
	v_cmp_eq_u32_e32 vcc_lo, 1, v0
	s_xor_b32 s2, vcc_lo, -1
	s_delay_alu instid0(SALU_CYCLE_1)
	s_or_not1_b32 s23, s2, exec_lo
.LBB289_3:
	v_lshlrev_b32_e32 v2, 9, v32
	v_and_b32_e32 v33, 31, v1
	s_load_b64 s[18:19], s[0:1], 0x40
	s_delay_alu instid0(VALU_DEP_2) | instskip(NEXT) | instid1(VALU_DEP_1)
	v_ashrrev_i32_e32 v3, 31, v2
	v_lshlrev_b64 v[0:1], 1, v[2:3]
	s_delay_alu instid0(VALU_DEP_3) | instskip(NEXT) | instid1(VALU_DEP_2)
	v_lshlrev_b32_e32 v2, 4, v33
	v_add_co_u32 v0, vcc_lo, s4, v0
	s_delay_alu instid0(VALU_DEP_3) | instskip(NEXT) | instid1(VALU_DEP_2)
	v_add_co_ci_u32_e32 v1, vcc_lo, s5, v1, vcc_lo
	v_add_co_u32 v4, vcc_lo, v0, v2
	s_delay_alu instid0(VALU_DEP_2)
	v_add_co_ci_u32_e32 v5, vcc_lo, 0, v1, vcc_lo
	s_waitcnt lgkmcnt(0)
	s_cmp_eq_u64 s[18:19], 0
	s_clause 0x1
	global_load_b128 v[0:3], v[4:5], off
	global_load_b128 v[4:7], v[4:5], off offset:512
	s_waitcnt vmcnt(1)
	v_cvt_f32_f16_e32 v8, v0
	v_cvt_f32_f16_e32 v10, v2
	v_lshrrev_b32_e32 v2, 16, v2
	s_waitcnt vmcnt(0)
	v_cvt_f32_f16_e32 v13, v5
	v_cvt_f32_f16_e32 v15, v7
	v_lshrrev_b32_e32 v7, 16, v7
	v_mul_f32_e32 v8, 0xbfb8aa3b, v8
	v_cvt_f32_f16_e32 v11, v3
	v_lshrrev_b32_e32 v3, 16, v3
	v_cvt_f32_f16_e32 v14, v6
	v_cvt_f32_f16_e32 v2, v2
	v_cvt_f32_f16_e32 v7, v7
	v_dual_mul_f32 v11, 0xbfb8aa3b, v11 :: v_dual_mul_f32 v10, 0xbfb8aa3b, v10
	v_mul_f32_e32 v13, 0xbfb8aa3b, v13
	v_exp_f32_e32 v8, v8
	v_cvt_f32_f16_e32 v3, v3
	v_mul_f32_e32 v14, 0xbfb8aa3b, v14
	v_dual_mul_f32 v2, 0xbfb8aa3b, v2 :: v_dual_mul_f32 v7, 0xbfb8aa3b, v7
	v_exp_f32_e32 v13, v13
	v_lshrrev_b32_e32 v0, 16, v0
	v_lshrrev_b32_e32 v5, 16, v5
	v_mul_f32_e32 v3, 0xbfb8aa3b, v3
	v_exp_f32_e32 v14, v14
	v_exp_f32_e32 v7, v7
	v_add_f32_e32 v8, 1.0, v8
	v_cvt_f32_f16_e32 v0, v0
	v_cvt_f32_f16_e32 v5, v5
	v_dual_mul_f32 v15, 0xbfb8aa3b, v15 :: v_dual_lshlrev_b32 v34, 3, v33
	v_add_f32_e32 v13, 1.0, v13
	v_div_scale_f32 v16, null, v8, v8, 1.0
	s_delay_alu instid0(VALU_DEP_4) | instskip(NEXT) | instid1(TRANS32_DEP_1)
	v_dual_mul_f32 v0, 0xbfb8aa3b, v0 :: v_dual_mul_f32 v5, 0xbfb8aa3b, v5
	v_dual_add_f32 v14, 1.0, v14 :: v_dual_add_f32 v35, 1.0, v7
	s_delay_alu instid0(VALU_DEP_3)
	v_rcp_f32_e32 v7, v16
	v_cvt_f32_f16_e32 v9, v1
	v_lshrrev_b32_e32 v1, 16, v1
	v_cvt_f32_f16_e32 v12, v4
	v_exp_f32_e32 v10, v10
	v_exp_f32_e32 v0, v0
	;; [unrolled: 1-line block ×3, first 2 shown]
	v_cvt_f32_f16_e32 v1, v1
	v_mul_f32_e32 v12, 0xbfb8aa3b, v12
	v_exp_f32_e32 v15, v15
	v_fma_f32 v67, -v16, v7, 1.0
	v_div_scale_f32 v17, vcc_lo, 1.0, v8, 1.0
	v_mul_f32_e32 v1, 0xbfb8aa3b, v1
	v_exp_f32_e32 v12, v12
	v_add_f32_e32 v10, 1.0, v10
	v_dual_add_f32 v0, 1.0, v0 :: v_dual_fmac_f32 v7, v67, v7
	v_add_f32_e32 v28, 1.0, v5
	v_div_scale_f32 v5, null, v14, v14, 1.0
	v_lshrrev_b32_e32 v4, 16, v4
	s_delay_alu instid0(VALU_DEP_4)
	v_mul_f32_e32 v75, v17, v7
	v_lshrrev_b32_e32 v6, 16, v6
	v_mul_f32_e32 v9, 0xbfb8aa3b, v9
	v_exp_f32_e32 v1, v1
	v_exp_f32_e32 v3, v3
	v_add_f32_e32 v15, 1.0, v15
	v_div_scale_f32 v20, null, v10, v10, 1.0
	v_rcp_f32_e32 v53, v5
	v_cvt_f32_f16_e32 v4, v4
	v_cvt_f32_f16_e32 v6, v6
	v_exp_f32_e32 v9, v9
	v_exp_f32_e32 v11, v11
	;; [unrolled: 1-line block ×3, first 2 shown]
	v_dual_add_f32 v12, 1.0, v12 :: v_dual_add_f32 v1, 1.0, v1
	v_rcp_f32_e32 v41, v20
	v_mul_f32_e32 v4, 0xbfb8aa3b, v4
	v_mul_f32_e32 v6, 0xbfb8aa3b, v6
	v_div_scale_f32 v36, null, v0, v0, 1.0
	v_fma_f32 v73, -v5, v53, 1.0
	s_delay_alu instid0(TRANS32_DEP_3) | instskip(SKIP_2) | instid1(VALU_DEP_4)
	v_add_f32_e32 v11, 1.0, v11
	v_add_f32_e32 v24, 1.0, v3
	v_div_scale_f32 v3, null, v12, v12, 1.0
	v_fmac_f32_e32 v53, v73, v53
	v_exp_f32_e32 v6, v6
	v_add_f32_e32 v9, 1.0, v9
	v_exp_f32_e32 v4, v4
	v_rcp_f32_e32 v47, v3
	v_rcp_f32_e32 v59, v36
	v_fma_f32 v69, -v20, v41, 1.0
	v_add_f32_e32 v22, 1.0, v2
	v_div_scale_f32 v18, null, v9, v9, 1.0
	v_div_scale_f32 v2, null, v11, v11, 1.0
	s_delay_alu instid0(VALU_DEP_4) | instskip(NEXT) | instid1(VALU_DEP_4)
	v_fmac_f32_e32 v41, v69, v41
	v_div_scale_f32 v42, null, v22, v22, 1.0
	s_delay_alu instid0(VALU_DEP_4) | instskip(NEXT) | instid1(VALU_DEP_3)
	v_rcp_f32_e32 v38, v18
	v_rcp_f32_e32 v44, v2
	v_fma_f32 v71, -v3, v47, 1.0
	v_add_f32_e32 v26, 1.0, v4
	v_div_scale_f32 v4, null, v13, v13, 1.0
	v_rcp_f32_e32 v61, v42
	s_delay_alu instid0(VALU_DEP_3) | instskip(SKIP_4) | instid1(VALU_DEP_4)
	v_fmac_f32_e32 v47, v71, v47
	v_fma_f32 v67, -v36, v59, 1.0
	v_add_f32_e32 v30, 1.0, v6
	v_div_scale_f32 v6, null, v15, v15, 1.0
	v_div_scale_f32 v39, null, v1, v1, 1.0
	v_fmac_f32_e32 v59, v67, v59
	v_div_scale_f32 v48, null, v26, v26, 1.0
	v_rcp_f32_e32 v50, v4
	v_rcp_f32_e32 v56, v6
	v_div_scale_f32 v57, null, v35, v35, 1.0
	v_div_scale_f32 v51, null, v28, v28, 1.0
	;; [unrolled: 1-line block ×4, first 2 shown]
	v_rcp_f32_e32 v60, v39
	v_rcp_f32_e32 v63, v48
	;; [unrolled: 1-line block ×3, first 2 shown]
	v_fma_f32 v68, -v18, v38, 1.0
	v_fma_f32 v70, -v2, v44, 1.0
	;; [unrolled: 1-line block ×3, first 2 shown]
	v_rcp_f32_e32 v64, v51
	v_div_scale_f32 v19, s2, 1.0, v9, 1.0
	v_div_scale_f32 v23, s4, 1.0, v11, 1.0
	v_rcp_f32_e32 v62, v45
	v_rcp_f32_e32 v65, v54
	v_fma_f32 v72, -v4, v50, 1.0
	v_fma_f32 v74, -v6, v56, 1.0
	v_dual_fmac_f32 v38, v68, v38 :: v_dual_fmac_f32 v61, v69, v61
	v_fmac_f32_e32 v44, v70, v44
	v_div_scale_f32 v27, s6, 1.0, v13, 1.0
	s_delay_alu instid0(VALU_DEP_3)
	v_mul_f32_e32 v67, v19, v38
	v_fma_f32 v68, -v39, v60, 1.0
	v_fma_f32 v71, -v48, v63, 1.0
	v_dual_fmac_f32 v50, v72, v50 :: v_dual_mul_f32 v69, v23, v44
	v_fmac_f32_e32 v56, v74, v56
	v_fma_f32 v74, -v57, v66, 1.0
	s_delay_alu instid0(VALU_DEP_4)
	v_fmac_f32_e32 v63, v71, v63
	v_div_scale_f32 v21, s3, 1.0, v10, 1.0
	v_div_scale_f32 v29, s7, 1.0, v14, 1.0
	;; [unrolled: 1-line block ×3, first 2 shown]
	v_fma_f32 v72, -v51, v64, 1.0
	v_div_scale_f32 v31, s8, 1.0, v15, 1.0
	v_div_scale_f32 v40, s10, 1.0, v1, 1.0
	v_fma_f32 v70, -v45, v62, 1.0
	v_fma_f32 v73, -v54, v65, 1.0
	v_dual_fmac_f32 v60, v68, v60 :: v_dual_mul_f32 v71, v27, v50
	v_fma_f32 v81, -v2, v69, v23
	v_fmac_f32_e32 v66, v74, v66
	v_fma_f32 v74, -v16, v75, v17
	v_mul_f32_e32 v68, v21, v41
	v_fmac_f32_e32 v64, v72, v64
	v_mul_f32_e32 v72, v29, v53
	v_mul_f32_e32 v76, v37, v59
	v_div_scale_f32 v43, s11, 1.0, v22, 1.0
	v_dual_fmac_f32 v62, v70, v62 :: v_dual_fmac_f32 v65, v73, v65
	v_mul_f32_e32 v73, v31, v56
	v_fma_f32 v77, -v18, v67, v19
	v_mul_f32_e32 v78, v40, v60
	v_fma_f32 v85, -v4, v71, v27
	v_fmac_f32_e32 v75, v74, v7
	v_fma_f32 v79, -v20, v68, v21
	v_fmac_f32_e32 v67, v77, v38
	v_fma_f32 v87, -v5, v72, v29
	v_fma_f32 v74, -v36, v76, v37
	v_div_scale_f32 v46, s12, 1.0, v24, 1.0
	v_dual_mul_f32 v80, v43, v61 :: v_dual_fmac_f32 v71, v85, v50
	v_fma_f32 v89, -v6, v73, v31
	v_fma_f32 v77, -v39, v78, v40
	;; [unrolled: 1-line block ×3, first 2 shown]
	v_fmac_f32_e32 v68, v79, v41
	v_fmac_f32_e32 v72, v87, v53
	;; [unrolled: 1-line block ×3, first 2 shown]
	v_dual_mul_f32 v82, v46, v62 :: v_dual_fmac_f32 v73, v89, v56
	v_fma_f32 v17, -v18, v67, v19
	v_fmac_f32_e32 v78, v77, v60
	v_fma_f32 v19, -v4, v71, v27
	v_div_fmas_f32 v4, v16, v7, v75
	v_fma_f32 v18, -v20, v68, v21
	v_fma_f32 v20, -v5, v72, v29
	;; [unrolled: 1-line block ×4, first 2 shown]
	s_mov_b32 vcc_lo, s9
	v_fma_f32 v21, -v6, v73, v31
	v_fma_f32 v6, -v39, v78, v40
	v_div_fixup_f32 v4, v4, v8, 1.0
	v_div_fmas_f32 v5, v5, v59, v76
	s_mov_b32 vcc_lo, s2
	v_fmac_f32_e32 v80, v79, v61
	v_div_fmas_f32 v8, v17, v38, v67
	s_mov_b32 vcc_lo, s10
	v_fmac_f32_e32 v69, v81, v44
	v_div_fmas_f32 v6, v6, v60, v78
	v_cmp_class_f32_e64 vcc_lo, v4, 0x1f8
	v_fma_f32 v7, -v42, v80, v43
	v_div_fixup_f32 v5, v5, v0, 1.0
	v_div_scale_f32 v25, s5, 1.0, v12, 1.0
	v_cndmask_b32_e32 v0, 0, v4, vcc_lo
	s_mov_b32 vcc_lo, s3
	v_fma_f32 v2, -v2, v69, v23
	v_div_fmas_f32 v4, v18, v41, v68
	s_mov_b32 vcc_lo, s11
	v_fma_f32 v81, -v45, v82, v46
	v_div_fmas_f32 v7, v7, v61, v80
	s_mov_b32 vcc_lo, s4
	v_div_fixup_f32 v8, v8, v9, 1.0
	v_div_fmas_f32 v9, v2, v44, v69
	v_cmp_class_f32_e64 vcc_lo, v5, 0x1f8
	v_mul_f32_e32 v70, v25, v47
	v_div_scale_f32 v49, s13, 1.0, v26, 1.0
	v_fmac_f32_e32 v82, v81, v62
	v_div_fixup_f32 v6, v6, v1, 1.0
	v_cndmask_b32_e32 v1, 0, v5, vcc_lo
	v_fma_f32 v83, -v3, v70, v25
	v_mul_f32_e32 v84, v49, v63
	v_fma_f32 v16, -v45, v82, v46
	s_mov_b32 vcc_lo, s12
	v_div_fixup_f32 v4, v4, v10, 1.0
	v_fmac_f32_e32 v70, v83, v47
	v_fma_f32 v83, -v48, v84, v49
	v_div_fmas_f32 v5, v16, v62, v82
	v_cmp_class_f32_e64 vcc_lo, v8, 0x1f8
	v_div_scale_f32 v52, s14, 1.0, v28, 1.0
	v_fma_f32 v3, -v3, v70, v25
	v_fmac_f32_e32 v84, v83, v63
	v_cndmask_b32_e32 v2, 0, v8, vcc_lo
	s_mov_b32 vcc_lo, s5
	v_div_fixup_f32 v7, v7, v22, 1.0
	v_div_fmas_f32 v8, v3, v47, v70
	v_cmp_class_f32_e64 vcc_lo, v6, 0x1f8
	v_fma_f32 v23, -v48, v84, v49
	v_div_fixup_f32 v10, v5, v24, 1.0
	v_div_scale_f32 v55, s15, 1.0, v30, 1.0
	v_cndmask_b32_e32 v3, 0, v6, vcc_lo
	s_mov_b32 vcc_lo, s13
	v_div_fixup_f32 v6, v9, v11, 1.0
	v_div_fmas_f32 v9, v23, v63, v84
	v_cmp_class_f32_e64 vcc_lo, v4, 0x1f8
	v_div_fixup_f32 v8, v8, v12, 1.0
	v_div_scale_f32 v58, s16, 1.0, v35, 1.0
	s_delay_alu instid0(VALU_DEP_4)
	v_div_fixup_f32 v9, v9, v26, 1.0
	v_cndmask_b32_e32 v4, 0, v4, vcc_lo
	s_mov_b32 vcc_lo, s6
	v_div_fmas_f32 v11, v19, v50, v71
	v_cmp_class_f32_e64 vcc_lo, v7, 0x1f8
	v_dual_mul_f32 v86, v52, v64 :: v_dual_cndmask_b32 v5, 0, v7
	s_delay_alu instid0(VALU_DEP_1) | instskip(SKIP_1) | instid1(VALU_DEP_1)
	v_fma_f32 v85, -v51, v86, v52
	s_mov_b32 vcc_lo, s14
	v_fmac_f32_e32 v86, v85, v64
	s_delay_alu instid0(VALU_DEP_1) | instskip(NEXT) | instid1(VALU_DEP_1)
	v_fma_f32 v25, -v51, v86, v52
	v_div_fmas_f32 v12, v25, v64, v86
	v_cmp_class_f32_e64 vcc_lo, v6, 0x1f8
	s_delay_alu instid0(VALU_DEP_2) | instskip(SKIP_4) | instid1(VALU_DEP_3)
	v_div_fixup_f32 v12, v12, v28, 1.0
	v_mul_f32_e32 v88, v55, v65
	v_cndmask_b32_e32 v6, 0, v6, vcc_lo
	s_mov_b32 vcc_lo, s7
	v_div_fmas_f32 v16, v20, v53, v72
	v_fma_f32 v87, -v54, v88, v55
	v_cmp_class_f32_e64 vcc_lo, v10, 0x1f8
	s_delay_alu instid0(VALU_DEP_3) | instskip(NEXT) | instid1(VALU_DEP_3)
	v_div_fixup_f32 v14, v16, v14, 1.0
	v_dual_fmac_f32 v88, v87, v65 :: v_dual_cndmask_b32 v7, 0, v10
	s_mov_b32 vcc_lo, s15
	v_div_fixup_f32 v10, v11, v13, 1.0
	s_delay_alu instid0(VALU_DEP_2) | instskip(NEXT) | instid1(VALU_DEP_1)
	v_fma_f32 v27, -v54, v88, v55
	v_div_fmas_f32 v11, v27, v65, v88
	v_cmp_class_f32_e64 vcc_lo, v8, 0x1f8
	s_delay_alu instid0(VALU_DEP_2) | instskip(SKIP_4) | instid1(VALU_DEP_3)
	v_div_fixup_f32 v17, v11, v30, 1.0
	v_mul_f32_e32 v90, v58, v66
	v_cndmask_b32_e32 v8, 0, v8, vcc_lo
	s_mov_b32 vcc_lo, s8
	v_div_fmas_f32 v13, v21, v56, v73
	v_fma_f32 v89, -v57, v90, v58
	v_cmp_class_f32_e64 vcc_lo, v9, 0x1f8
	s_delay_alu instid0(VALU_DEP_3) | instskip(NEXT) | instid1(VALU_DEP_3)
	v_div_fixup_f32 v15, v13, v15, 1.0
	v_dual_fmac_f32 v90, v89, v66 :: v_dual_cndmask_b32 v9, 0, v9
	s_mov_b32 vcc_lo, s16
	s_delay_alu instid0(VALU_DEP_1) | instskip(NEXT) | instid1(VALU_DEP_1)
	v_fma_f32 v29, -v57, v90, v58
	v_div_fmas_f32 v16, v29, v66, v90
	v_cmp_class_f32_e64 vcc_lo, v10, 0x1f8
	s_delay_alu instid0(VALU_DEP_2)
	v_div_fixup_f32 v16, v16, v35, 1.0
	v_cndmask_b32_e32 v10, 0, v10, vcc_lo
	v_cmp_class_f32_e64 vcc_lo, v12, 0x1f8
	v_cndmask_b32_e32 v11, 0, v12, vcc_lo
	v_cmp_class_f32_e64 vcc_lo, v14, 0x1f8
	;; [unrolled: 2-line block ×5, first 2 shown]
	v_cndmask_b32_e32 v15, 0, v16, vcc_lo
	s_cbranch_scc1 .LBB289_35
; %bb.4:
	v_lshlrev_b32_e32 v28, 2, v34
	s_clause 0x3
	global_load_b128 v[16:19], v28, s[18:19]
	global_load_b128 v[20:23], v28, s[18:19] offset:16
	global_load_b128 v[24:27], v28, s[18:19] offset:1024
	;; [unrolled: 1-line block ×3, first 2 shown]
	s_waitcnt vmcnt(3)
	v_dual_add_f32 v17, v17, v1 :: v_dual_add_f32 v16, v16, v0
	v_dual_add_f32 v19, v19, v3 :: v_dual_add_f32 v18, v18, v2
	s_waitcnt vmcnt(2)
	v_dual_add_f32 v21, v21, v5 :: v_dual_add_f32 v20, v20, v4
	v_dual_add_f32 v23, v23, v7 :: v_dual_add_f32 v22, v22, v6
	;; [unrolled: 3-line block ×4, first 2 shown]
	s_cbranch_execnz .LBB289_6
.LBB289_5:
	v_dual_mov_b32 v31, v15 :: v_dual_mov_b32 v30, v14
	v_dual_mov_b32 v29, v13 :: v_dual_mov_b32 v28, v12
	;; [unrolled: 1-line block ×8, first 2 shown]
.LBB289_6:
	s_load_b128 s[12:15], s[0:1], 0x30
	v_cmp_eq_u32_e64 s2, 0, v33
	s_mov_b32 s10, 0
	s_waitcnt lgkmcnt(0)
	s_bitcmp1_b32 s15, 0
	s_cselect_b32 vcc_lo, -1, 0
	s_cmp_gt_i32 s12, 0
	s_cselect_b32 s9, -1, 0
	s_cmp_lt_i32 s12, 1
	s_cbranch_scc1 .LBB289_36
; %bb.7:
	v_mbcnt_lo_u32_b32 v36, -1, 0
	s_load_b128 s[16:19], s[0:1], 0x20
	v_mul_lo_u32 v35, v32, s12
	v_mov_b32_e32 v42, v32
	s_delay_alu instid0(VALU_DEP_3)
	v_xor_b32_e32 v37, 16, v36
	v_xor_b32_e32 v38, 8, v36
	;; [unrolled: 1-line block ×5, first 2 shown]
	v_cmp_gt_i32_e64 s0, 32, v37
	s_delay_alu instid0(VALU_DEP_1) | instskip(SKIP_1) | instid1(VALU_DEP_2)
	v_cndmask_b32_e64 v37, v36, v37, s0
	v_cmp_gt_i32_e64 s0, 32, v38
	v_lshlrev_b32_e32 v37, 2, v37
	s_delay_alu instid0(VALU_DEP_2) | instskip(SKIP_1) | instid1(VALU_DEP_2)
	v_cndmask_b32_e64 v38, v36, v38, s0
	v_cmp_gt_i32_e64 s0, 32, v39
	v_lshlrev_b32_e32 v38, 2, v38
	s_delay_alu instid0(VALU_DEP_2) | instskip(SKIP_1) | instid1(VALU_DEP_2)
	;; [unrolled: 4-line block ×3, first 2 shown]
	v_cndmask_b32_e64 v40, v36, v40, s0
	v_cmp_gt_i32_e64 s0, 32, v41
	v_lshlrev_b32_e32 v40, 2, v40
	s_delay_alu instid0(VALU_DEP_2) | instskip(NEXT) | instid1(VALU_DEP_1)
	v_cndmask_b32_e64 v36, v36, v41, s0
	v_dual_mov_b32 v36, 0 :: v_dual_lshlrev_b32 v41, 2, v36
	s_branch .LBB289_10
.LBB289_8:                              ;   in Loop: Header=BB289_10 Depth=1
	s_or_b32 exec_lo, exec_lo, s1
.LBB289_9:                              ;   in Loop: Header=BB289_10 Depth=1
	v_add_nc_u32_e32 v42, s22, v42
	s_cmp_eq_u32 s12, s10
	s_cbranch_scc1 .LBB289_37
.LBB289_10:                             ; =>This Inner Loop Header: Depth=1
	v_cmp_gt_f32_e64 s0, v17, v16
	s_delay_alu instid0(VALU_DEP_1) | instskip(SKIP_2) | instid1(VALU_DEP_3)
	v_cndmask_b32_e64 v44, v16, v17, s0
	v_cndmask_b32_e64 v43, 0, 1, s0
	;; [unrolled: 1-line block ×3, first 2 shown]
	v_cmp_gt_f32_e64 s1, v18, v44
	s_delay_alu instid0(VALU_DEP_1) | instskip(NEXT) | instid1(VALU_DEP_4)
	v_cndmask_b32_e64 v44, v44, v18, s1
	v_cndmask_b32_e64 v43, v43, 2, s1
	s_delay_alu instid0(VALU_DEP_4) | instskip(NEXT) | instid1(VALU_DEP_3)
	v_cndmask_b32_e64 v45, v45, v2, s1
	v_cmp_gt_f32_e64 s3, v19, v44
	s_delay_alu instid0(VALU_DEP_1) | instskip(NEXT) | instid1(VALU_DEP_4)
	v_cndmask_b32_e64 v44, v44, v19, s3
	v_cndmask_b32_e64 v43, v43, 3, s3
	s_delay_alu instid0(VALU_DEP_4) | instskip(NEXT) | instid1(VALU_DEP_3)
	v_cndmask_b32_e64 v45, v45, v3, s3
	;; [unrolled: 6-line block ×10, first 2 shown]
	v_cmp_gt_f32_e64 s4, v28, v44
	s_delay_alu instid0(VALU_DEP_1) | instskip(NEXT) | instid1(VALU_DEP_4)
	v_cndmask_b32_e64 v44, v44, v28, s4
	v_cndmask_b32_e64 v43, v43, 0x104, s4
	s_delay_alu instid0(VALU_DEP_4) | instskip(SKIP_1) | instid1(VALU_DEP_3)
	v_cndmask_b32_e64 v45, v45, v12, s4
	s_mov_b32 s4, exec_lo
	v_cmp_gt_f32_e64 s0, v29, v44
	s_delay_alu instid0(VALU_DEP_1) | instskip(SKIP_2) | instid1(VALU_DEP_3)
	v_cndmask_b32_e64 v44, v44, v29, s0
	v_cndmask_b32_e64 v43, v43, 0x105, s0
	;; [unrolled: 1-line block ×3, first 2 shown]
	v_cmp_gt_f32_e64 s1, v30, v44
	s_delay_alu instid0(VALU_DEP_1) | instskip(NEXT) | instid1(VALU_DEP_4)
	v_cndmask_b32_e64 v44, v44, v30, s1
	v_cndmask_b32_e64 v43, v43, 0x106, s1
	s_waitcnt lgkmcnt(0)
	v_cndmask_b32_e64 v46, v45, v14, s1
	s_delay_alu instid0(VALU_DEP_3) | instskip(NEXT) | instid1(VALU_DEP_1)
	v_cmp_gt_f32_e64 s0, v31, v44
	v_cndmask_b32_e64 v43, v43, 0x107, s0
	v_cndmask_b32_e64 v45, v44, v31, s0
	s_delay_alu instid0(VALU_DEP_4) | instskip(NEXT) | instid1(VALU_DEP_3)
	v_cndmask_b32_e64 v44, v46, v15, s0
	v_or_b32_e32 v43, v34, v43
	ds_bpermute_b32 v46, v37, v45
	ds_bpermute_b32 v48, v37, v44
	;; [unrolled: 1-line block ×3, first 2 shown]
	s_waitcnt lgkmcnt(0)
	v_cmp_lt_f32_e64 s3, v45, v46
	v_cmpx_nlt_f32_e32 v45, v46
; %bb.11:                               ;   in Loop: Header=BB289_10 Depth=1
	v_cmp_eq_f32_e64 s0, v45, v46
	v_cmp_lt_i32_e64 s1, v47, v43
	s_delay_alu instid0(VALU_DEP_1) | instskip(SKIP_2) | instid1(SALU_CYCLE_1)
	s_and_b32 s0, s0, s1
	s_and_not1_b32 s1, s3, exec_lo
	s_and_b32 s0, s0, exec_lo
	s_or_b32 s3, s1, s0
; %bb.12:                               ;   in Loop: Header=BB289_10 Depth=1
	s_or_b32 exec_lo, exec_lo, s4
	s_and_saveexec_b32 s0, s3
; %bb.13:                               ;   in Loop: Header=BB289_10 Depth=1
	v_dual_mov_b32 v44, v48 :: v_dual_mov_b32 v45, v46
	v_mov_b32_e32 v43, v47
; %bb.14:                               ;   in Loop: Header=BB289_10 Depth=1
	s_or_b32 exec_lo, exec_lo, s0
	ds_bpermute_b32 v46, v38, v45
	ds_bpermute_b32 v48, v38, v44
	;; [unrolled: 1-line block ×3, first 2 shown]
	s_mov_b32 s4, exec_lo
	s_waitcnt lgkmcnt(2)
	v_cmp_lt_f32_e64 s3, v45, v46
	v_cmpx_nlt_f32_e32 v45, v46
	s_cbranch_execz .LBB289_16
; %bb.15:                               ;   in Loop: Header=BB289_10 Depth=1
	v_cmp_eq_f32_e64 s0, v45, v46
	s_waitcnt lgkmcnt(0)
	v_cmp_lt_i32_e64 s1, v47, v43
	s_delay_alu instid0(VALU_DEP_1) | instskip(SKIP_2) | instid1(SALU_CYCLE_1)
	s_and_b32 s0, s0, s1
	s_and_not1_b32 s1, s3, exec_lo
	s_and_b32 s0, s0, exec_lo
	s_or_b32 s3, s1, s0
.LBB289_16:                             ;   in Loop: Header=BB289_10 Depth=1
	s_or_b32 exec_lo, exec_lo, s4
	s_delay_alu instid0(VALU_DEP_2)
	s_and_saveexec_b32 s0, s3
	s_cbranch_execz .LBB289_18
; %bb.17:                               ;   in Loop: Header=BB289_10 Depth=1
	s_waitcnt lgkmcnt(1)
	v_dual_mov_b32 v44, v48 :: v_dual_mov_b32 v45, v46
	s_waitcnt lgkmcnt(0)
	v_mov_b32_e32 v43, v47
.LBB289_18:                             ;   in Loop: Header=BB289_10 Depth=1
	s_or_b32 exec_lo, exec_lo, s0
	ds_bpermute_b32 v46, v39, v45
	s_waitcnt lgkmcnt(2)
	ds_bpermute_b32 v48, v39, v44
	s_waitcnt lgkmcnt(2)
	ds_bpermute_b32 v47, v39, v43
	s_mov_b32 s4, exec_lo
	s_waitcnt lgkmcnt(2)
	v_cmp_lt_f32_e64 s3, v45, v46
	v_cmpx_nlt_f32_e32 v45, v46
	s_cbranch_execz .LBB289_20
; %bb.19:                               ;   in Loop: Header=BB289_10 Depth=1
	v_cmp_eq_f32_e64 s0, v45, v46
	s_waitcnt lgkmcnt(0)
	v_cmp_lt_i32_e64 s1, v47, v43
	s_delay_alu instid0(VALU_DEP_1) | instskip(SKIP_2) | instid1(SALU_CYCLE_1)
	s_and_b32 s0, s0, s1
	s_and_not1_b32 s1, s3, exec_lo
	s_and_b32 s0, s0, exec_lo
	s_or_b32 s3, s1, s0
.LBB289_20:                             ;   in Loop: Header=BB289_10 Depth=1
	s_or_b32 exec_lo, exec_lo, s4
	s_delay_alu instid0(VALU_DEP_2)
	s_and_saveexec_b32 s0, s3
	s_cbranch_execz .LBB289_22
; %bb.21:                               ;   in Loop: Header=BB289_10 Depth=1
	s_waitcnt lgkmcnt(1)
	v_dual_mov_b32 v44, v48 :: v_dual_mov_b32 v45, v46
	s_waitcnt lgkmcnt(0)
	v_mov_b32_e32 v43, v47
.LBB289_22:                             ;   in Loop: Header=BB289_10 Depth=1
	s_or_b32 exec_lo, exec_lo, s0
	ds_bpermute_b32 v46, v40, v45
	s_waitcnt lgkmcnt(2)
	ds_bpermute_b32 v48, v40, v44
	s_waitcnt lgkmcnt(2)
	ds_bpermute_b32 v47, v40, v43
	s_mov_b32 s4, exec_lo
	s_waitcnt lgkmcnt(2)
	v_cmp_lt_f32_e64 s3, v45, v46
	v_cmpx_nlt_f32_e32 v45, v46
	s_cbranch_execz .LBB289_24
; %bb.23:                               ;   in Loop: Header=BB289_10 Depth=1
	v_cmp_eq_f32_e64 s0, v45, v46
	s_waitcnt lgkmcnt(0)
	v_cmp_lt_i32_e64 s1, v47, v43
	s_delay_alu instid0(VALU_DEP_1) | instskip(SKIP_2) | instid1(SALU_CYCLE_1)
	s_and_b32 s0, s0, s1
	s_and_not1_b32 s1, s3, exec_lo
	s_and_b32 s0, s0, exec_lo
	s_or_b32 s3, s1, s0
.LBB289_24:                             ;   in Loop: Header=BB289_10 Depth=1
	s_or_b32 exec_lo, exec_lo, s4
	s_delay_alu instid0(VALU_DEP_2)
	s_and_saveexec_b32 s0, s3
	s_cbranch_execz .LBB289_26
; %bb.25:                               ;   in Loop: Header=BB289_10 Depth=1
	s_waitcnt lgkmcnt(1)
	v_dual_mov_b32 v44, v48 :: v_dual_mov_b32 v45, v46
	s_waitcnt lgkmcnt(0)
	v_mov_b32_e32 v43, v47
.LBB289_26:                             ;   in Loop: Header=BB289_10 Depth=1
	s_or_b32 exec_lo, exec_lo, s0
	s_waitcnt lgkmcnt(1)
	ds_bpermute_b32 v48, v41, v45
	ds_bpermute_b32 v46, v41, v44
	s_waitcnt lgkmcnt(2)
	ds_bpermute_b32 v47, v41, v43
	s_mov_b32 s4, exec_lo
	s_waitcnt lgkmcnt(2)
	v_cmp_lt_f32_e64 s3, v45, v48
	v_cmpx_nlt_f32_e32 v45, v48
	s_cbranch_execnz .LBB289_30
; %bb.27:                               ;   in Loop: Header=BB289_10 Depth=1
	s_or_b32 exec_lo, exec_lo, s4
	s_delay_alu instid0(VALU_DEP_2)
	s_and_saveexec_b32 s0, s3
	s_cbranch_execnz .LBB289_31
.LBB289_28:                             ;   in Loop: Header=BB289_10 Depth=1
	s_or_b32 exec_lo, exec_lo, s0
	s_and_saveexec_b32 s3, s2
	s_cbranch_execnz .LBB289_32
.LBB289_29:                             ;   in Loop: Header=BB289_10 Depth=1
	s_or_b32 exec_lo, exec_lo, s3
	s_add_i32 s10, s10, 1
	s_delay_alu instid0(SALU_CYCLE_1)
	s_cmp_ge_i32 s10, s12
	s_cbranch_scc1 .LBB289_9
	s_branch .LBB289_33
.LBB289_30:                             ;   in Loop: Header=BB289_10 Depth=1
	v_cmp_eq_f32_e64 s0, v45, v48
	s_waitcnt lgkmcnt(0)
	v_cmp_lt_i32_e64 s1, v47, v43
	s_delay_alu instid0(VALU_DEP_1) | instskip(SKIP_2) | instid1(SALU_CYCLE_1)
	s_and_b32 s0, s0, s1
	s_and_not1_b32 s1, s3, exec_lo
	s_and_b32 s0, s0, exec_lo
	s_or_b32 s3, s1, s0
	s_or_b32 exec_lo, exec_lo, s4
	s_and_saveexec_b32 s0, s3
	s_cbranch_execz .LBB289_28
.LBB289_31:                             ;   in Loop: Header=BB289_10 Depth=1
	s_waitcnt lgkmcnt(0)
	v_dual_mov_b32 v43, v47 :: v_dual_mov_b32 v44, v46
	s_or_b32 exec_lo, exec_lo, s0
	s_and_saveexec_b32 s3, s2
	s_cbranch_execz .LBB289_29
.LBB289_32:                             ;   in Loop: Header=BB289_10 Depth=1
	s_delay_alu instid0(VALU_DEP_1)
	v_dual_add_f32 v52, v36, v44 :: v_dual_add_nc_u32 v45, s10, v35
	v_cmp_le_i32_e64 s0, s13, v43
	v_cmp_gt_i32_e64 s1, s14, v43
	s_waitcnt lgkmcnt(0)
	v_subrev_nc_u32_e32 v47, s13, v43
	v_ashrrev_i32_e32 v46, 31, v45
	v_cndmask_b32_e32 v36, v36, v52, vcc_lo
	s_and_b32 s0, s0, s1
	s_delay_alu instid0(SALU_CYCLE_1) | instskip(NEXT) | instid1(VALU_DEP_2)
	s_and_b32 s0, s23, s0
	v_lshlrev_b64 v[45:46], 2, v[45:46]
	v_cndmask_b32_e64 v51, 0x200, v47, s0
	s_delay_alu instid0(VALU_DEP_2) | instskip(NEXT) | instid1(VALU_DEP_1)
	v_add_co_u32 v47, s0, s20, v45
	v_add_co_ci_u32_e64 v48, s0, s21, v46, s0
	v_add_co_u32 v49, s0, s16, v45
	s_delay_alu instid0(VALU_DEP_1) | instskip(SKIP_1) | instid1(VALU_DEP_1)
	v_add_co_ci_u32_e64 v50, s0, s17, v46, s0
	v_add_co_u32 v45, s0, s18, v45
	v_add_co_ci_u32_e64 v46, s0, s19, v46, s0
	global_store_b32 v[47:48], v44, off
	global_store_b32 v[49:50], v51, off
	;; [unrolled: 1-line block ×3, first 2 shown]
	s_or_b32 exec_lo, exec_lo, s3
	s_add_i32 s10, s10, 1
	s_delay_alu instid0(SALU_CYCLE_1)
	s_cmp_ge_i32 s10, s12
	s_cbranch_scc1 .LBB289_9
.LBB289_33:                             ;   in Loop: Header=BB289_10 Depth=1
	v_ashrrev_i32_e32 v44, 31, v43
	s_mov_b32 s1, exec_lo
	s_delay_alu instid0(VALU_DEP_1) | instskip(NEXT) | instid1(VALU_DEP_1)
	v_lshrrev_b32_e32 v45, 29, v44
	v_add_nc_u32_e32 v45, v43, v45
	s_waitcnt lgkmcnt(1)
	s_delay_alu instid0(VALU_DEP_1) | instskip(SKIP_1) | instid1(VALU_DEP_2)
	v_ashrrev_i32_e32 v46, 31, v45
	v_ashrrev_i32_e32 v45, 3, v45
	v_lshrrev_b32_e32 v46, 27, v46
	s_delay_alu instid0(VALU_DEP_1) | instskip(NEXT) | instid1(VALU_DEP_1)
	v_add_nc_u32_e32 v46, v45, v46
	v_and_b32_e32 v46, 0xffffffe0, v46
	s_delay_alu instid0(VALU_DEP_1) | instskip(NEXT) | instid1(VALU_DEP_1)
	v_sub_nc_u32_e32 v46, v45, v46
	v_cmpx_eq_u32_e64 v33, v46
	s_cbranch_execz .LBB289_8
; %bb.34:                               ;   in Loop: Header=BB289_10 Depth=1
	v_lshrrev_b32_e32 v44, 24, v44
	v_lshlrev_b32_e32 v45, 3, v45
	s_delay_alu instid0(VALU_DEP_2) | instskip(NEXT) | instid1(VALU_DEP_2)
	v_add_nc_u32_e32 v44, v43, v44
	v_sub_nc_u32_e32 v43, v43, v45
	s_delay_alu instid0(VALU_DEP_2) | instskip(NEXT) | instid1(VALU_DEP_1)
	v_ashrrev_i32_e32 v44, 8, v44
	v_lshl_add_u32 v43, v44, 3, v43
	s_delay_alu instid0(VALU_DEP_1) | instskip(NEXT) | instid1(VALU_DEP_1)
	v_cmp_ne_u32_e64 s0, 15, v43
	v_cndmask_b32_e64 v31, 0xc61c4000, v31, s0
	v_cmp_ne_u32_e64 s0, 14, v43
	s_delay_alu instid0(VALU_DEP_1) | instskip(SKIP_1) | instid1(VALU_DEP_1)
	v_cndmask_b32_e64 v30, 0xc61c4000, v30, s0
	v_cmp_ne_u32_e64 s0, 13, v43
	v_cndmask_b32_e64 v29, 0xc61c4000, v29, s0
	v_cmp_ne_u32_e64 s0, 12, v43
	s_delay_alu instid0(VALU_DEP_1) | instskip(SKIP_1) | instid1(VALU_DEP_1)
	v_cndmask_b32_e64 v28, 0xc61c4000, v28, s0
	;; [unrolled: 5-line block ×7, first 2 shown]
	v_cmp_ne_u32_e64 s0, 1, v43
	v_cndmask_b32_e64 v17, 0xc61c4000, v17, s0
	v_cmp_ne_u32_e64 s0, 0, v43
	s_delay_alu instid0(VALU_DEP_1)
	v_cndmask_b32_e64 v16, 0xc61c4000, v16, s0
	s_branch .LBB289_8
.LBB289_35:
                                        ; implicit-def: $vgpr16_vgpr17_vgpr18_vgpr19_vgpr20_vgpr21_vgpr22_vgpr23_vgpr24_vgpr25_vgpr26_vgpr27_vgpr28_vgpr29_vgpr30_vgpr31
	s_and_not1_b32 vcc_lo, exec_lo, s17
	s_cbranch_vccz .LBB289_5
	s_branch .LBB289_6
.LBB289_36:
	v_mov_b32_e32 v36, 0
.LBB289_37:
	v_cmp_eq_u32_e64 s0, 0, v33
	s_delay_alu instid0(VALU_DEP_1) | instskip(NEXT) | instid1(SALU_CYCLE_1)
	s_and_b32 s0, s0, vcc_lo
	s_and_b32 exec_lo, exec_lo, s0
	s_cbranch_execz .LBB289_41
; %bb.38:
	s_and_not1_b32 vcc_lo, exec_lo, s9
	s_cbranch_vccnz .LBB289_41
; %bb.39:
	v_mul_lo_u32 v0, v32, s12
	v_cmp_lt_f32_e32 vcc_lo, 0, v36
	v_cndmask_b32_e32 v2, 1.0, v36, vcc_lo
	s_delay_alu instid0(VALU_DEP_3) | instskip(NEXT) | instid1(VALU_DEP_1)
	v_ashrrev_i32_e32 v1, 31, v0
	v_lshlrev_b64 v[0:1], 2, v[0:1]
	s_delay_alu instid0(VALU_DEP_1) | instskip(NEXT) | instid1(VALU_DEP_2)
	v_add_co_u32 v0, vcc_lo, s20, v0
	v_add_co_ci_u32_e32 v1, vcc_lo, s21, v1, vcc_lo
	.p2align	6
.LBB289_40:                             ; =>This Inner Loop Header: Depth=1
	global_load_b32 v3, v[0:1], off
	s_add_i32 s12, s12, -1
	s_delay_alu instid0(SALU_CYCLE_1) | instskip(SKIP_3) | instid1(VALU_DEP_2)
	s_cmp_lg_u32 s12, 0
	s_waitcnt vmcnt(0)
	v_div_scale_f32 v4, null, v2, v2, v3
	v_div_scale_f32 v7, vcc_lo, v3, v2, v3
	v_rcp_f32_e32 v5, v4
	s_waitcnt_depctr 0xfff
	v_fma_f32 v6, -v4, v5, 1.0
	s_delay_alu instid0(VALU_DEP_1) | instskip(NEXT) | instid1(VALU_DEP_1)
	v_fmac_f32_e32 v5, v6, v5
	v_mul_f32_e32 v6, v7, v5
	s_delay_alu instid0(VALU_DEP_1) | instskip(NEXT) | instid1(VALU_DEP_1)
	v_fma_f32 v8, -v4, v6, v7
	v_fmac_f32_e32 v6, v8, v5
	s_delay_alu instid0(VALU_DEP_1) | instskip(NEXT) | instid1(VALU_DEP_1)
	v_fma_f32 v4, -v4, v6, v7
	v_div_fmas_f32 v4, v4, v5, v6
	s_delay_alu instid0(VALU_DEP_1)
	v_div_fixup_f32 v3, v4, v2, v3
	global_store_b32 v[0:1], v3, off
	v_add_co_u32 v0, vcc_lo, v0, 4
	v_add_co_ci_u32_e32 v1, vcc_lo, 0, v1, vcc_lo
	s_cbranch_scc1 .LBB289_40
.LBB289_41:
	s_nop 0
	s_sendmsg sendmsg(MSG_DEALLOC_VGPRS)
	s_endpgm
	.section	.rodata,"a",@progbits
	.p2align	6, 0x0
	.amdhsa_kernel _ZN4vllm3moe10topkGatingILi16ELi512ELi4ELi16ELi32Ej6__halfLNS0_11ScoringFuncE1EEEvPKT5_PKbPfiPT4_PiiiibPKf
		.amdhsa_group_segment_fixed_size 0
		.amdhsa_private_segment_fixed_size 0
		.amdhsa_kernarg_size 72
		.amdhsa_user_sgpr_count 15
		.amdhsa_user_sgpr_dispatch_ptr 0
		.amdhsa_user_sgpr_queue_ptr 0
		.amdhsa_user_sgpr_kernarg_segment_ptr 1
		.amdhsa_user_sgpr_dispatch_id 0
		.amdhsa_user_sgpr_private_segment_size 0
		.amdhsa_wavefront_size32 1
		.amdhsa_uses_dynamic_stack 0
		.amdhsa_enable_private_segment 0
		.amdhsa_system_sgpr_workgroup_id_x 1
		.amdhsa_system_sgpr_workgroup_id_y 0
		.amdhsa_system_sgpr_workgroup_id_z 0
		.amdhsa_system_sgpr_workgroup_info 0
		.amdhsa_system_vgpr_workitem_id 1
		.amdhsa_next_free_vgpr 91
		.amdhsa_next_free_sgpr 24
		.amdhsa_reserve_vcc 1
		.amdhsa_float_round_mode_32 0
		.amdhsa_float_round_mode_16_64 0
		.amdhsa_float_denorm_mode_32 3
		.amdhsa_float_denorm_mode_16_64 3
		.amdhsa_dx10_clamp 1
		.amdhsa_ieee_mode 1
		.amdhsa_fp16_overflow 0
		.amdhsa_workgroup_processor_mode 1
		.amdhsa_memory_ordered 1
		.amdhsa_forward_progress 0
		.amdhsa_shared_vgpr_count 0
		.amdhsa_exception_fp_ieee_invalid_op 0
		.amdhsa_exception_fp_denorm_src 0
		.amdhsa_exception_fp_ieee_div_zero 0
		.amdhsa_exception_fp_ieee_overflow 0
		.amdhsa_exception_fp_ieee_underflow 0
		.amdhsa_exception_fp_ieee_inexact 0
		.amdhsa_exception_int_div_zero 0
	.end_amdhsa_kernel
	.section	.text._ZN4vllm3moe10topkGatingILi16ELi512ELi4ELi16ELi32Ej6__halfLNS0_11ScoringFuncE1EEEvPKT5_PKbPfiPT4_PiiiibPKf,"axG",@progbits,_ZN4vllm3moe10topkGatingILi16ELi512ELi4ELi16ELi32Ej6__halfLNS0_11ScoringFuncE1EEEvPKT5_PKbPfiPT4_PiiiibPKf,comdat
.Lfunc_end289:
	.size	_ZN4vllm3moe10topkGatingILi16ELi512ELi4ELi16ELi32Ej6__halfLNS0_11ScoringFuncE1EEEvPKT5_PKbPfiPT4_PiiiibPKf, .Lfunc_end289-_ZN4vllm3moe10topkGatingILi16ELi512ELi4ELi16ELi32Ej6__halfLNS0_11ScoringFuncE1EEEvPKT5_PKbPfiPT4_PiiiibPKf
                                        ; -- End function
	.section	.AMDGPU.csdata,"",@progbits
; Kernel info:
; codeLenInByte = 4804
; NumSgprs: 26
; NumVgprs: 91
; ScratchSize: 0
; MemoryBound: 0
; FloatMode: 240
; IeeeMode: 1
; LDSByteSize: 0 bytes/workgroup (compile time only)
; SGPRBlocks: 3
; VGPRBlocks: 11
; NumSGPRsForWavesPerEU: 26
; NumVGPRsForWavesPerEU: 91
; Occupancy: 16
; WaveLimiterHint : 1
; COMPUTE_PGM_RSRC2:SCRATCH_EN: 0
; COMPUTE_PGM_RSRC2:USER_SGPR: 15
; COMPUTE_PGM_RSRC2:TRAP_HANDLER: 0
; COMPUTE_PGM_RSRC2:TGID_X_EN: 1
; COMPUTE_PGM_RSRC2:TGID_Y_EN: 0
; COMPUTE_PGM_RSRC2:TGID_Z_EN: 0
; COMPUTE_PGM_RSRC2:TIDIG_COMP_CNT: 1
	.section	.text._ZN4vllm3moe10topkGatingILi1ELi1ELi4ELi2ELi64El6__halfLNS0_11ScoringFuncE1EEEvPKT5_PKbPfiPT4_PiiiibPKf,"axG",@progbits,_ZN4vllm3moe10topkGatingILi1ELi1ELi4ELi2ELi64El6__halfLNS0_11ScoringFuncE1EEEvPKT5_PKbPfiPT4_PiiiibPKf,comdat
	.protected	_ZN4vllm3moe10topkGatingILi1ELi1ELi4ELi2ELi64El6__halfLNS0_11ScoringFuncE1EEEvPKT5_PKbPfiPT4_PiiiibPKf ; -- Begin function _ZN4vllm3moe10topkGatingILi1ELi1ELi4ELi2ELi64El6__halfLNS0_11ScoringFuncE1EEEvPKT5_PKbPfiPT4_PiiiibPKf
	.globl	_ZN4vllm3moe10topkGatingILi1ELi1ELi4ELi2ELi64El6__halfLNS0_11ScoringFuncE1EEEvPKT5_PKbPfiPT4_PiiiibPKf
	.p2align	8
	.type	_ZN4vllm3moe10topkGatingILi1ELi1ELi4ELi2ELi64El6__halfLNS0_11ScoringFuncE1EEEvPKT5_PKbPfiPT4_PiiiibPKf,@function
_ZN4vllm3moe10topkGatingILi1ELi1ELi4ELi2ELi64El6__halfLNS0_11ScoringFuncE1EEEvPKT5_PKbPfiPT4_PiiiibPKf: ; @_ZN4vllm3moe10topkGatingILi1ELi1ELi4ELi2ELi64El6__halfLNS0_11ScoringFuncE1EEEvPKT5_PKbPfiPT4_PiiiibPKf
; %bb.0:
	s_load_b32 s3, s[0:1], 0x18
	v_bfe_u32 v1, v0, 10, 10
	v_and_b32_e32 v0, 0x3ff, v0
	s_lshl_b32 s2, s15, 8
	s_delay_alu instid0(VALU_DEP_2) | instskip(NEXT) | instid1(VALU_DEP_1)
	v_lshlrev_b32_e32 v1, 6, v1
	v_add3_u32 v0, v1, v0, s2
	s_mov_b32 s2, exec_lo
	s_waitcnt lgkmcnt(0)
	s_delay_alu instid0(VALU_DEP_1)
	v_cmpx_gt_i32_e64 s3, v0
	s_cbranch_execz .LBB290_12
; %bb.1:
	s_clause 0x1
	s_load_b128 s[8:11], s[0:1], 0x0
	s_load_b64 s[12:13], s[0:1], 0x10
	v_ashrrev_i32_e32 v1, 31, v0
	s_waitcnt lgkmcnt(0)
	s_cmp_eq_u64 s[10:11], 0
	s_cbranch_scc1 .LBB290_3
; %bb.2:
	v_add_co_u32 v2, vcc_lo, s10, v0
	v_add_co_ci_u32_e32 v3, vcc_lo, s11, v1, vcc_lo
	global_load_u8 v2, v[2:3], off
	s_waitcnt vmcnt(0)
	v_and_b32_e32 v2, 1, v2
	s_delay_alu instid0(VALU_DEP_1) | instskip(SKIP_1) | instid1(SALU_CYCLE_1)
	v_cmp_eq_u32_e32 vcc_lo, 1, v2
	s_xor_b32 s2, vcc_lo, -1
	s_or_not1_b32 s14, s2, exec_lo
	s_branch .LBB290_4
.LBB290_3:
	s_mov_b32 s14, -1
.LBB290_4:
	s_load_b128 s[4:7], s[0:1], 0x30
	s_waitcnt lgkmcnt(0)
	s_bitcmp1_b32 s7, 0
	s_cselect_b32 s2, -1, 0
	s_cmp_gt_i32 s4, 0
	s_cselect_b32 s7, -1, 0
	s_cmp_lt_i32 s4, 1
	s_cbranch_scc1 .LBB290_8
; %bb.5:
	v_lshlrev_b64 v[1:2], 1, v[0:1]
	v_mul_lo_u32 v3, v0, s4
	s_cmp_lt_i32 s5, 1
	v_mov_b32_e32 v9, 0
	s_delay_alu instid0(VALU_DEP_3) | instskip(NEXT) | instid1(VALU_DEP_4)
	v_add_co_u32 v1, vcc_lo, s8, v1
	v_add_co_ci_u32_e32 v2, vcc_lo, s9, v2, vcc_lo
	s_load_b128 s[8:11], s[0:1], 0x20
	s_delay_alu instid0(VALU_DEP_4)
	v_ashrrev_i32_e32 v4, 31, v3
	s_cselect_b32 s0, -1, 0
	global_load_u16 v1, v[1:2], off
	s_cmp_gt_i32 s6, 0
	v_lshlrev_b64 v[5:6], 3, v[3:4]
	s_cselect_b32 s1, -1, 0
	v_lshlrev_b64 v[7:8], 2, v[3:4]
	s_sub_i32 s5, 0, s5
	s_and_b32 s0, s0, s1
	s_ashr_i32 s1, s5, 31
	s_and_b32 s0, s14, s0
	s_delay_alu instid0(SALU_CYCLE_1) | instskip(SKIP_2) | instid1(VALU_DEP_1)
	v_cndmask_b32_e64 v2, 0, s1, s0
	s_waitcnt vmcnt(0)
	v_cvt_f32_f16_e32 v1, v1
	v_mul_f32_e32 v1, 0xbfb8aa3b, v1
	s_delay_alu instid0(VALU_DEP_1) | instskip(SKIP_2) | instid1(VALU_DEP_1)
	v_exp_f32_e32 v1, v1
	s_waitcnt_depctr 0xfff
	v_add_f32_e32 v10, 1.0, v1
	v_div_scale_f32 v11, null, v10, v10, 1.0
	v_div_scale_f32 v13, vcc_lo, 1.0, v10, 1.0
	s_delay_alu instid0(VALU_DEP_2) | instskip(SKIP_2) | instid1(VALU_DEP_1)
	v_rcp_f32_e32 v12, v11
	s_waitcnt_depctr 0xfff
	v_fma_f32 v1, -v11, v12, 1.0
	v_fmac_f32_e32 v12, v1, v12
	s_delay_alu instid0(VALU_DEP_1) | instskip(NEXT) | instid1(VALU_DEP_1)
	v_mul_f32_e32 v14, v13, v12
	v_fma_f32 v1, -v11, v14, v13
	s_delay_alu instid0(VALU_DEP_1) | instskip(SKIP_2) | instid1(VALU_DEP_1)
	v_fmac_f32_e32 v14, v1, v12
	v_cndmask_b32_e64 v1, 1, s5, s0
	v_add_co_u32 v3, s0, s12, v7
	v_add_co_ci_u32_e64 v4, s0, s13, v8, s0
	s_delay_alu instid0(VALU_DEP_4) | instskip(SKIP_1) | instid1(VALU_DEP_1)
	v_fma_f32 v11, -v11, v14, v13
	s_mov_b32 s0, s4
	v_div_fmas_f32 v11, v11, v12, v14
	s_waitcnt lgkmcnt(0)
	v_add_co_u32 v5, vcc_lo, s8, v5
	v_add_co_ci_u32_e32 v6, vcc_lo, s9, v6, vcc_lo
	s_delay_alu instid0(VALU_DEP_3) | instskip(SKIP_3) | instid1(VALU_DEP_4)
	v_div_fixup_f32 v10, v11, v10, 1.0
	v_mov_b32_e32 v11, v0
	v_add_co_u32 v7, vcc_lo, s10, v7
	v_add_co_ci_u32_e32 v8, vcc_lo, s11, v8, vcc_lo
	v_cmp_class_f32_e64 vcc_lo, v10, 0x1f8
	v_cndmask_b32_e32 v10, 0, v10, vcc_lo
	.p2align	6
.LBB290_6:                              ; =>This Inner Loop Header: Depth=1
	global_store_b32 v[3:4], v10, off
	global_store_b64 v[5:6], v[1:2], off
	global_store_b32 v[7:8], v11, off
	v_add_co_u32 v3, vcc_lo, v3, 4
	v_add_co_ci_u32_e32 v4, vcc_lo, 0, v4, vcc_lo
	v_dual_add_f32 v12, v9, v10 :: v_dual_add_nc_u32 v11, s3, v11
	v_add_co_u32 v5, vcc_lo, v5, 8
	v_add_co_ci_u32_e32 v6, vcc_lo, 0, v6, vcc_lo
	v_add_co_u32 v7, vcc_lo, v7, 4
	s_delay_alu instid0(VALU_DEP_4) | instskip(SKIP_2) | instid1(SALU_CYCLE_1)
	v_cndmask_b32_e64 v9, v9, v12, s2
	v_add_co_ci_u32_e32 v8, vcc_lo, 0, v8, vcc_lo
	s_add_i32 s0, s0, -1
	s_cmp_lg_u32 s0, 0
	s_cbranch_scc1 .LBB290_6
; %bb.7:
	s_and_not1_b32 vcc_lo, exec_lo, s2
	s_cbranch_vccz .LBB290_9
	s_branch .LBB290_12
.LBB290_8:
	v_mov_b32_e32 v9, 0
	s_and_not1_b32 vcc_lo, exec_lo, s2
	s_cbranch_vccnz .LBB290_12
.LBB290_9:
	s_and_not1_b32 vcc_lo, exec_lo, s7
	s_cbranch_vccnz .LBB290_12
; %bb.10:
	v_mul_lo_u32 v0, v0, s4
	v_cmp_lt_f32_e32 vcc_lo, 0, v9
	v_cndmask_b32_e32 v2, 1.0, v9, vcc_lo
	s_delay_alu instid0(VALU_DEP_3) | instskip(NEXT) | instid1(VALU_DEP_1)
	v_ashrrev_i32_e32 v1, 31, v0
	v_lshlrev_b64 v[0:1], 2, v[0:1]
	s_delay_alu instid0(VALU_DEP_1) | instskip(NEXT) | instid1(VALU_DEP_2)
	v_add_co_u32 v0, vcc_lo, s12, v0
	v_add_co_ci_u32_e32 v1, vcc_lo, s13, v1, vcc_lo
	.p2align	6
.LBB290_11:                             ; =>This Inner Loop Header: Depth=1
	global_load_b32 v3, v[0:1], off
	s_add_i32 s4, s4, -1
	s_delay_alu instid0(SALU_CYCLE_1) | instskip(SKIP_3) | instid1(VALU_DEP_2)
	s_cmp_lg_u32 s4, 0
	s_waitcnt vmcnt(0)
	v_div_scale_f32 v4, null, v2, v2, v3
	v_div_scale_f32 v7, vcc_lo, v3, v2, v3
	v_rcp_f32_e32 v5, v4
	s_waitcnt_depctr 0xfff
	v_fma_f32 v6, -v4, v5, 1.0
	s_delay_alu instid0(VALU_DEP_1) | instskip(NEXT) | instid1(VALU_DEP_1)
	v_fmac_f32_e32 v5, v6, v5
	v_mul_f32_e32 v6, v7, v5
	s_delay_alu instid0(VALU_DEP_1) | instskip(NEXT) | instid1(VALU_DEP_1)
	v_fma_f32 v8, -v4, v6, v7
	v_fmac_f32_e32 v6, v8, v5
	s_delay_alu instid0(VALU_DEP_1) | instskip(NEXT) | instid1(VALU_DEP_1)
	v_fma_f32 v4, -v4, v6, v7
	v_div_fmas_f32 v4, v4, v5, v6
	s_delay_alu instid0(VALU_DEP_1)
	v_div_fixup_f32 v3, v4, v2, v3
	global_store_b32 v[0:1], v3, off
	v_add_co_u32 v0, vcc_lo, v0, 4
	v_add_co_ci_u32_e32 v1, vcc_lo, 0, v1, vcc_lo
	s_cbranch_scc1 .LBB290_11
.LBB290_12:
	s_nop 0
	s_sendmsg sendmsg(MSG_DEALLOC_VGPRS)
	s_endpgm
	.section	.rodata,"a",@progbits
	.p2align	6, 0x0
	.amdhsa_kernel _ZN4vllm3moe10topkGatingILi1ELi1ELi4ELi2ELi64El6__halfLNS0_11ScoringFuncE1EEEvPKT5_PKbPfiPT4_PiiiibPKf
		.amdhsa_group_segment_fixed_size 0
		.amdhsa_private_segment_fixed_size 0
		.amdhsa_kernarg_size 72
		.amdhsa_user_sgpr_count 15
		.amdhsa_user_sgpr_dispatch_ptr 0
		.amdhsa_user_sgpr_queue_ptr 0
		.amdhsa_user_sgpr_kernarg_segment_ptr 1
		.amdhsa_user_sgpr_dispatch_id 0
		.amdhsa_user_sgpr_private_segment_size 0
		.amdhsa_wavefront_size32 1
		.amdhsa_uses_dynamic_stack 0
		.amdhsa_enable_private_segment 0
		.amdhsa_system_sgpr_workgroup_id_x 1
		.amdhsa_system_sgpr_workgroup_id_y 0
		.amdhsa_system_sgpr_workgroup_id_z 0
		.amdhsa_system_sgpr_workgroup_info 0
		.amdhsa_system_vgpr_workitem_id 1
		.amdhsa_next_free_vgpr 15
		.amdhsa_next_free_sgpr 16
		.amdhsa_reserve_vcc 1
		.amdhsa_float_round_mode_32 0
		.amdhsa_float_round_mode_16_64 0
		.amdhsa_float_denorm_mode_32 3
		.amdhsa_float_denorm_mode_16_64 3
		.amdhsa_dx10_clamp 1
		.amdhsa_ieee_mode 1
		.amdhsa_fp16_overflow 0
		.amdhsa_workgroup_processor_mode 1
		.amdhsa_memory_ordered 1
		.amdhsa_forward_progress 0
		.amdhsa_shared_vgpr_count 0
		.amdhsa_exception_fp_ieee_invalid_op 0
		.amdhsa_exception_fp_denorm_src 0
		.amdhsa_exception_fp_ieee_div_zero 0
		.amdhsa_exception_fp_ieee_overflow 0
		.amdhsa_exception_fp_ieee_underflow 0
		.amdhsa_exception_fp_ieee_inexact 0
		.amdhsa_exception_int_div_zero 0
	.end_amdhsa_kernel
	.section	.text._ZN4vllm3moe10topkGatingILi1ELi1ELi4ELi2ELi64El6__halfLNS0_11ScoringFuncE1EEEvPKT5_PKbPfiPT4_PiiiibPKf,"axG",@progbits,_ZN4vllm3moe10topkGatingILi1ELi1ELi4ELi2ELi64El6__halfLNS0_11ScoringFuncE1EEEvPKT5_PKbPfiPT4_PiiiibPKf,comdat
.Lfunc_end290:
	.size	_ZN4vllm3moe10topkGatingILi1ELi1ELi4ELi2ELi64El6__halfLNS0_11ScoringFuncE1EEEvPKT5_PKbPfiPT4_PiiiibPKf, .Lfunc_end290-_ZN4vllm3moe10topkGatingILi1ELi1ELi4ELi2ELi64El6__halfLNS0_11ScoringFuncE1EEEvPKT5_PKbPfiPT4_PiiiibPKf
                                        ; -- End function
	.section	.AMDGPU.csdata,"",@progbits
; Kernel info:
; codeLenInByte = 840
; NumSgprs: 18
; NumVgprs: 15
; ScratchSize: 0
; MemoryBound: 0
; FloatMode: 240
; IeeeMode: 1
; LDSByteSize: 0 bytes/workgroup (compile time only)
; SGPRBlocks: 2
; VGPRBlocks: 1
; NumSGPRsForWavesPerEU: 18
; NumVGPRsForWavesPerEU: 15
; Occupancy: 16
; WaveLimiterHint : 0
; COMPUTE_PGM_RSRC2:SCRATCH_EN: 0
; COMPUTE_PGM_RSRC2:USER_SGPR: 15
; COMPUTE_PGM_RSRC2:TRAP_HANDLER: 0
; COMPUTE_PGM_RSRC2:TGID_X_EN: 1
; COMPUTE_PGM_RSRC2:TGID_Y_EN: 0
; COMPUTE_PGM_RSRC2:TGID_Z_EN: 0
; COMPUTE_PGM_RSRC2:TIDIG_COMP_CNT: 1
	.section	.text._ZN4vllm3moe10topkGatingILi1ELi1ELi4ELi2ELi32El6__halfLNS0_11ScoringFuncE1EEEvPKT5_PKbPfiPT4_PiiiibPKf,"axG",@progbits,_ZN4vllm3moe10topkGatingILi1ELi1ELi4ELi2ELi32El6__halfLNS0_11ScoringFuncE1EEEvPKT5_PKbPfiPT4_PiiiibPKf,comdat
	.protected	_ZN4vllm3moe10topkGatingILi1ELi1ELi4ELi2ELi32El6__halfLNS0_11ScoringFuncE1EEEvPKT5_PKbPfiPT4_PiiiibPKf ; -- Begin function _ZN4vllm3moe10topkGatingILi1ELi1ELi4ELi2ELi32El6__halfLNS0_11ScoringFuncE1EEEvPKT5_PKbPfiPT4_PiiiibPKf
	.globl	_ZN4vllm3moe10topkGatingILi1ELi1ELi4ELi2ELi32El6__halfLNS0_11ScoringFuncE1EEEvPKT5_PKbPfiPT4_PiiiibPKf
	.p2align	8
	.type	_ZN4vllm3moe10topkGatingILi1ELi1ELi4ELi2ELi32El6__halfLNS0_11ScoringFuncE1EEEvPKT5_PKbPfiPT4_PiiiibPKf,@function
_ZN4vllm3moe10topkGatingILi1ELi1ELi4ELi2ELi32El6__halfLNS0_11ScoringFuncE1EEEvPKT5_PKbPfiPT4_PiiiibPKf: ; @_ZN4vllm3moe10topkGatingILi1ELi1ELi4ELi2ELi32El6__halfLNS0_11ScoringFuncE1EEEvPKT5_PKbPfiPT4_PiiiibPKf
; %bb.0:
	s_load_b32 s3, s[0:1], 0x18
	v_bfe_u32 v1, v0, 10, 10
	v_and_b32_e32 v0, 0x3ff, v0
	s_lshl_b32 s2, s15, 7
	s_delay_alu instid0(VALU_DEP_2) | instskip(NEXT) | instid1(VALU_DEP_1)
	v_lshlrev_b32_e32 v1, 5, v1
	v_add3_u32 v0, v1, v0, s2
	s_mov_b32 s2, exec_lo
	s_waitcnt lgkmcnt(0)
	s_delay_alu instid0(VALU_DEP_1)
	v_cmpx_gt_i32_e64 s3, v0
	s_cbranch_execz .LBB291_12
; %bb.1:
	s_clause 0x1
	s_load_b128 s[8:11], s[0:1], 0x0
	s_load_b64 s[12:13], s[0:1], 0x10
	v_ashrrev_i32_e32 v1, 31, v0
	s_waitcnt lgkmcnt(0)
	s_cmp_eq_u64 s[10:11], 0
	s_cbranch_scc1 .LBB291_3
; %bb.2:
	v_add_co_u32 v2, vcc_lo, s10, v0
	v_add_co_ci_u32_e32 v3, vcc_lo, s11, v1, vcc_lo
	global_load_u8 v2, v[2:3], off
	s_waitcnt vmcnt(0)
	v_and_b32_e32 v2, 1, v2
	s_delay_alu instid0(VALU_DEP_1) | instskip(SKIP_1) | instid1(SALU_CYCLE_1)
	v_cmp_eq_u32_e32 vcc_lo, 1, v2
	s_xor_b32 s2, vcc_lo, -1
	s_or_not1_b32 s14, s2, exec_lo
	s_branch .LBB291_4
.LBB291_3:
	s_mov_b32 s14, -1
.LBB291_4:
	s_load_b128 s[4:7], s[0:1], 0x30
	s_waitcnt lgkmcnt(0)
	s_bitcmp1_b32 s7, 0
	s_cselect_b32 s2, -1, 0
	s_cmp_gt_i32 s4, 0
	s_cselect_b32 s7, -1, 0
	s_cmp_lt_i32 s4, 1
	s_cbranch_scc1 .LBB291_8
; %bb.5:
	v_lshlrev_b64 v[1:2], 1, v[0:1]
	v_mul_lo_u32 v3, v0, s4
	s_cmp_lt_i32 s5, 1
	v_mov_b32_e32 v9, 0
	s_delay_alu instid0(VALU_DEP_3) | instskip(NEXT) | instid1(VALU_DEP_4)
	v_add_co_u32 v1, vcc_lo, s8, v1
	v_add_co_ci_u32_e32 v2, vcc_lo, s9, v2, vcc_lo
	s_load_b128 s[8:11], s[0:1], 0x20
	s_delay_alu instid0(VALU_DEP_4)
	v_ashrrev_i32_e32 v4, 31, v3
	s_cselect_b32 s0, -1, 0
	global_load_u16 v1, v[1:2], off
	s_cmp_gt_i32 s6, 0
	v_lshlrev_b64 v[5:6], 3, v[3:4]
	s_cselect_b32 s1, -1, 0
	v_lshlrev_b64 v[7:8], 2, v[3:4]
	s_sub_i32 s5, 0, s5
	s_and_b32 s0, s0, s1
	s_ashr_i32 s1, s5, 31
	s_and_b32 s0, s14, s0
	s_delay_alu instid0(SALU_CYCLE_1) | instskip(SKIP_2) | instid1(VALU_DEP_1)
	v_cndmask_b32_e64 v2, 0, s1, s0
	s_waitcnt vmcnt(0)
	v_cvt_f32_f16_e32 v1, v1
	v_mul_f32_e32 v1, 0xbfb8aa3b, v1
	s_delay_alu instid0(VALU_DEP_1) | instskip(SKIP_2) | instid1(VALU_DEP_1)
	v_exp_f32_e32 v1, v1
	s_waitcnt_depctr 0xfff
	v_add_f32_e32 v10, 1.0, v1
	v_div_scale_f32 v11, null, v10, v10, 1.0
	v_div_scale_f32 v13, vcc_lo, 1.0, v10, 1.0
	s_delay_alu instid0(VALU_DEP_2) | instskip(SKIP_2) | instid1(VALU_DEP_1)
	v_rcp_f32_e32 v12, v11
	s_waitcnt_depctr 0xfff
	v_fma_f32 v1, -v11, v12, 1.0
	v_fmac_f32_e32 v12, v1, v12
	s_delay_alu instid0(VALU_DEP_1) | instskip(NEXT) | instid1(VALU_DEP_1)
	v_mul_f32_e32 v14, v13, v12
	v_fma_f32 v1, -v11, v14, v13
	s_delay_alu instid0(VALU_DEP_1) | instskip(SKIP_2) | instid1(VALU_DEP_1)
	v_fmac_f32_e32 v14, v1, v12
	v_cndmask_b32_e64 v1, 1, s5, s0
	v_add_co_u32 v3, s0, s12, v7
	v_add_co_ci_u32_e64 v4, s0, s13, v8, s0
	s_delay_alu instid0(VALU_DEP_4) | instskip(SKIP_1) | instid1(VALU_DEP_1)
	v_fma_f32 v11, -v11, v14, v13
	s_mov_b32 s0, s4
	v_div_fmas_f32 v11, v11, v12, v14
	s_waitcnt lgkmcnt(0)
	v_add_co_u32 v5, vcc_lo, s8, v5
	v_add_co_ci_u32_e32 v6, vcc_lo, s9, v6, vcc_lo
	s_delay_alu instid0(VALU_DEP_3) | instskip(SKIP_3) | instid1(VALU_DEP_4)
	v_div_fixup_f32 v10, v11, v10, 1.0
	v_mov_b32_e32 v11, v0
	v_add_co_u32 v7, vcc_lo, s10, v7
	v_add_co_ci_u32_e32 v8, vcc_lo, s11, v8, vcc_lo
	v_cmp_class_f32_e64 vcc_lo, v10, 0x1f8
	v_cndmask_b32_e32 v10, 0, v10, vcc_lo
	.p2align	6
.LBB291_6:                              ; =>This Inner Loop Header: Depth=1
	global_store_b32 v[3:4], v10, off
	global_store_b64 v[5:6], v[1:2], off
	global_store_b32 v[7:8], v11, off
	v_add_co_u32 v3, vcc_lo, v3, 4
	v_add_co_ci_u32_e32 v4, vcc_lo, 0, v4, vcc_lo
	v_dual_add_f32 v12, v9, v10 :: v_dual_add_nc_u32 v11, s3, v11
	v_add_co_u32 v5, vcc_lo, v5, 8
	v_add_co_ci_u32_e32 v6, vcc_lo, 0, v6, vcc_lo
	v_add_co_u32 v7, vcc_lo, v7, 4
	s_delay_alu instid0(VALU_DEP_4) | instskip(SKIP_2) | instid1(SALU_CYCLE_1)
	v_cndmask_b32_e64 v9, v9, v12, s2
	v_add_co_ci_u32_e32 v8, vcc_lo, 0, v8, vcc_lo
	s_add_i32 s0, s0, -1
	s_cmp_lg_u32 s0, 0
	s_cbranch_scc1 .LBB291_6
; %bb.7:
	s_and_not1_b32 vcc_lo, exec_lo, s2
	s_cbranch_vccz .LBB291_9
	s_branch .LBB291_12
.LBB291_8:
	v_mov_b32_e32 v9, 0
	s_and_not1_b32 vcc_lo, exec_lo, s2
	s_cbranch_vccnz .LBB291_12
.LBB291_9:
	s_and_not1_b32 vcc_lo, exec_lo, s7
	s_cbranch_vccnz .LBB291_12
; %bb.10:
	v_mul_lo_u32 v0, v0, s4
	v_cmp_lt_f32_e32 vcc_lo, 0, v9
	v_cndmask_b32_e32 v2, 1.0, v9, vcc_lo
	s_delay_alu instid0(VALU_DEP_3) | instskip(NEXT) | instid1(VALU_DEP_1)
	v_ashrrev_i32_e32 v1, 31, v0
	v_lshlrev_b64 v[0:1], 2, v[0:1]
	s_delay_alu instid0(VALU_DEP_1) | instskip(NEXT) | instid1(VALU_DEP_2)
	v_add_co_u32 v0, vcc_lo, s12, v0
	v_add_co_ci_u32_e32 v1, vcc_lo, s13, v1, vcc_lo
	.p2align	6
.LBB291_11:                             ; =>This Inner Loop Header: Depth=1
	global_load_b32 v3, v[0:1], off
	s_add_i32 s4, s4, -1
	s_delay_alu instid0(SALU_CYCLE_1) | instskip(SKIP_3) | instid1(VALU_DEP_2)
	s_cmp_lg_u32 s4, 0
	s_waitcnt vmcnt(0)
	v_div_scale_f32 v4, null, v2, v2, v3
	v_div_scale_f32 v7, vcc_lo, v3, v2, v3
	v_rcp_f32_e32 v5, v4
	s_waitcnt_depctr 0xfff
	v_fma_f32 v6, -v4, v5, 1.0
	s_delay_alu instid0(VALU_DEP_1) | instskip(NEXT) | instid1(VALU_DEP_1)
	v_fmac_f32_e32 v5, v6, v5
	v_mul_f32_e32 v6, v7, v5
	s_delay_alu instid0(VALU_DEP_1) | instskip(NEXT) | instid1(VALU_DEP_1)
	v_fma_f32 v8, -v4, v6, v7
	v_fmac_f32_e32 v6, v8, v5
	s_delay_alu instid0(VALU_DEP_1) | instskip(NEXT) | instid1(VALU_DEP_1)
	v_fma_f32 v4, -v4, v6, v7
	v_div_fmas_f32 v4, v4, v5, v6
	s_delay_alu instid0(VALU_DEP_1)
	v_div_fixup_f32 v3, v4, v2, v3
	global_store_b32 v[0:1], v3, off
	v_add_co_u32 v0, vcc_lo, v0, 4
	v_add_co_ci_u32_e32 v1, vcc_lo, 0, v1, vcc_lo
	s_cbranch_scc1 .LBB291_11
.LBB291_12:
	s_nop 0
	s_sendmsg sendmsg(MSG_DEALLOC_VGPRS)
	s_endpgm
	.section	.rodata,"a",@progbits
	.p2align	6, 0x0
	.amdhsa_kernel _ZN4vllm3moe10topkGatingILi1ELi1ELi4ELi2ELi32El6__halfLNS0_11ScoringFuncE1EEEvPKT5_PKbPfiPT4_PiiiibPKf
		.amdhsa_group_segment_fixed_size 0
		.amdhsa_private_segment_fixed_size 0
		.amdhsa_kernarg_size 72
		.amdhsa_user_sgpr_count 15
		.amdhsa_user_sgpr_dispatch_ptr 0
		.amdhsa_user_sgpr_queue_ptr 0
		.amdhsa_user_sgpr_kernarg_segment_ptr 1
		.amdhsa_user_sgpr_dispatch_id 0
		.amdhsa_user_sgpr_private_segment_size 0
		.amdhsa_wavefront_size32 1
		.amdhsa_uses_dynamic_stack 0
		.amdhsa_enable_private_segment 0
		.amdhsa_system_sgpr_workgroup_id_x 1
		.amdhsa_system_sgpr_workgroup_id_y 0
		.amdhsa_system_sgpr_workgroup_id_z 0
		.amdhsa_system_sgpr_workgroup_info 0
		.amdhsa_system_vgpr_workitem_id 1
		.amdhsa_next_free_vgpr 15
		.amdhsa_next_free_sgpr 16
		.amdhsa_reserve_vcc 1
		.amdhsa_float_round_mode_32 0
		.amdhsa_float_round_mode_16_64 0
		.amdhsa_float_denorm_mode_32 3
		.amdhsa_float_denorm_mode_16_64 3
		.amdhsa_dx10_clamp 1
		.amdhsa_ieee_mode 1
		.amdhsa_fp16_overflow 0
		.amdhsa_workgroup_processor_mode 1
		.amdhsa_memory_ordered 1
		.amdhsa_forward_progress 0
		.amdhsa_shared_vgpr_count 0
		.amdhsa_exception_fp_ieee_invalid_op 0
		.amdhsa_exception_fp_denorm_src 0
		.amdhsa_exception_fp_ieee_div_zero 0
		.amdhsa_exception_fp_ieee_overflow 0
		.amdhsa_exception_fp_ieee_underflow 0
		.amdhsa_exception_fp_ieee_inexact 0
		.amdhsa_exception_int_div_zero 0
	.end_amdhsa_kernel
	.section	.text._ZN4vllm3moe10topkGatingILi1ELi1ELi4ELi2ELi32El6__halfLNS0_11ScoringFuncE1EEEvPKT5_PKbPfiPT4_PiiiibPKf,"axG",@progbits,_ZN4vllm3moe10topkGatingILi1ELi1ELi4ELi2ELi32El6__halfLNS0_11ScoringFuncE1EEEvPKT5_PKbPfiPT4_PiiiibPKf,comdat
.Lfunc_end291:
	.size	_ZN4vllm3moe10topkGatingILi1ELi1ELi4ELi2ELi32El6__halfLNS0_11ScoringFuncE1EEEvPKT5_PKbPfiPT4_PiiiibPKf, .Lfunc_end291-_ZN4vllm3moe10topkGatingILi1ELi1ELi4ELi2ELi32El6__halfLNS0_11ScoringFuncE1EEEvPKT5_PKbPfiPT4_PiiiibPKf
                                        ; -- End function
	.section	.AMDGPU.csdata,"",@progbits
; Kernel info:
; codeLenInByte = 840
; NumSgprs: 18
; NumVgprs: 15
; ScratchSize: 0
; MemoryBound: 0
; FloatMode: 240
; IeeeMode: 1
; LDSByteSize: 0 bytes/workgroup (compile time only)
; SGPRBlocks: 2
; VGPRBlocks: 1
; NumSGPRsForWavesPerEU: 18
; NumVGPRsForWavesPerEU: 15
; Occupancy: 16
; WaveLimiterHint : 0
; COMPUTE_PGM_RSRC2:SCRATCH_EN: 0
; COMPUTE_PGM_RSRC2:USER_SGPR: 15
; COMPUTE_PGM_RSRC2:TRAP_HANDLER: 0
; COMPUTE_PGM_RSRC2:TGID_X_EN: 1
; COMPUTE_PGM_RSRC2:TGID_Y_EN: 0
; COMPUTE_PGM_RSRC2:TGID_Z_EN: 0
; COMPUTE_PGM_RSRC2:TIDIG_COMP_CNT: 1
	.section	.text._ZN4vllm3moe10topkGatingILi2ELi2ELi4ELi4ELi64El6__halfLNS0_11ScoringFuncE1EEEvPKT5_PKbPfiPT4_PiiiibPKf,"axG",@progbits,_ZN4vllm3moe10topkGatingILi2ELi2ELi4ELi4ELi64El6__halfLNS0_11ScoringFuncE1EEEvPKT5_PKbPfiPT4_PiiiibPKf,comdat
	.protected	_ZN4vllm3moe10topkGatingILi2ELi2ELi4ELi4ELi64El6__halfLNS0_11ScoringFuncE1EEEvPKT5_PKbPfiPT4_PiiiibPKf ; -- Begin function _ZN4vllm3moe10topkGatingILi2ELi2ELi4ELi4ELi64El6__halfLNS0_11ScoringFuncE1EEEvPKT5_PKbPfiPT4_PiiiibPKf
	.globl	_ZN4vllm3moe10topkGatingILi2ELi2ELi4ELi4ELi64El6__halfLNS0_11ScoringFuncE1EEEvPKT5_PKbPfiPT4_PiiiibPKf
	.p2align	8
	.type	_ZN4vllm3moe10topkGatingILi2ELi2ELi4ELi4ELi64El6__halfLNS0_11ScoringFuncE1EEEvPKT5_PKbPfiPT4_PiiiibPKf,@function
_ZN4vllm3moe10topkGatingILi2ELi2ELi4ELi4ELi64El6__halfLNS0_11ScoringFuncE1EEEvPKT5_PKbPfiPT4_PiiiibPKf: ; @_ZN4vllm3moe10topkGatingILi2ELi2ELi4ELi4ELi64El6__halfLNS0_11ScoringFuncE1EEEvPKT5_PKbPfiPT4_PiiiibPKf
; %bb.0:
	s_load_b32 s3, s[0:1], 0x18
	v_bfe_u32 v1, v0, 10, 10
	v_and_b32_e32 v0, 0x3ff, v0
	s_lshl_b32 s2, s15, 8
	s_delay_alu instid0(VALU_DEP_2) | instskip(NEXT) | instid1(VALU_DEP_1)
	v_lshlrev_b32_e32 v1, 6, v1
	v_add3_u32 v10, v1, v0, s2
	s_mov_b32 s2, exec_lo
	s_waitcnt lgkmcnt(0)
	s_delay_alu instid0(VALU_DEP_1)
	v_cmpx_gt_i32_e64 s3, v10
	s_cbranch_execz .LBB292_14
; %bb.1:
	s_clause 0x1
	s_load_b128 s[4:7], s[0:1], 0x0
	s_load_b64 s[8:9], s[0:1], 0x10
	s_waitcnt lgkmcnt(0)
	s_cmp_eq_u64 s[6:7], 0
	s_cbranch_scc1 .LBB292_3
; %bb.2:
	v_ashrrev_i32_e32 v1, 31, v10
	v_add_co_u32 v0, vcc_lo, s6, v10
	s_delay_alu instid0(VALU_DEP_2) | instskip(SKIP_3) | instid1(VALU_DEP_1)
	v_add_co_ci_u32_e32 v1, vcc_lo, s7, v1, vcc_lo
	global_load_u8 v0, v[0:1], off
	s_waitcnt vmcnt(0)
	v_and_b32_e32 v0, 1, v0
	v_cmp_eq_u32_e32 vcc_lo, 1, v0
	s_xor_b32 s2, vcc_lo, -1
	s_delay_alu instid0(SALU_CYCLE_1)
	s_or_not1_b32 s10, s2, exec_lo
	s_branch .LBB292_4
.LBB292_3:
	s_mov_b32 s10, -1
.LBB292_4:
	v_lshlrev_b32_e32 v0, 1, v10
	s_delay_alu instid0(VALU_DEP_1) | instskip(NEXT) | instid1(VALU_DEP_1)
	v_ashrrev_i32_e32 v1, 31, v0
	v_lshlrev_b64 v[0:1], 1, v[0:1]
	s_delay_alu instid0(VALU_DEP_1) | instskip(NEXT) | instid1(VALU_DEP_2)
	v_add_co_u32 v0, vcc_lo, s4, v0
	v_add_co_ci_u32_e32 v1, vcc_lo, s5, v1, vcc_lo
	s_load_b64 s[4:5], s[0:1], 0x40
	global_load_b32 v0, v[0:1], off
	s_waitcnt lgkmcnt(0)
	s_cmp_eq_u64 s[4:5], 0
	s_waitcnt vmcnt(0)
	v_lshrrev_b32_e32 v1, 16, v0
	v_cvt_f32_f16_e32 v0, v0
	s_delay_alu instid0(VALU_DEP_2) | instskip(NEXT) | instid1(VALU_DEP_1)
	v_cvt_f32_f16_e32 v1, v1
	v_mul_f32_e32 v1, 0xbfb8aa3b, v1
	s_delay_alu instid0(VALU_DEP_1) | instskip(SKIP_2) | instid1(VALU_DEP_1)
	v_exp_f32_e32 v1, v1
	s_waitcnt_depctr 0xfff
	v_dual_mul_f32 v0, 0xbfb8aa3b, v0 :: v_dual_add_f32 v1, 1.0, v1
	v_exp_f32_e32 v0, v0
	s_delay_alu instid0(VALU_DEP_1) | instskip(NEXT) | instid1(VALU_DEP_1)
	v_div_scale_f32 v3, null, v1, v1, 1.0
	v_rcp_f32_e32 v5, v3
	s_waitcnt_depctr 0xfff
	v_fma_f32 v7, -v3, v5, 1.0
	s_delay_alu instid0(VALU_DEP_1) | instskip(NEXT) | instid1(VALU_DEP_1)
	v_dual_add_f32 v0, 1.0, v0 :: v_dual_fmac_f32 v5, v7, v5
	v_div_scale_f32 v2, null, v0, v0, 1.0
	v_div_scale_f32 v8, vcc_lo, 1.0, v0, 1.0
	s_delay_alu instid0(VALU_DEP_2) | instskip(SKIP_2) | instid1(VALU_DEP_1)
	v_rcp_f32_e32 v4, v2
	s_waitcnt_depctr 0xfff
	v_fma_f32 v6, -v2, v4, 1.0
	v_fmac_f32_e32 v4, v6, v4
	v_div_scale_f32 v6, s2, 1.0, v1, 1.0
	s_delay_alu instid0(VALU_DEP_1) | instskip(NEXT) | instid1(VALU_DEP_1)
	v_mul_f32_e32 v9, v6, v5
	v_fma_f32 v12, -v3, v9, v6
	s_delay_alu instid0(VALU_DEP_1) | instskip(SKIP_1) | instid1(VALU_DEP_2)
	v_fmac_f32_e32 v9, v12, v5
	v_mul_f32_e32 v7, v8, v4
	v_fma_f32 v3, -v3, v9, v6
	s_delay_alu instid0(VALU_DEP_2) | instskip(NEXT) | instid1(VALU_DEP_1)
	v_fma_f32 v11, -v2, v7, v8
	v_fmac_f32_e32 v7, v11, v4
	s_delay_alu instid0(VALU_DEP_1) | instskip(NEXT) | instid1(VALU_DEP_1)
	v_fma_f32 v2, -v2, v7, v8
	v_div_fmas_f32 v2, v2, v4, v7
	s_mov_b32 vcc_lo, s2
	v_div_fmas_f32 v3, v3, v5, v9
	s_delay_alu instid0(VALU_DEP_2) | instskip(NEXT) | instid1(VALU_DEP_2)
	v_div_fixup_f32 v0, v2, v0, 1.0
	v_div_fixup_f32 v1, v3, v1, 1.0
	s_delay_alu instid0(VALU_DEP_2) | instskip(SKIP_1) | instid1(VALU_DEP_3)
	v_cmp_class_f32_e64 vcc_lo, v0, 0x1f8
	v_cndmask_b32_e32 v0, 0, v0, vcc_lo
	v_cmp_class_f32_e64 vcc_lo, v1, 0x1f8
	v_cndmask_b32_e32 v1, 0, v1, vcc_lo
	s_delay_alu instid0(VALU_DEP_1)
	v_dual_mov_b32 v3, v1 :: v_dual_mov_b32 v2, v0
	s_cbranch_scc1 .LBB292_6
; %bb.5:
	s_load_b64 s[4:5], s[4:5], 0x0
	s_waitcnt lgkmcnt(0)
	v_dual_add_f32 v2, s4, v0 :: v_dual_add_f32 v3, s5, v1
.LBB292_6:
	s_load_b128 s[4:7], s[0:1], 0x30
	s_waitcnt lgkmcnt(0)
	s_bitcmp1_b32 s7, 0
	s_cselect_b32 vcc_lo, -1, 0
	s_cmp_gt_i32 s4, 0
	s_cselect_b32 s7, -1, 0
	s_cmp_lt_i32 s4, 1
	s_cbranch_scc1 .LBB292_10
; %bb.7:
	v_mul_lo_u32 v4, v10, s4
	s_load_b128 s[12:15], s[0:1], 0x20
	v_dual_mov_b32 v11, 0 :: v_dual_mov_b32 v12, v10
	s_mov_b32 s11, 0
	s_delay_alu instid0(VALU_DEP_2) | instskip(NEXT) | instid1(VALU_DEP_1)
	v_ashrrev_i32_e32 v5, 31, v4
	v_lshlrev_b64 v[8:9], 2, v[4:5]
	v_lshlrev_b64 v[6:7], 3, v[4:5]
	s_delay_alu instid0(VALU_DEP_2) | instskip(NEXT) | instid1(VALU_DEP_1)
	v_add_co_u32 v4, s0, s8, v8
	v_add_co_ci_u32_e64 v5, s0, s9, v9, s0
	s_waitcnt lgkmcnt(0)
	s_delay_alu instid0(VALU_DEP_3) | instskip(NEXT) | instid1(VALU_DEP_1)
	v_add_co_u32 v6, s0, s12, v6
	v_add_co_ci_u32_e64 v7, s0, s13, v7, s0
	v_add_co_u32 v8, s0, s14, v8
	s_delay_alu instid0(VALU_DEP_1)
	v_add_co_ci_u32_e64 v9, s0, s15, v9, s0
.LBB292_8:                              ; =>This Inner Loop Header: Depth=1
	v_cmp_gt_f32_e64 s0, v3, v2
	global_store_b32 v[8:9], v12, off
	v_add_co_u32 v8, s1, v8, 4
	s_delay_alu instid0(VALU_DEP_1)
	v_add_co_ci_u32_e64 v9, s1, 0, v9, s1
	v_cndmask_b32_e64 v13, 0, 1, s0
	v_cndmask_b32_e64 v14, v0, v1, s0
	;; [unrolled: 1-line block ×4, first 2 shown]
	s_add_i32 s11, s11, 1
	v_cmp_le_i32_e64 s1, s5, v13
	v_cmp_gt_i32_e64 s2, s6, v13
	v_subrev_nc_u32_e32 v13, s5, v13
	global_store_b32 v[4:5], v14, off
	v_add_co_u32 v4, s0, v4, 4
	s_and_b32 s1, s1, s2
	v_ashrrev_i32_e32 v17, 31, v13
	v_add_co_ci_u32_e64 v5, s0, 0, v5, s0
	s_and_b32 s0, s10, s1
	v_add_f32_e32 v18, v11, v14
	s_delay_alu instid0(VALU_DEP_3) | instskip(SKIP_2) | instid1(VALU_DEP_3)
	v_cndmask_b32_e64 v14, 0, v17, s0
	v_cndmask_b32_e64 v13, 2, v13, s0
	s_cmp_lt_i32 s11, s4
	v_dual_cndmask_b32 v11, v11, v18 :: v_dual_add_nc_u32 v12, s3, v12
	s_cselect_b32 s0, -1, 0
	global_store_b64 v[6:7], v[13:14], off
	v_cndmask_b32_e64 v3, v3, v16, s0
	v_cndmask_b32_e64 v2, v2, v15, s0
	v_add_co_u32 v6, s0, v6, 8
	s_delay_alu instid0(VALU_DEP_1)
	v_add_co_ci_u32_e64 v7, s0, 0, v7, s0
	s_cmp_eq_u32 s4, s11
	s_cbranch_scc0 .LBB292_8
; %bb.9:
	s_and_b32 vcc_lo, exec_lo, vcc_lo
	s_cbranch_vccnz .LBB292_11
	s_branch .LBB292_14
.LBB292_10:
	v_mov_b32_e32 v11, 0
	s_and_b32 vcc_lo, exec_lo, vcc_lo
	s_cbranch_vccz .LBB292_14
.LBB292_11:
	s_and_not1_b32 vcc_lo, exec_lo, s7
	s_cbranch_vccnz .LBB292_14
; %bb.12:
	v_mul_lo_u32 v0, v10, s4
	v_cmp_lt_f32_e32 vcc_lo, 0, v11
	v_cndmask_b32_e32 v2, 1.0, v11, vcc_lo
	s_delay_alu instid0(VALU_DEP_3) | instskip(NEXT) | instid1(VALU_DEP_1)
	v_ashrrev_i32_e32 v1, 31, v0
	v_lshlrev_b64 v[0:1], 2, v[0:1]
	s_delay_alu instid0(VALU_DEP_1) | instskip(NEXT) | instid1(VALU_DEP_2)
	v_add_co_u32 v0, vcc_lo, s8, v0
	v_add_co_ci_u32_e32 v1, vcc_lo, s9, v1, vcc_lo
	.p2align	6
.LBB292_13:                             ; =>This Inner Loop Header: Depth=1
	global_load_b32 v3, v[0:1], off
	s_add_i32 s4, s4, -1
	s_delay_alu instid0(SALU_CYCLE_1) | instskip(SKIP_3) | instid1(VALU_DEP_2)
	s_cmp_lg_u32 s4, 0
	s_waitcnt vmcnt(0)
	v_div_scale_f32 v4, null, v2, v2, v3
	v_div_scale_f32 v7, vcc_lo, v3, v2, v3
	v_rcp_f32_e32 v5, v4
	s_waitcnt_depctr 0xfff
	v_fma_f32 v6, -v4, v5, 1.0
	s_delay_alu instid0(VALU_DEP_1) | instskip(NEXT) | instid1(VALU_DEP_1)
	v_fmac_f32_e32 v5, v6, v5
	v_mul_f32_e32 v6, v7, v5
	s_delay_alu instid0(VALU_DEP_1) | instskip(NEXT) | instid1(VALU_DEP_1)
	v_fma_f32 v8, -v4, v6, v7
	v_fmac_f32_e32 v6, v8, v5
	s_delay_alu instid0(VALU_DEP_1) | instskip(NEXT) | instid1(VALU_DEP_1)
	v_fma_f32 v4, -v4, v6, v7
	v_div_fmas_f32 v4, v4, v5, v6
	s_delay_alu instid0(VALU_DEP_1)
	v_div_fixup_f32 v3, v4, v2, v3
	global_store_b32 v[0:1], v3, off
	v_add_co_u32 v0, vcc_lo, v0, 4
	v_add_co_ci_u32_e32 v1, vcc_lo, 0, v1, vcc_lo
	s_cbranch_scc1 .LBB292_13
.LBB292_14:
	s_nop 0
	s_sendmsg sendmsg(MSG_DEALLOC_VGPRS)
	s_endpgm
	.section	.rodata,"a",@progbits
	.p2align	6, 0x0
	.amdhsa_kernel _ZN4vllm3moe10topkGatingILi2ELi2ELi4ELi4ELi64El6__halfLNS0_11ScoringFuncE1EEEvPKT5_PKbPfiPT4_PiiiibPKf
		.amdhsa_group_segment_fixed_size 0
		.amdhsa_private_segment_fixed_size 0
		.amdhsa_kernarg_size 72
		.amdhsa_user_sgpr_count 15
		.amdhsa_user_sgpr_dispatch_ptr 0
		.amdhsa_user_sgpr_queue_ptr 0
		.amdhsa_user_sgpr_kernarg_segment_ptr 1
		.amdhsa_user_sgpr_dispatch_id 0
		.amdhsa_user_sgpr_private_segment_size 0
		.amdhsa_wavefront_size32 1
		.amdhsa_uses_dynamic_stack 0
		.amdhsa_enable_private_segment 0
		.amdhsa_system_sgpr_workgroup_id_x 1
		.amdhsa_system_sgpr_workgroup_id_y 0
		.amdhsa_system_sgpr_workgroup_id_z 0
		.amdhsa_system_sgpr_workgroup_info 0
		.amdhsa_system_vgpr_workitem_id 1
		.amdhsa_next_free_vgpr 19
		.amdhsa_next_free_sgpr 16
		.amdhsa_reserve_vcc 1
		.amdhsa_float_round_mode_32 0
		.amdhsa_float_round_mode_16_64 0
		.amdhsa_float_denorm_mode_32 3
		.amdhsa_float_denorm_mode_16_64 3
		.amdhsa_dx10_clamp 1
		.amdhsa_ieee_mode 1
		.amdhsa_fp16_overflow 0
		.amdhsa_workgroup_processor_mode 1
		.amdhsa_memory_ordered 1
		.amdhsa_forward_progress 0
		.amdhsa_shared_vgpr_count 0
		.amdhsa_exception_fp_ieee_invalid_op 0
		.amdhsa_exception_fp_denorm_src 0
		.amdhsa_exception_fp_ieee_div_zero 0
		.amdhsa_exception_fp_ieee_overflow 0
		.amdhsa_exception_fp_ieee_underflow 0
		.amdhsa_exception_fp_ieee_inexact 0
		.amdhsa_exception_int_div_zero 0
	.end_amdhsa_kernel
	.section	.text._ZN4vllm3moe10topkGatingILi2ELi2ELi4ELi4ELi64El6__halfLNS0_11ScoringFuncE1EEEvPKT5_PKbPfiPT4_PiiiibPKf,"axG",@progbits,_ZN4vllm3moe10topkGatingILi2ELi2ELi4ELi4ELi64El6__halfLNS0_11ScoringFuncE1EEEvPKT5_PKbPfiPT4_PiiiibPKf,comdat
.Lfunc_end292:
	.size	_ZN4vllm3moe10topkGatingILi2ELi2ELi4ELi4ELi64El6__halfLNS0_11ScoringFuncE1EEEvPKT5_PKbPfiPT4_PiiiibPKf, .Lfunc_end292-_ZN4vllm3moe10topkGatingILi2ELi2ELi4ELi4ELi64El6__halfLNS0_11ScoringFuncE1EEEvPKT5_PKbPfiPT4_PiiiibPKf
                                        ; -- End function
	.section	.AMDGPU.csdata,"",@progbits
; Kernel info:
; codeLenInByte = 1152
; NumSgprs: 18
; NumVgprs: 19
; ScratchSize: 0
; MemoryBound: 0
; FloatMode: 240
; IeeeMode: 1
; LDSByteSize: 0 bytes/workgroup (compile time only)
; SGPRBlocks: 2
; VGPRBlocks: 2
; NumSGPRsForWavesPerEU: 18
; NumVGPRsForWavesPerEU: 19
; Occupancy: 16
; WaveLimiterHint : 0
; COMPUTE_PGM_RSRC2:SCRATCH_EN: 0
; COMPUTE_PGM_RSRC2:USER_SGPR: 15
; COMPUTE_PGM_RSRC2:TRAP_HANDLER: 0
; COMPUTE_PGM_RSRC2:TGID_X_EN: 1
; COMPUTE_PGM_RSRC2:TGID_Y_EN: 0
; COMPUTE_PGM_RSRC2:TGID_Z_EN: 0
; COMPUTE_PGM_RSRC2:TIDIG_COMP_CNT: 1
	.section	.text._ZN4vllm3moe10topkGatingILi2ELi2ELi4ELi4ELi32El6__halfLNS0_11ScoringFuncE1EEEvPKT5_PKbPfiPT4_PiiiibPKf,"axG",@progbits,_ZN4vllm3moe10topkGatingILi2ELi2ELi4ELi4ELi32El6__halfLNS0_11ScoringFuncE1EEEvPKT5_PKbPfiPT4_PiiiibPKf,comdat
	.protected	_ZN4vllm3moe10topkGatingILi2ELi2ELi4ELi4ELi32El6__halfLNS0_11ScoringFuncE1EEEvPKT5_PKbPfiPT4_PiiiibPKf ; -- Begin function _ZN4vllm3moe10topkGatingILi2ELi2ELi4ELi4ELi32El6__halfLNS0_11ScoringFuncE1EEEvPKT5_PKbPfiPT4_PiiiibPKf
	.globl	_ZN4vllm3moe10topkGatingILi2ELi2ELi4ELi4ELi32El6__halfLNS0_11ScoringFuncE1EEEvPKT5_PKbPfiPT4_PiiiibPKf
	.p2align	8
	.type	_ZN4vllm3moe10topkGatingILi2ELi2ELi4ELi4ELi32El6__halfLNS0_11ScoringFuncE1EEEvPKT5_PKbPfiPT4_PiiiibPKf,@function
_ZN4vllm3moe10topkGatingILi2ELi2ELi4ELi4ELi32El6__halfLNS0_11ScoringFuncE1EEEvPKT5_PKbPfiPT4_PiiiibPKf: ; @_ZN4vllm3moe10topkGatingILi2ELi2ELi4ELi4ELi32El6__halfLNS0_11ScoringFuncE1EEEvPKT5_PKbPfiPT4_PiiiibPKf
; %bb.0:
	s_load_b32 s3, s[0:1], 0x18
	v_bfe_u32 v1, v0, 10, 10
	v_and_b32_e32 v0, 0x3ff, v0
	s_lshl_b32 s2, s15, 7
	s_delay_alu instid0(VALU_DEP_2) | instskip(NEXT) | instid1(VALU_DEP_1)
	v_lshlrev_b32_e32 v1, 5, v1
	v_add3_u32 v10, v1, v0, s2
	s_mov_b32 s2, exec_lo
	s_waitcnt lgkmcnt(0)
	s_delay_alu instid0(VALU_DEP_1)
	v_cmpx_gt_i32_e64 s3, v10
	s_cbranch_execz .LBB293_14
; %bb.1:
	s_clause 0x1
	s_load_b128 s[4:7], s[0:1], 0x0
	s_load_b64 s[8:9], s[0:1], 0x10
	s_waitcnt lgkmcnt(0)
	s_cmp_eq_u64 s[6:7], 0
	s_cbranch_scc1 .LBB293_3
; %bb.2:
	v_ashrrev_i32_e32 v1, 31, v10
	v_add_co_u32 v0, vcc_lo, s6, v10
	s_delay_alu instid0(VALU_DEP_2) | instskip(SKIP_3) | instid1(VALU_DEP_1)
	v_add_co_ci_u32_e32 v1, vcc_lo, s7, v1, vcc_lo
	global_load_u8 v0, v[0:1], off
	s_waitcnt vmcnt(0)
	v_and_b32_e32 v0, 1, v0
	v_cmp_eq_u32_e32 vcc_lo, 1, v0
	s_xor_b32 s2, vcc_lo, -1
	s_delay_alu instid0(SALU_CYCLE_1)
	s_or_not1_b32 s10, s2, exec_lo
	s_branch .LBB293_4
.LBB293_3:
	s_mov_b32 s10, -1
.LBB293_4:
	v_lshlrev_b32_e32 v0, 1, v10
	s_delay_alu instid0(VALU_DEP_1) | instskip(NEXT) | instid1(VALU_DEP_1)
	v_ashrrev_i32_e32 v1, 31, v0
	v_lshlrev_b64 v[0:1], 1, v[0:1]
	s_delay_alu instid0(VALU_DEP_1) | instskip(NEXT) | instid1(VALU_DEP_2)
	v_add_co_u32 v0, vcc_lo, s4, v0
	v_add_co_ci_u32_e32 v1, vcc_lo, s5, v1, vcc_lo
	s_load_b64 s[4:5], s[0:1], 0x40
	global_load_b32 v0, v[0:1], off
	s_waitcnt lgkmcnt(0)
	s_cmp_eq_u64 s[4:5], 0
	s_waitcnt vmcnt(0)
	v_lshrrev_b32_e32 v1, 16, v0
	v_cvt_f32_f16_e32 v0, v0
	s_delay_alu instid0(VALU_DEP_2) | instskip(NEXT) | instid1(VALU_DEP_1)
	v_cvt_f32_f16_e32 v1, v1
	v_mul_f32_e32 v1, 0xbfb8aa3b, v1
	s_delay_alu instid0(VALU_DEP_1) | instskip(SKIP_2) | instid1(VALU_DEP_1)
	v_exp_f32_e32 v1, v1
	s_waitcnt_depctr 0xfff
	v_dual_mul_f32 v0, 0xbfb8aa3b, v0 :: v_dual_add_f32 v1, 1.0, v1
	v_exp_f32_e32 v0, v0
	s_delay_alu instid0(VALU_DEP_1) | instskip(NEXT) | instid1(VALU_DEP_1)
	v_div_scale_f32 v3, null, v1, v1, 1.0
	v_rcp_f32_e32 v5, v3
	s_waitcnt_depctr 0xfff
	v_fma_f32 v7, -v3, v5, 1.0
	s_delay_alu instid0(VALU_DEP_1) | instskip(NEXT) | instid1(VALU_DEP_1)
	v_dual_add_f32 v0, 1.0, v0 :: v_dual_fmac_f32 v5, v7, v5
	v_div_scale_f32 v2, null, v0, v0, 1.0
	v_div_scale_f32 v8, vcc_lo, 1.0, v0, 1.0
	s_delay_alu instid0(VALU_DEP_2) | instskip(SKIP_2) | instid1(VALU_DEP_1)
	v_rcp_f32_e32 v4, v2
	s_waitcnt_depctr 0xfff
	v_fma_f32 v6, -v2, v4, 1.0
	v_fmac_f32_e32 v4, v6, v4
	v_div_scale_f32 v6, s2, 1.0, v1, 1.0
	s_delay_alu instid0(VALU_DEP_1) | instskip(NEXT) | instid1(VALU_DEP_1)
	v_mul_f32_e32 v9, v6, v5
	v_fma_f32 v12, -v3, v9, v6
	s_delay_alu instid0(VALU_DEP_1) | instskip(SKIP_1) | instid1(VALU_DEP_2)
	v_fmac_f32_e32 v9, v12, v5
	v_mul_f32_e32 v7, v8, v4
	v_fma_f32 v3, -v3, v9, v6
	s_delay_alu instid0(VALU_DEP_2) | instskip(NEXT) | instid1(VALU_DEP_1)
	v_fma_f32 v11, -v2, v7, v8
	v_fmac_f32_e32 v7, v11, v4
	s_delay_alu instid0(VALU_DEP_1) | instskip(NEXT) | instid1(VALU_DEP_1)
	v_fma_f32 v2, -v2, v7, v8
	v_div_fmas_f32 v2, v2, v4, v7
	s_mov_b32 vcc_lo, s2
	v_div_fmas_f32 v3, v3, v5, v9
	s_delay_alu instid0(VALU_DEP_2) | instskip(NEXT) | instid1(VALU_DEP_2)
	v_div_fixup_f32 v0, v2, v0, 1.0
	v_div_fixup_f32 v1, v3, v1, 1.0
	s_delay_alu instid0(VALU_DEP_2) | instskip(SKIP_1) | instid1(VALU_DEP_3)
	v_cmp_class_f32_e64 vcc_lo, v0, 0x1f8
	v_cndmask_b32_e32 v0, 0, v0, vcc_lo
	v_cmp_class_f32_e64 vcc_lo, v1, 0x1f8
	v_cndmask_b32_e32 v1, 0, v1, vcc_lo
	s_delay_alu instid0(VALU_DEP_1)
	v_dual_mov_b32 v3, v1 :: v_dual_mov_b32 v2, v0
	s_cbranch_scc1 .LBB293_6
; %bb.5:
	s_load_b64 s[4:5], s[4:5], 0x0
	s_waitcnt lgkmcnt(0)
	v_dual_add_f32 v2, s4, v0 :: v_dual_add_f32 v3, s5, v1
.LBB293_6:
	s_load_b128 s[4:7], s[0:1], 0x30
	s_waitcnt lgkmcnt(0)
	s_bitcmp1_b32 s7, 0
	s_cselect_b32 vcc_lo, -1, 0
	s_cmp_gt_i32 s4, 0
	s_cselect_b32 s7, -1, 0
	s_cmp_lt_i32 s4, 1
	s_cbranch_scc1 .LBB293_10
; %bb.7:
	v_mul_lo_u32 v4, v10, s4
	s_load_b128 s[12:15], s[0:1], 0x20
	v_dual_mov_b32 v11, 0 :: v_dual_mov_b32 v12, v10
	s_mov_b32 s11, 0
	s_delay_alu instid0(VALU_DEP_2) | instskip(NEXT) | instid1(VALU_DEP_1)
	v_ashrrev_i32_e32 v5, 31, v4
	v_lshlrev_b64 v[8:9], 2, v[4:5]
	v_lshlrev_b64 v[6:7], 3, v[4:5]
	s_delay_alu instid0(VALU_DEP_2) | instskip(NEXT) | instid1(VALU_DEP_1)
	v_add_co_u32 v4, s0, s8, v8
	v_add_co_ci_u32_e64 v5, s0, s9, v9, s0
	s_waitcnt lgkmcnt(0)
	s_delay_alu instid0(VALU_DEP_3) | instskip(NEXT) | instid1(VALU_DEP_1)
	v_add_co_u32 v6, s0, s12, v6
	v_add_co_ci_u32_e64 v7, s0, s13, v7, s0
	v_add_co_u32 v8, s0, s14, v8
	s_delay_alu instid0(VALU_DEP_1)
	v_add_co_ci_u32_e64 v9, s0, s15, v9, s0
.LBB293_8:                              ; =>This Inner Loop Header: Depth=1
	v_cmp_gt_f32_e64 s0, v3, v2
	global_store_b32 v[8:9], v12, off
	v_add_co_u32 v8, s1, v8, 4
	s_delay_alu instid0(VALU_DEP_1)
	v_add_co_ci_u32_e64 v9, s1, 0, v9, s1
	v_cndmask_b32_e64 v13, 0, 1, s0
	v_cndmask_b32_e64 v14, v0, v1, s0
	;; [unrolled: 1-line block ×4, first 2 shown]
	s_add_i32 s11, s11, 1
	v_cmp_le_i32_e64 s1, s5, v13
	v_cmp_gt_i32_e64 s2, s6, v13
	v_subrev_nc_u32_e32 v13, s5, v13
	global_store_b32 v[4:5], v14, off
	v_add_co_u32 v4, s0, v4, 4
	s_and_b32 s1, s1, s2
	v_ashrrev_i32_e32 v17, 31, v13
	v_add_co_ci_u32_e64 v5, s0, 0, v5, s0
	s_and_b32 s0, s10, s1
	v_add_f32_e32 v18, v11, v14
	s_delay_alu instid0(VALU_DEP_3) | instskip(SKIP_2) | instid1(VALU_DEP_3)
	v_cndmask_b32_e64 v14, 0, v17, s0
	v_cndmask_b32_e64 v13, 2, v13, s0
	s_cmp_lt_i32 s11, s4
	v_dual_cndmask_b32 v11, v11, v18 :: v_dual_add_nc_u32 v12, s3, v12
	s_cselect_b32 s0, -1, 0
	global_store_b64 v[6:7], v[13:14], off
	v_cndmask_b32_e64 v3, v3, v16, s0
	v_cndmask_b32_e64 v2, v2, v15, s0
	v_add_co_u32 v6, s0, v6, 8
	s_delay_alu instid0(VALU_DEP_1)
	v_add_co_ci_u32_e64 v7, s0, 0, v7, s0
	s_cmp_eq_u32 s4, s11
	s_cbranch_scc0 .LBB293_8
; %bb.9:
	s_and_b32 vcc_lo, exec_lo, vcc_lo
	s_cbranch_vccnz .LBB293_11
	s_branch .LBB293_14
.LBB293_10:
	v_mov_b32_e32 v11, 0
	s_and_b32 vcc_lo, exec_lo, vcc_lo
	s_cbranch_vccz .LBB293_14
.LBB293_11:
	s_and_not1_b32 vcc_lo, exec_lo, s7
	s_cbranch_vccnz .LBB293_14
; %bb.12:
	v_mul_lo_u32 v0, v10, s4
	v_cmp_lt_f32_e32 vcc_lo, 0, v11
	v_cndmask_b32_e32 v2, 1.0, v11, vcc_lo
	s_delay_alu instid0(VALU_DEP_3) | instskip(NEXT) | instid1(VALU_DEP_1)
	v_ashrrev_i32_e32 v1, 31, v0
	v_lshlrev_b64 v[0:1], 2, v[0:1]
	s_delay_alu instid0(VALU_DEP_1) | instskip(NEXT) | instid1(VALU_DEP_2)
	v_add_co_u32 v0, vcc_lo, s8, v0
	v_add_co_ci_u32_e32 v1, vcc_lo, s9, v1, vcc_lo
	.p2align	6
.LBB293_13:                             ; =>This Inner Loop Header: Depth=1
	global_load_b32 v3, v[0:1], off
	s_add_i32 s4, s4, -1
	s_delay_alu instid0(SALU_CYCLE_1) | instskip(SKIP_3) | instid1(VALU_DEP_2)
	s_cmp_lg_u32 s4, 0
	s_waitcnt vmcnt(0)
	v_div_scale_f32 v4, null, v2, v2, v3
	v_div_scale_f32 v7, vcc_lo, v3, v2, v3
	v_rcp_f32_e32 v5, v4
	s_waitcnt_depctr 0xfff
	v_fma_f32 v6, -v4, v5, 1.0
	s_delay_alu instid0(VALU_DEP_1) | instskip(NEXT) | instid1(VALU_DEP_1)
	v_fmac_f32_e32 v5, v6, v5
	v_mul_f32_e32 v6, v7, v5
	s_delay_alu instid0(VALU_DEP_1) | instskip(NEXT) | instid1(VALU_DEP_1)
	v_fma_f32 v8, -v4, v6, v7
	v_fmac_f32_e32 v6, v8, v5
	s_delay_alu instid0(VALU_DEP_1) | instskip(NEXT) | instid1(VALU_DEP_1)
	v_fma_f32 v4, -v4, v6, v7
	v_div_fmas_f32 v4, v4, v5, v6
	s_delay_alu instid0(VALU_DEP_1)
	v_div_fixup_f32 v3, v4, v2, v3
	global_store_b32 v[0:1], v3, off
	v_add_co_u32 v0, vcc_lo, v0, 4
	v_add_co_ci_u32_e32 v1, vcc_lo, 0, v1, vcc_lo
	s_cbranch_scc1 .LBB293_13
.LBB293_14:
	s_nop 0
	s_sendmsg sendmsg(MSG_DEALLOC_VGPRS)
	s_endpgm
	.section	.rodata,"a",@progbits
	.p2align	6, 0x0
	.amdhsa_kernel _ZN4vllm3moe10topkGatingILi2ELi2ELi4ELi4ELi32El6__halfLNS0_11ScoringFuncE1EEEvPKT5_PKbPfiPT4_PiiiibPKf
		.amdhsa_group_segment_fixed_size 0
		.amdhsa_private_segment_fixed_size 0
		.amdhsa_kernarg_size 72
		.amdhsa_user_sgpr_count 15
		.amdhsa_user_sgpr_dispatch_ptr 0
		.amdhsa_user_sgpr_queue_ptr 0
		.amdhsa_user_sgpr_kernarg_segment_ptr 1
		.amdhsa_user_sgpr_dispatch_id 0
		.amdhsa_user_sgpr_private_segment_size 0
		.amdhsa_wavefront_size32 1
		.amdhsa_uses_dynamic_stack 0
		.amdhsa_enable_private_segment 0
		.amdhsa_system_sgpr_workgroup_id_x 1
		.amdhsa_system_sgpr_workgroup_id_y 0
		.amdhsa_system_sgpr_workgroup_id_z 0
		.amdhsa_system_sgpr_workgroup_info 0
		.amdhsa_system_vgpr_workitem_id 1
		.amdhsa_next_free_vgpr 19
		.amdhsa_next_free_sgpr 16
		.amdhsa_reserve_vcc 1
		.amdhsa_float_round_mode_32 0
		.amdhsa_float_round_mode_16_64 0
		.amdhsa_float_denorm_mode_32 3
		.amdhsa_float_denorm_mode_16_64 3
		.amdhsa_dx10_clamp 1
		.amdhsa_ieee_mode 1
		.amdhsa_fp16_overflow 0
		.amdhsa_workgroup_processor_mode 1
		.amdhsa_memory_ordered 1
		.amdhsa_forward_progress 0
		.amdhsa_shared_vgpr_count 0
		.amdhsa_exception_fp_ieee_invalid_op 0
		.amdhsa_exception_fp_denorm_src 0
		.amdhsa_exception_fp_ieee_div_zero 0
		.amdhsa_exception_fp_ieee_overflow 0
		.amdhsa_exception_fp_ieee_underflow 0
		.amdhsa_exception_fp_ieee_inexact 0
		.amdhsa_exception_int_div_zero 0
	.end_amdhsa_kernel
	.section	.text._ZN4vllm3moe10topkGatingILi2ELi2ELi4ELi4ELi32El6__halfLNS0_11ScoringFuncE1EEEvPKT5_PKbPfiPT4_PiiiibPKf,"axG",@progbits,_ZN4vllm3moe10topkGatingILi2ELi2ELi4ELi4ELi32El6__halfLNS0_11ScoringFuncE1EEEvPKT5_PKbPfiPT4_PiiiibPKf,comdat
.Lfunc_end293:
	.size	_ZN4vllm3moe10topkGatingILi2ELi2ELi4ELi4ELi32El6__halfLNS0_11ScoringFuncE1EEEvPKT5_PKbPfiPT4_PiiiibPKf, .Lfunc_end293-_ZN4vllm3moe10topkGatingILi2ELi2ELi4ELi4ELi32El6__halfLNS0_11ScoringFuncE1EEEvPKT5_PKbPfiPT4_PiiiibPKf
                                        ; -- End function
	.section	.AMDGPU.csdata,"",@progbits
; Kernel info:
; codeLenInByte = 1152
; NumSgprs: 18
; NumVgprs: 19
; ScratchSize: 0
; MemoryBound: 0
; FloatMode: 240
; IeeeMode: 1
; LDSByteSize: 0 bytes/workgroup (compile time only)
; SGPRBlocks: 2
; VGPRBlocks: 2
; NumSGPRsForWavesPerEU: 18
; NumVGPRsForWavesPerEU: 19
; Occupancy: 16
; WaveLimiterHint : 0
; COMPUTE_PGM_RSRC2:SCRATCH_EN: 0
; COMPUTE_PGM_RSRC2:USER_SGPR: 15
; COMPUTE_PGM_RSRC2:TRAP_HANDLER: 0
; COMPUTE_PGM_RSRC2:TGID_X_EN: 1
; COMPUTE_PGM_RSRC2:TGID_Y_EN: 0
; COMPUTE_PGM_RSRC2:TGID_Z_EN: 0
; COMPUTE_PGM_RSRC2:TIDIG_COMP_CNT: 1
	.section	.text._ZN4vllm3moe10topkGatingILi4ELi4ELi4ELi8ELi64El6__halfLNS0_11ScoringFuncE1EEEvPKT5_PKbPfiPT4_PiiiibPKf,"axG",@progbits,_ZN4vllm3moe10topkGatingILi4ELi4ELi4ELi8ELi64El6__halfLNS0_11ScoringFuncE1EEEvPKT5_PKbPfiPT4_PiiiibPKf,comdat
	.protected	_ZN4vllm3moe10topkGatingILi4ELi4ELi4ELi8ELi64El6__halfLNS0_11ScoringFuncE1EEEvPKT5_PKbPfiPT4_PiiiibPKf ; -- Begin function _ZN4vllm3moe10topkGatingILi4ELi4ELi4ELi8ELi64El6__halfLNS0_11ScoringFuncE1EEEvPKT5_PKbPfiPT4_PiiiibPKf
	.globl	_ZN4vllm3moe10topkGatingILi4ELi4ELi4ELi8ELi64El6__halfLNS0_11ScoringFuncE1EEEvPKT5_PKbPfiPT4_PiiiibPKf
	.p2align	8
	.type	_ZN4vllm3moe10topkGatingILi4ELi4ELi4ELi8ELi64El6__halfLNS0_11ScoringFuncE1EEEvPKT5_PKbPfiPT4_PiiiibPKf,@function
_ZN4vllm3moe10topkGatingILi4ELi4ELi4ELi8ELi64El6__halfLNS0_11ScoringFuncE1EEEvPKT5_PKbPfiPT4_PiiiibPKf: ; @_ZN4vllm3moe10topkGatingILi4ELi4ELi4ELi8ELi64El6__halfLNS0_11ScoringFuncE1EEEvPKT5_PKbPfiPT4_PiiiibPKf
; %bb.0:
	s_load_b32 s10, s[0:1], 0x18
	v_bfe_u32 v1, v0, 10, 10
	v_and_b32_e32 v0, 0x3ff, v0
	s_lshl_b32 s2, s15, 8
	s_delay_alu instid0(VALU_DEP_2) | instskip(NEXT) | instid1(VALU_DEP_1)
	v_lshlrev_b32_e32 v1, 6, v1
	v_add3_u32 v14, v1, v0, s2
	s_mov_b32 s2, exec_lo
	s_waitcnt lgkmcnt(0)
	s_delay_alu instid0(VALU_DEP_1)
	v_cmpx_gt_i32_e64 s10, v14
	s_cbranch_execz .LBB294_15
; %bb.1:
	s_clause 0x1
	s_load_b128 s[4:7], s[0:1], 0x0
	s_load_b64 s[8:9], s[0:1], 0x10
	s_mov_b32 s12, -1
	s_mov_b32 s11, -1
	s_waitcnt lgkmcnt(0)
	s_cmp_eq_u64 s[6:7], 0
	s_cbranch_scc1 .LBB294_3
; %bb.2:
	v_ashrrev_i32_e32 v1, 31, v14
	v_add_co_u32 v0, vcc_lo, s6, v14
	s_delay_alu instid0(VALU_DEP_2) | instskip(SKIP_3) | instid1(VALU_DEP_1)
	v_add_co_ci_u32_e32 v1, vcc_lo, s7, v1, vcc_lo
	global_load_u8 v0, v[0:1], off
	s_waitcnt vmcnt(0)
	v_and_b32_e32 v0, 1, v0
	v_cmp_eq_u32_e32 vcc_lo, 1, v0
	s_xor_b32 s2, vcc_lo, -1
	s_delay_alu instid0(SALU_CYCLE_1)
	s_or_not1_b32 s11, s2, exec_lo
.LBB294_3:
	v_lshlrev_b32_e32 v0, 2, v14
	s_load_b64 s[6:7], s[0:1], 0x40
	s_delay_alu instid0(VALU_DEP_1) | instskip(NEXT) | instid1(VALU_DEP_1)
	v_ashrrev_i32_e32 v1, 31, v0
	v_lshlrev_b64 v[0:1], 1, v[0:1]
	s_delay_alu instid0(VALU_DEP_1) | instskip(NEXT) | instid1(VALU_DEP_2)
	v_add_co_u32 v0, vcc_lo, s4, v0
	v_add_co_ci_u32_e32 v1, vcc_lo, s5, v1, vcc_lo
	s_waitcnt lgkmcnt(0)
	s_cmp_eq_u64 s[6:7], 0
	global_load_b64 v[0:1], v[0:1], off
	s_waitcnt vmcnt(0)
	v_cvt_f32_f16_e32 v3, v1
	v_cvt_f32_f16_e32 v2, v0
	v_lshrrev_b32_e32 v1, 16, v1
	v_lshrrev_b32_e32 v0, 16, v0
	s_delay_alu instid0(VALU_DEP_4) | instskip(NEXT) | instid1(VALU_DEP_3)
	v_mul_f32_e32 v3, 0xbfb8aa3b, v3
	v_cvt_f32_f16_e32 v1, v1
	v_mul_f32_e32 v2, 0xbfb8aa3b, v2
	s_delay_alu instid0(VALU_DEP_4) | instskip(NEXT) | instid1(VALU_DEP_4)
	v_cvt_f32_f16_e32 v0, v0
	v_exp_f32_e32 v3, v3
	s_delay_alu instid0(VALU_DEP_3) | instskip(NEXT) | instid1(VALU_DEP_3)
	v_mul_f32_e32 v1, 0xbfb8aa3b, v1
	v_exp_f32_e32 v2, v2
	s_delay_alu instid0(VALU_DEP_2) | instskip(NEXT) | instid1(VALU_DEP_2)
	v_mul_f32_e32 v0, 0xbfb8aa3b, v0
	v_exp_f32_e32 v1, v1
	s_delay_alu instid0(TRANS32_DEP_3) | instskip(NEXT) | instid1(VALU_DEP_2)
	v_add_f32_e32 v3, 1.0, v3
	v_exp_f32_e32 v0, v0
	s_delay_alu instid0(TRANS32_DEP_3) | instskip(NEXT) | instid1(VALU_DEP_2)
	v_add_f32_e32 v2, 1.0, v2
	v_div_scale_f32 v5, null, v3, v3, 1.0
	s_waitcnt_depctr 0xfff
	v_add_f32_e32 v1, 1.0, v1
	v_div_scale_f32 v4, null, v2, v2, 1.0
	v_rcp_f32_e32 v9, v5
	v_div_scale_f32 v12, vcc_lo, 1.0, v2, 1.0
	s_delay_alu instid0(VALU_DEP_2)
	v_rcp_f32_e32 v6, v4
	v_div_scale_f32 v8, null, v1, v1, 1.0
	v_div_scale_f32 v15, s2, 1.0, v3, 1.0
	v_div_scale_f32 v19, s4, 1.0, v1, 1.0
	s_waitcnt_depctr 0xfff
	v_fma_f32 v17, -v5, v9, 1.0
	v_add_f32_e32 v0, 1.0, v0
	v_rcp_f32_e32 v11, v8
	v_fma_f32 v13, -v4, v6, 1.0
	s_delay_alu instid0(VALU_DEP_3) | instskip(NEXT) | instid1(VALU_DEP_3)
	v_fmac_f32_e32 v9, v17, v9
	v_div_scale_f32 v7, null, v0, v0, 1.0
	v_div_scale_f32 v16, s3, 1.0, v0, 1.0
	s_delay_alu instid0(VALU_DEP_2) | instskip(SKIP_2) | instid1(VALU_DEP_1)
	v_rcp_f32_e32 v10, v7
	s_waitcnt_depctr 0xfff
	v_fma_f32 v18, -v8, v11, 1.0
	v_dual_fmac_f32 v6, v13, v6 :: v_dual_fmac_f32 v11, v18, v11
	s_delay_alu instid0(VALU_DEP_1) | instskip(SKIP_1) | instid1(VALU_DEP_3)
	v_mul_f32_e32 v17, v12, v6
	v_fma_f32 v13, -v7, v10, 1.0
	v_mul_f32_e32 v21, v19, v11
	s_delay_alu instid0(VALU_DEP_3) | instskip(NEXT) | instid1(VALU_DEP_3)
	v_fma_f32 v18, -v4, v17, v12
	v_dual_fmac_f32 v10, v13, v10 :: v_dual_mul_f32 v13, v15, v9
	s_delay_alu instid0(VALU_DEP_2) | instskip(NEXT) | instid1(VALU_DEP_4)
	v_fmac_f32_e32 v17, v18, v6
	v_fma_f32 v23, -v8, v21, v19
	s_delay_alu instid0(VALU_DEP_3) | instskip(NEXT) | instid1(VALU_DEP_4)
	v_mul_f32_e32 v20, v16, v10
	v_fma_f32 v22, -v5, v13, v15
	s_delay_alu instid0(VALU_DEP_4) | instskip(NEXT) | instid1(VALU_DEP_4)
	v_fma_f32 v4, -v4, v17, v12
	v_fmac_f32_e32 v21, v23, v11
	s_delay_alu instid0(VALU_DEP_4) | instskip(NEXT) | instid1(VALU_DEP_3)
	v_fma_f32 v18, -v7, v20, v16
	v_div_fmas_f32 v4, v4, v6, v17
	s_mov_b32 vcc_lo, s3
	s_delay_alu instid0(VALU_DEP_2) | instskip(NEXT) | instid1(VALU_DEP_2)
	v_fmac_f32_e32 v20, v18, v10
	v_div_fixup_f32 v2, v4, v2, 1.0
	v_fmac_f32_e32 v13, v22, v9
	s_delay_alu instid0(VALU_DEP_3) | instskip(SKIP_1) | instid1(VALU_DEP_3)
	v_fma_f32 v6, -v7, v20, v16
	v_fma_f32 v7, -v8, v21, v19
	;; [unrolled: 1-line block ×3, first 2 shown]
	s_delay_alu instid0(VALU_DEP_3) | instskip(SKIP_1) | instid1(VALU_DEP_2)
	v_div_fmas_f32 v4, v6, v10, v20
	s_mov_b32 vcc_lo, s2
	v_div_fmas_f32 v5, v5, v9, v13
	s_mov_b32 vcc_lo, s4
	s_delay_alu instid0(VALU_DEP_2) | instskip(SKIP_3) | instid1(VALU_DEP_3)
	v_div_fixup_f32 v4, v4, v0, 1.0
	v_div_fmas_f32 v6, v7, v11, v21
	v_cmp_class_f32_e64 vcc_lo, v2, 0x1f8
	v_div_fixup_f32 v3, v5, v3, 1.0
	v_div_fixup_f32 v5, v6, v1, 1.0
	v_cndmask_b32_e32 v0, 0, v2, vcc_lo
	v_cmp_class_f32_e64 vcc_lo, v4, 0x1f8
	v_cndmask_b32_e32 v1, 0, v4, vcc_lo
	v_cmp_class_f32_e64 vcc_lo, v3, 0x1f8
	;; [unrolled: 2-line block ×3, first 2 shown]
	v_cndmask_b32_e32 v3, 0, v5, vcc_lo
	s_cbranch_scc1 .LBB294_10
; %bb.4:
	s_load_b128 s[4:7], s[6:7], 0x0
	s_waitcnt lgkmcnt(0)
	v_dual_add_f32 v4, s4, v0 :: v_dual_add_f32 v5, s5, v1
	v_dual_add_f32 v6, s6, v2 :: v_dual_add_f32 v7, s7, v3
	s_cbranch_execnz .LBB294_6
.LBB294_5:
	v_dual_mov_b32 v7, v3 :: v_dual_mov_b32 v6, v2
	v_dual_mov_b32 v5, v1 :: v_dual_mov_b32 v4, v0
.LBB294_6:
	s_load_b128 s[4:7], s[0:1], 0x30
	s_waitcnt lgkmcnt(0)
	s_bitcmp1_b32 s7, 0
	s_mov_b32 s7, 0
	s_cselect_b32 vcc_lo, -1, 0
	s_cmp_gt_i32 s4, 0
	s_cselect_b32 s3, -1, 0
	s_cmp_lt_i32 s4, 1
	s_cbranch_scc1 .LBB294_11
; %bb.7:
	v_mul_lo_u32 v8, v14, s4
	s_load_b128 s[12:15], s[0:1], 0x20
	v_dual_mov_b32 v15, 0 :: v_dual_mov_b32 v16, v14
	s_delay_alu instid0(VALU_DEP_2) | instskip(NEXT) | instid1(VALU_DEP_1)
	v_ashrrev_i32_e32 v9, 31, v8
	v_lshlrev_b64 v[12:13], 2, v[8:9]
	v_lshlrev_b64 v[10:11], 3, v[8:9]
	s_delay_alu instid0(VALU_DEP_2) | instskip(NEXT) | instid1(VALU_DEP_1)
	v_add_co_u32 v8, s0, s8, v12
	v_add_co_ci_u32_e64 v9, s0, s9, v13, s0
	s_waitcnt lgkmcnt(0)
	s_delay_alu instid0(VALU_DEP_3) | instskip(NEXT) | instid1(VALU_DEP_1)
	v_add_co_u32 v10, s0, s12, v10
	v_add_co_ci_u32_e64 v11, s0, s13, v11, s0
	v_add_co_u32 v12, s0, s14, v12
	s_delay_alu instid0(VALU_DEP_1)
	v_add_co_ci_u32_e64 v13, s0, s15, v13, s0
.LBB294_8:                              ; =>This Inner Loop Header: Depth=1
	v_cmp_gt_f32_e64 s0, v5, v4
	global_store_b32 v[12:13], v16, off
	v_add_co_u32 v12, s1, v12, 4
	s_delay_alu instid0(VALU_DEP_1)
	v_add_co_ci_u32_e64 v13, s1, 0, v13, s1
	v_cndmask_b32_e64 v18, v4, v5, s0
	v_cndmask_b32_e64 v17, 0, 1, s0
	;; [unrolled: 1-line block ×3, first 2 shown]
	s_add_i32 s7, s7, 1
	v_add_nc_u32_e32 v16, s10, v16
	v_cmp_gt_f32_e64 s0, v6, v18
	s_delay_alu instid0(VALU_DEP_1) | instskip(SKIP_2) | instid1(VALU_DEP_3)
	v_cndmask_b32_e64 v18, v18, v6, s0
	v_cndmask_b32_e64 v17, v17, 2, s0
	;; [unrolled: 1-line block ×3, first 2 shown]
	v_cmp_gt_f32_e64 s0, v7, v18
	s_delay_alu instid0(VALU_DEP_1) | instskip(NEXT) | instid1(VALU_DEP_3)
	v_cndmask_b32_e64 v17, v17, 3, s0
	v_cndmask_b32_e64 v18, v19, v3, s0
	s_delay_alu instid0(VALU_DEP_2)
	v_cmp_ne_u32_e64 s2, 0, v17
	v_cmp_le_i32_e64 s0, s5, v17
	v_cmp_gt_i32_e64 s1, s6, v17
	v_subrev_nc_u32_e32 v19, s5, v17
	global_store_b32 v[8:9], v18, off
	v_cndmask_b32_e64 v20, 0xc61c4000, v4, s2
	v_cmp_ne_u32_e64 s2, 1, v17
	s_and_b32 s1, s0, s1
	v_add_co_u32 v8, s0, v8, 4
	s_delay_alu instid0(VALU_DEP_1) | instskip(NEXT) | instid1(VALU_DEP_3)
	v_add_co_ci_u32_e64 v9, s0, 0, v9, s0
	v_cndmask_b32_e64 v21, 0xc61c4000, v5, s2
	v_cmp_ne_u32_e64 s2, 2, v17
	s_and_b32 s0, s11, s1
	v_add_f32_e32 v24, v15, v18
	s_cmp_lt_i32 s7, s4
	s_delay_alu instid0(VALU_DEP_2) | instskip(SKIP_3) | instid1(VALU_DEP_3)
	v_cndmask_b32_e64 v22, 0xc61c4000, v6, s2
	v_cmp_ne_u32_e64 s2, 3, v17
	v_ashrrev_i32_e32 v17, 31, v19
	v_cndmask_b32_e32 v15, v15, v24, vcc_lo
	v_cndmask_b32_e64 v23, 0xc61c4000, v7, s2
	s_delay_alu instid0(VALU_DEP_3)
	v_cndmask_b32_e64 v18, 0, v17, s0
	v_cndmask_b32_e64 v17, 4, v19, s0
	s_cselect_b32 s0, -1, 0
	s_cmp_eq_u32 s4, s7
	v_cndmask_b32_e64 v7, v7, v23, s0
	v_cndmask_b32_e64 v6, v6, v22, s0
	;; [unrolled: 1-line block ×4, first 2 shown]
	global_store_b64 v[10:11], v[17:18], off
	v_add_co_u32 v10, s0, v10, 8
	s_delay_alu instid0(VALU_DEP_1)
	v_add_co_ci_u32_e64 v11, s0, 0, v11, s0
	s_cbranch_scc0 .LBB294_8
; %bb.9:
	s_and_b32 vcc_lo, exec_lo, vcc_lo
	s_cbranch_vccnz .LBB294_12
	s_branch .LBB294_15
.LBB294_10:
                                        ; implicit-def: $vgpr4_vgpr5_vgpr6_vgpr7
	s_and_not1_b32 vcc_lo, exec_lo, s12
	s_cbranch_vccz .LBB294_5
	s_branch .LBB294_6
.LBB294_11:
	v_mov_b32_e32 v15, 0
	s_and_b32 vcc_lo, exec_lo, vcc_lo
	s_cbranch_vccz .LBB294_15
.LBB294_12:
	s_and_not1_b32 vcc_lo, exec_lo, s3
	s_cbranch_vccnz .LBB294_15
; %bb.13:
	v_mul_lo_u32 v0, v14, s4
	v_cmp_lt_f32_e32 vcc_lo, 0, v15
	v_cndmask_b32_e32 v2, 1.0, v15, vcc_lo
	s_delay_alu instid0(VALU_DEP_3) | instskip(NEXT) | instid1(VALU_DEP_1)
	v_ashrrev_i32_e32 v1, 31, v0
	v_lshlrev_b64 v[0:1], 2, v[0:1]
	s_delay_alu instid0(VALU_DEP_1) | instskip(NEXT) | instid1(VALU_DEP_2)
	v_add_co_u32 v0, vcc_lo, s8, v0
	v_add_co_ci_u32_e32 v1, vcc_lo, s9, v1, vcc_lo
	.p2align	6
.LBB294_14:                             ; =>This Inner Loop Header: Depth=1
	global_load_b32 v3, v[0:1], off
	s_add_i32 s4, s4, -1
	s_delay_alu instid0(SALU_CYCLE_1) | instskip(SKIP_3) | instid1(VALU_DEP_2)
	s_cmp_lg_u32 s4, 0
	s_waitcnt vmcnt(0)
	v_div_scale_f32 v4, null, v2, v2, v3
	v_div_scale_f32 v7, vcc_lo, v3, v2, v3
	v_rcp_f32_e32 v5, v4
	s_waitcnt_depctr 0xfff
	v_fma_f32 v6, -v4, v5, 1.0
	s_delay_alu instid0(VALU_DEP_1) | instskip(NEXT) | instid1(VALU_DEP_1)
	v_fmac_f32_e32 v5, v6, v5
	v_mul_f32_e32 v6, v7, v5
	s_delay_alu instid0(VALU_DEP_1) | instskip(NEXT) | instid1(VALU_DEP_1)
	v_fma_f32 v8, -v4, v6, v7
	v_fmac_f32_e32 v6, v8, v5
	s_delay_alu instid0(VALU_DEP_1) | instskip(NEXT) | instid1(VALU_DEP_1)
	v_fma_f32 v4, -v4, v6, v7
	v_div_fmas_f32 v4, v4, v5, v6
	s_delay_alu instid0(VALU_DEP_1)
	v_div_fixup_f32 v3, v4, v2, v3
	global_store_b32 v[0:1], v3, off
	v_add_co_u32 v0, vcc_lo, v0, 4
	v_add_co_ci_u32_e32 v1, vcc_lo, 0, v1, vcc_lo
	s_cbranch_scc1 .LBB294_14
.LBB294_15:
	s_nop 0
	s_sendmsg sendmsg(MSG_DEALLOC_VGPRS)
	s_endpgm
	.section	.rodata,"a",@progbits
	.p2align	6, 0x0
	.amdhsa_kernel _ZN4vllm3moe10topkGatingILi4ELi4ELi4ELi8ELi64El6__halfLNS0_11ScoringFuncE1EEEvPKT5_PKbPfiPT4_PiiiibPKf
		.amdhsa_group_segment_fixed_size 0
		.amdhsa_private_segment_fixed_size 0
		.amdhsa_kernarg_size 72
		.amdhsa_user_sgpr_count 15
		.amdhsa_user_sgpr_dispatch_ptr 0
		.amdhsa_user_sgpr_queue_ptr 0
		.amdhsa_user_sgpr_kernarg_segment_ptr 1
		.amdhsa_user_sgpr_dispatch_id 0
		.amdhsa_user_sgpr_private_segment_size 0
		.amdhsa_wavefront_size32 1
		.amdhsa_uses_dynamic_stack 0
		.amdhsa_enable_private_segment 0
		.amdhsa_system_sgpr_workgroup_id_x 1
		.amdhsa_system_sgpr_workgroup_id_y 0
		.amdhsa_system_sgpr_workgroup_id_z 0
		.amdhsa_system_sgpr_workgroup_info 0
		.amdhsa_system_vgpr_workitem_id 1
		.amdhsa_next_free_vgpr 25
		.amdhsa_next_free_sgpr 16
		.amdhsa_reserve_vcc 1
		.amdhsa_float_round_mode_32 0
		.amdhsa_float_round_mode_16_64 0
		.amdhsa_float_denorm_mode_32 3
		.amdhsa_float_denorm_mode_16_64 3
		.amdhsa_dx10_clamp 1
		.amdhsa_ieee_mode 1
		.amdhsa_fp16_overflow 0
		.amdhsa_workgroup_processor_mode 1
		.amdhsa_memory_ordered 1
		.amdhsa_forward_progress 0
		.amdhsa_shared_vgpr_count 0
		.amdhsa_exception_fp_ieee_invalid_op 0
		.amdhsa_exception_fp_denorm_src 0
		.amdhsa_exception_fp_ieee_div_zero 0
		.amdhsa_exception_fp_ieee_overflow 0
		.amdhsa_exception_fp_ieee_underflow 0
		.amdhsa_exception_fp_ieee_inexact 0
		.amdhsa_exception_int_div_zero 0
	.end_amdhsa_kernel
	.section	.text._ZN4vllm3moe10topkGatingILi4ELi4ELi4ELi8ELi64El6__halfLNS0_11ScoringFuncE1EEEvPKT5_PKbPfiPT4_PiiiibPKf,"axG",@progbits,_ZN4vllm3moe10topkGatingILi4ELi4ELi4ELi8ELi64El6__halfLNS0_11ScoringFuncE1EEEvPKT5_PKbPfiPT4_PiiiibPKf,comdat
.Lfunc_end294:
	.size	_ZN4vllm3moe10topkGatingILi4ELi4ELi4ELi8ELi64El6__halfLNS0_11ScoringFuncE1EEEvPKT5_PKbPfiPT4_PiiiibPKf, .Lfunc_end294-_ZN4vllm3moe10topkGatingILi4ELi4ELi4ELi8ELi64El6__halfLNS0_11ScoringFuncE1EEEvPKT5_PKbPfiPT4_PiiiibPKf
                                        ; -- End function
	.section	.AMDGPU.csdata,"",@progbits
; Kernel info:
; codeLenInByte = 1596
; NumSgprs: 18
; NumVgprs: 25
; ScratchSize: 0
; MemoryBound: 0
; FloatMode: 240
; IeeeMode: 1
; LDSByteSize: 0 bytes/workgroup (compile time only)
; SGPRBlocks: 2
; VGPRBlocks: 3
; NumSGPRsForWavesPerEU: 18
; NumVGPRsForWavesPerEU: 25
; Occupancy: 16
; WaveLimiterHint : 0
; COMPUTE_PGM_RSRC2:SCRATCH_EN: 0
; COMPUTE_PGM_RSRC2:USER_SGPR: 15
; COMPUTE_PGM_RSRC2:TRAP_HANDLER: 0
; COMPUTE_PGM_RSRC2:TGID_X_EN: 1
; COMPUTE_PGM_RSRC2:TGID_Y_EN: 0
; COMPUTE_PGM_RSRC2:TGID_Z_EN: 0
; COMPUTE_PGM_RSRC2:TIDIG_COMP_CNT: 1
	.section	.text._ZN4vllm3moe10topkGatingILi4ELi4ELi4ELi8ELi32El6__halfLNS0_11ScoringFuncE1EEEvPKT5_PKbPfiPT4_PiiiibPKf,"axG",@progbits,_ZN4vllm3moe10topkGatingILi4ELi4ELi4ELi8ELi32El6__halfLNS0_11ScoringFuncE1EEEvPKT5_PKbPfiPT4_PiiiibPKf,comdat
	.protected	_ZN4vllm3moe10topkGatingILi4ELi4ELi4ELi8ELi32El6__halfLNS0_11ScoringFuncE1EEEvPKT5_PKbPfiPT4_PiiiibPKf ; -- Begin function _ZN4vllm3moe10topkGatingILi4ELi4ELi4ELi8ELi32El6__halfLNS0_11ScoringFuncE1EEEvPKT5_PKbPfiPT4_PiiiibPKf
	.globl	_ZN4vllm3moe10topkGatingILi4ELi4ELi4ELi8ELi32El6__halfLNS0_11ScoringFuncE1EEEvPKT5_PKbPfiPT4_PiiiibPKf
	.p2align	8
	.type	_ZN4vllm3moe10topkGatingILi4ELi4ELi4ELi8ELi32El6__halfLNS0_11ScoringFuncE1EEEvPKT5_PKbPfiPT4_PiiiibPKf,@function
_ZN4vllm3moe10topkGatingILi4ELi4ELi4ELi8ELi32El6__halfLNS0_11ScoringFuncE1EEEvPKT5_PKbPfiPT4_PiiiibPKf: ; @_ZN4vllm3moe10topkGatingILi4ELi4ELi4ELi8ELi32El6__halfLNS0_11ScoringFuncE1EEEvPKT5_PKbPfiPT4_PiiiibPKf
; %bb.0:
	s_load_b32 s10, s[0:1], 0x18
	v_bfe_u32 v1, v0, 10, 10
	v_and_b32_e32 v0, 0x3ff, v0
	s_lshl_b32 s2, s15, 7
	s_delay_alu instid0(VALU_DEP_2) | instskip(NEXT) | instid1(VALU_DEP_1)
	v_lshlrev_b32_e32 v1, 5, v1
	v_add3_u32 v14, v1, v0, s2
	s_mov_b32 s2, exec_lo
	s_waitcnt lgkmcnt(0)
	s_delay_alu instid0(VALU_DEP_1)
	v_cmpx_gt_i32_e64 s10, v14
	s_cbranch_execz .LBB295_15
; %bb.1:
	s_clause 0x1
	s_load_b128 s[4:7], s[0:1], 0x0
	s_load_b64 s[8:9], s[0:1], 0x10
	s_mov_b32 s12, -1
	s_mov_b32 s11, -1
	s_waitcnt lgkmcnt(0)
	s_cmp_eq_u64 s[6:7], 0
	s_cbranch_scc1 .LBB295_3
; %bb.2:
	v_ashrrev_i32_e32 v1, 31, v14
	v_add_co_u32 v0, vcc_lo, s6, v14
	s_delay_alu instid0(VALU_DEP_2) | instskip(SKIP_3) | instid1(VALU_DEP_1)
	v_add_co_ci_u32_e32 v1, vcc_lo, s7, v1, vcc_lo
	global_load_u8 v0, v[0:1], off
	s_waitcnt vmcnt(0)
	v_and_b32_e32 v0, 1, v0
	v_cmp_eq_u32_e32 vcc_lo, 1, v0
	s_xor_b32 s2, vcc_lo, -1
	s_delay_alu instid0(SALU_CYCLE_1)
	s_or_not1_b32 s11, s2, exec_lo
.LBB295_3:
	v_lshlrev_b32_e32 v0, 2, v14
	s_load_b64 s[6:7], s[0:1], 0x40
	s_delay_alu instid0(VALU_DEP_1) | instskip(NEXT) | instid1(VALU_DEP_1)
	v_ashrrev_i32_e32 v1, 31, v0
	v_lshlrev_b64 v[0:1], 1, v[0:1]
	s_delay_alu instid0(VALU_DEP_1) | instskip(NEXT) | instid1(VALU_DEP_2)
	v_add_co_u32 v0, vcc_lo, s4, v0
	v_add_co_ci_u32_e32 v1, vcc_lo, s5, v1, vcc_lo
	s_waitcnt lgkmcnt(0)
	s_cmp_eq_u64 s[6:7], 0
	global_load_b64 v[0:1], v[0:1], off
	s_waitcnt vmcnt(0)
	v_cvt_f32_f16_e32 v3, v1
	v_cvt_f32_f16_e32 v2, v0
	v_lshrrev_b32_e32 v1, 16, v1
	v_lshrrev_b32_e32 v0, 16, v0
	s_delay_alu instid0(VALU_DEP_4) | instskip(NEXT) | instid1(VALU_DEP_3)
	v_mul_f32_e32 v3, 0xbfb8aa3b, v3
	v_cvt_f32_f16_e32 v1, v1
	v_mul_f32_e32 v2, 0xbfb8aa3b, v2
	s_delay_alu instid0(VALU_DEP_4) | instskip(NEXT) | instid1(VALU_DEP_4)
	v_cvt_f32_f16_e32 v0, v0
	v_exp_f32_e32 v3, v3
	s_delay_alu instid0(VALU_DEP_3) | instskip(NEXT) | instid1(VALU_DEP_3)
	v_mul_f32_e32 v1, 0xbfb8aa3b, v1
	v_exp_f32_e32 v2, v2
	s_delay_alu instid0(VALU_DEP_2) | instskip(NEXT) | instid1(VALU_DEP_2)
	v_mul_f32_e32 v0, 0xbfb8aa3b, v0
	v_exp_f32_e32 v1, v1
	s_delay_alu instid0(TRANS32_DEP_3) | instskip(NEXT) | instid1(VALU_DEP_2)
	v_add_f32_e32 v3, 1.0, v3
	v_exp_f32_e32 v0, v0
	s_delay_alu instid0(TRANS32_DEP_3) | instskip(NEXT) | instid1(VALU_DEP_2)
	v_add_f32_e32 v2, 1.0, v2
	v_div_scale_f32 v5, null, v3, v3, 1.0
	s_waitcnt_depctr 0xfff
	v_add_f32_e32 v1, 1.0, v1
	v_div_scale_f32 v4, null, v2, v2, 1.0
	v_rcp_f32_e32 v9, v5
	v_div_scale_f32 v12, vcc_lo, 1.0, v2, 1.0
	s_delay_alu instid0(VALU_DEP_2)
	v_rcp_f32_e32 v6, v4
	v_div_scale_f32 v8, null, v1, v1, 1.0
	v_div_scale_f32 v15, s2, 1.0, v3, 1.0
	v_div_scale_f32 v19, s4, 1.0, v1, 1.0
	s_waitcnt_depctr 0xfff
	v_fma_f32 v17, -v5, v9, 1.0
	v_add_f32_e32 v0, 1.0, v0
	v_rcp_f32_e32 v11, v8
	v_fma_f32 v13, -v4, v6, 1.0
	s_delay_alu instid0(VALU_DEP_3) | instskip(NEXT) | instid1(VALU_DEP_3)
	v_fmac_f32_e32 v9, v17, v9
	v_div_scale_f32 v7, null, v0, v0, 1.0
	v_div_scale_f32 v16, s3, 1.0, v0, 1.0
	s_delay_alu instid0(VALU_DEP_2) | instskip(SKIP_2) | instid1(VALU_DEP_1)
	v_rcp_f32_e32 v10, v7
	s_waitcnt_depctr 0xfff
	v_fma_f32 v18, -v8, v11, 1.0
	v_dual_fmac_f32 v6, v13, v6 :: v_dual_fmac_f32 v11, v18, v11
	s_delay_alu instid0(VALU_DEP_1) | instskip(SKIP_1) | instid1(VALU_DEP_3)
	v_mul_f32_e32 v17, v12, v6
	v_fma_f32 v13, -v7, v10, 1.0
	v_mul_f32_e32 v21, v19, v11
	s_delay_alu instid0(VALU_DEP_3) | instskip(NEXT) | instid1(VALU_DEP_3)
	v_fma_f32 v18, -v4, v17, v12
	v_dual_fmac_f32 v10, v13, v10 :: v_dual_mul_f32 v13, v15, v9
	s_delay_alu instid0(VALU_DEP_2) | instskip(NEXT) | instid1(VALU_DEP_4)
	v_fmac_f32_e32 v17, v18, v6
	v_fma_f32 v23, -v8, v21, v19
	s_delay_alu instid0(VALU_DEP_3) | instskip(NEXT) | instid1(VALU_DEP_4)
	v_mul_f32_e32 v20, v16, v10
	v_fma_f32 v22, -v5, v13, v15
	s_delay_alu instid0(VALU_DEP_4) | instskip(NEXT) | instid1(VALU_DEP_4)
	v_fma_f32 v4, -v4, v17, v12
	v_fmac_f32_e32 v21, v23, v11
	s_delay_alu instid0(VALU_DEP_4) | instskip(NEXT) | instid1(VALU_DEP_3)
	v_fma_f32 v18, -v7, v20, v16
	v_div_fmas_f32 v4, v4, v6, v17
	s_mov_b32 vcc_lo, s3
	s_delay_alu instid0(VALU_DEP_2) | instskip(NEXT) | instid1(VALU_DEP_2)
	v_fmac_f32_e32 v20, v18, v10
	v_div_fixup_f32 v2, v4, v2, 1.0
	v_fmac_f32_e32 v13, v22, v9
	s_delay_alu instid0(VALU_DEP_3) | instskip(SKIP_1) | instid1(VALU_DEP_3)
	v_fma_f32 v6, -v7, v20, v16
	v_fma_f32 v7, -v8, v21, v19
	;; [unrolled: 1-line block ×3, first 2 shown]
	s_delay_alu instid0(VALU_DEP_3) | instskip(SKIP_1) | instid1(VALU_DEP_2)
	v_div_fmas_f32 v4, v6, v10, v20
	s_mov_b32 vcc_lo, s2
	v_div_fmas_f32 v5, v5, v9, v13
	s_mov_b32 vcc_lo, s4
	s_delay_alu instid0(VALU_DEP_2) | instskip(SKIP_3) | instid1(VALU_DEP_3)
	v_div_fixup_f32 v4, v4, v0, 1.0
	v_div_fmas_f32 v6, v7, v11, v21
	v_cmp_class_f32_e64 vcc_lo, v2, 0x1f8
	v_div_fixup_f32 v3, v5, v3, 1.0
	v_div_fixup_f32 v5, v6, v1, 1.0
	v_cndmask_b32_e32 v0, 0, v2, vcc_lo
	v_cmp_class_f32_e64 vcc_lo, v4, 0x1f8
	v_cndmask_b32_e32 v1, 0, v4, vcc_lo
	v_cmp_class_f32_e64 vcc_lo, v3, 0x1f8
	;; [unrolled: 2-line block ×3, first 2 shown]
	v_cndmask_b32_e32 v3, 0, v5, vcc_lo
	s_cbranch_scc1 .LBB295_10
; %bb.4:
	s_load_b128 s[4:7], s[6:7], 0x0
	s_waitcnt lgkmcnt(0)
	v_dual_add_f32 v4, s4, v0 :: v_dual_add_f32 v5, s5, v1
	v_dual_add_f32 v6, s6, v2 :: v_dual_add_f32 v7, s7, v3
	s_cbranch_execnz .LBB295_6
.LBB295_5:
	v_dual_mov_b32 v7, v3 :: v_dual_mov_b32 v6, v2
	v_dual_mov_b32 v5, v1 :: v_dual_mov_b32 v4, v0
.LBB295_6:
	s_load_b128 s[4:7], s[0:1], 0x30
	s_waitcnt lgkmcnt(0)
	s_bitcmp1_b32 s7, 0
	s_mov_b32 s7, 0
	s_cselect_b32 vcc_lo, -1, 0
	s_cmp_gt_i32 s4, 0
	s_cselect_b32 s3, -1, 0
	s_cmp_lt_i32 s4, 1
	s_cbranch_scc1 .LBB295_11
; %bb.7:
	v_mul_lo_u32 v8, v14, s4
	s_load_b128 s[12:15], s[0:1], 0x20
	v_dual_mov_b32 v15, 0 :: v_dual_mov_b32 v16, v14
	s_delay_alu instid0(VALU_DEP_2) | instskip(NEXT) | instid1(VALU_DEP_1)
	v_ashrrev_i32_e32 v9, 31, v8
	v_lshlrev_b64 v[12:13], 2, v[8:9]
	v_lshlrev_b64 v[10:11], 3, v[8:9]
	s_delay_alu instid0(VALU_DEP_2) | instskip(NEXT) | instid1(VALU_DEP_1)
	v_add_co_u32 v8, s0, s8, v12
	v_add_co_ci_u32_e64 v9, s0, s9, v13, s0
	s_waitcnt lgkmcnt(0)
	s_delay_alu instid0(VALU_DEP_3) | instskip(NEXT) | instid1(VALU_DEP_1)
	v_add_co_u32 v10, s0, s12, v10
	v_add_co_ci_u32_e64 v11, s0, s13, v11, s0
	v_add_co_u32 v12, s0, s14, v12
	s_delay_alu instid0(VALU_DEP_1)
	v_add_co_ci_u32_e64 v13, s0, s15, v13, s0
.LBB295_8:                              ; =>This Inner Loop Header: Depth=1
	v_cmp_gt_f32_e64 s0, v5, v4
	global_store_b32 v[12:13], v16, off
	v_add_co_u32 v12, s1, v12, 4
	s_delay_alu instid0(VALU_DEP_1)
	v_add_co_ci_u32_e64 v13, s1, 0, v13, s1
	v_cndmask_b32_e64 v18, v4, v5, s0
	v_cndmask_b32_e64 v17, 0, 1, s0
	;; [unrolled: 1-line block ×3, first 2 shown]
	s_add_i32 s7, s7, 1
	v_add_nc_u32_e32 v16, s10, v16
	v_cmp_gt_f32_e64 s0, v6, v18
	s_delay_alu instid0(VALU_DEP_1) | instskip(SKIP_2) | instid1(VALU_DEP_3)
	v_cndmask_b32_e64 v18, v18, v6, s0
	v_cndmask_b32_e64 v17, v17, 2, s0
	;; [unrolled: 1-line block ×3, first 2 shown]
	v_cmp_gt_f32_e64 s0, v7, v18
	s_delay_alu instid0(VALU_DEP_1) | instskip(NEXT) | instid1(VALU_DEP_3)
	v_cndmask_b32_e64 v17, v17, 3, s0
	v_cndmask_b32_e64 v18, v19, v3, s0
	s_delay_alu instid0(VALU_DEP_2)
	v_cmp_ne_u32_e64 s2, 0, v17
	v_cmp_le_i32_e64 s0, s5, v17
	v_cmp_gt_i32_e64 s1, s6, v17
	v_subrev_nc_u32_e32 v19, s5, v17
	global_store_b32 v[8:9], v18, off
	v_cndmask_b32_e64 v20, 0xc61c4000, v4, s2
	v_cmp_ne_u32_e64 s2, 1, v17
	s_and_b32 s1, s0, s1
	v_add_co_u32 v8, s0, v8, 4
	s_delay_alu instid0(VALU_DEP_1) | instskip(NEXT) | instid1(VALU_DEP_3)
	v_add_co_ci_u32_e64 v9, s0, 0, v9, s0
	v_cndmask_b32_e64 v21, 0xc61c4000, v5, s2
	v_cmp_ne_u32_e64 s2, 2, v17
	s_and_b32 s0, s11, s1
	v_add_f32_e32 v24, v15, v18
	s_cmp_lt_i32 s7, s4
	s_delay_alu instid0(VALU_DEP_2) | instskip(SKIP_3) | instid1(VALU_DEP_3)
	v_cndmask_b32_e64 v22, 0xc61c4000, v6, s2
	v_cmp_ne_u32_e64 s2, 3, v17
	v_ashrrev_i32_e32 v17, 31, v19
	v_cndmask_b32_e32 v15, v15, v24, vcc_lo
	v_cndmask_b32_e64 v23, 0xc61c4000, v7, s2
	s_delay_alu instid0(VALU_DEP_3)
	v_cndmask_b32_e64 v18, 0, v17, s0
	v_cndmask_b32_e64 v17, 4, v19, s0
	s_cselect_b32 s0, -1, 0
	s_cmp_eq_u32 s4, s7
	v_cndmask_b32_e64 v7, v7, v23, s0
	v_cndmask_b32_e64 v6, v6, v22, s0
	;; [unrolled: 1-line block ×4, first 2 shown]
	global_store_b64 v[10:11], v[17:18], off
	v_add_co_u32 v10, s0, v10, 8
	s_delay_alu instid0(VALU_DEP_1)
	v_add_co_ci_u32_e64 v11, s0, 0, v11, s0
	s_cbranch_scc0 .LBB295_8
; %bb.9:
	s_and_b32 vcc_lo, exec_lo, vcc_lo
	s_cbranch_vccnz .LBB295_12
	s_branch .LBB295_15
.LBB295_10:
                                        ; implicit-def: $vgpr4_vgpr5_vgpr6_vgpr7
	s_and_not1_b32 vcc_lo, exec_lo, s12
	s_cbranch_vccz .LBB295_5
	s_branch .LBB295_6
.LBB295_11:
	v_mov_b32_e32 v15, 0
	s_and_b32 vcc_lo, exec_lo, vcc_lo
	s_cbranch_vccz .LBB295_15
.LBB295_12:
	s_and_not1_b32 vcc_lo, exec_lo, s3
	s_cbranch_vccnz .LBB295_15
; %bb.13:
	v_mul_lo_u32 v0, v14, s4
	v_cmp_lt_f32_e32 vcc_lo, 0, v15
	v_cndmask_b32_e32 v2, 1.0, v15, vcc_lo
	s_delay_alu instid0(VALU_DEP_3) | instskip(NEXT) | instid1(VALU_DEP_1)
	v_ashrrev_i32_e32 v1, 31, v0
	v_lshlrev_b64 v[0:1], 2, v[0:1]
	s_delay_alu instid0(VALU_DEP_1) | instskip(NEXT) | instid1(VALU_DEP_2)
	v_add_co_u32 v0, vcc_lo, s8, v0
	v_add_co_ci_u32_e32 v1, vcc_lo, s9, v1, vcc_lo
	.p2align	6
.LBB295_14:                             ; =>This Inner Loop Header: Depth=1
	global_load_b32 v3, v[0:1], off
	s_add_i32 s4, s4, -1
	s_delay_alu instid0(SALU_CYCLE_1) | instskip(SKIP_3) | instid1(VALU_DEP_2)
	s_cmp_lg_u32 s4, 0
	s_waitcnt vmcnt(0)
	v_div_scale_f32 v4, null, v2, v2, v3
	v_div_scale_f32 v7, vcc_lo, v3, v2, v3
	v_rcp_f32_e32 v5, v4
	s_waitcnt_depctr 0xfff
	v_fma_f32 v6, -v4, v5, 1.0
	s_delay_alu instid0(VALU_DEP_1) | instskip(NEXT) | instid1(VALU_DEP_1)
	v_fmac_f32_e32 v5, v6, v5
	v_mul_f32_e32 v6, v7, v5
	s_delay_alu instid0(VALU_DEP_1) | instskip(NEXT) | instid1(VALU_DEP_1)
	v_fma_f32 v8, -v4, v6, v7
	v_fmac_f32_e32 v6, v8, v5
	s_delay_alu instid0(VALU_DEP_1) | instskip(NEXT) | instid1(VALU_DEP_1)
	v_fma_f32 v4, -v4, v6, v7
	v_div_fmas_f32 v4, v4, v5, v6
	s_delay_alu instid0(VALU_DEP_1)
	v_div_fixup_f32 v3, v4, v2, v3
	global_store_b32 v[0:1], v3, off
	v_add_co_u32 v0, vcc_lo, v0, 4
	v_add_co_ci_u32_e32 v1, vcc_lo, 0, v1, vcc_lo
	s_cbranch_scc1 .LBB295_14
.LBB295_15:
	s_nop 0
	s_sendmsg sendmsg(MSG_DEALLOC_VGPRS)
	s_endpgm
	.section	.rodata,"a",@progbits
	.p2align	6, 0x0
	.amdhsa_kernel _ZN4vllm3moe10topkGatingILi4ELi4ELi4ELi8ELi32El6__halfLNS0_11ScoringFuncE1EEEvPKT5_PKbPfiPT4_PiiiibPKf
		.amdhsa_group_segment_fixed_size 0
		.amdhsa_private_segment_fixed_size 0
		.amdhsa_kernarg_size 72
		.amdhsa_user_sgpr_count 15
		.amdhsa_user_sgpr_dispatch_ptr 0
		.amdhsa_user_sgpr_queue_ptr 0
		.amdhsa_user_sgpr_kernarg_segment_ptr 1
		.amdhsa_user_sgpr_dispatch_id 0
		.amdhsa_user_sgpr_private_segment_size 0
		.amdhsa_wavefront_size32 1
		.amdhsa_uses_dynamic_stack 0
		.amdhsa_enable_private_segment 0
		.amdhsa_system_sgpr_workgroup_id_x 1
		.amdhsa_system_sgpr_workgroup_id_y 0
		.amdhsa_system_sgpr_workgroup_id_z 0
		.amdhsa_system_sgpr_workgroup_info 0
		.amdhsa_system_vgpr_workitem_id 1
		.amdhsa_next_free_vgpr 25
		.amdhsa_next_free_sgpr 16
		.amdhsa_reserve_vcc 1
		.amdhsa_float_round_mode_32 0
		.amdhsa_float_round_mode_16_64 0
		.amdhsa_float_denorm_mode_32 3
		.amdhsa_float_denorm_mode_16_64 3
		.amdhsa_dx10_clamp 1
		.amdhsa_ieee_mode 1
		.amdhsa_fp16_overflow 0
		.amdhsa_workgroup_processor_mode 1
		.amdhsa_memory_ordered 1
		.amdhsa_forward_progress 0
		.amdhsa_shared_vgpr_count 0
		.amdhsa_exception_fp_ieee_invalid_op 0
		.amdhsa_exception_fp_denorm_src 0
		.amdhsa_exception_fp_ieee_div_zero 0
		.amdhsa_exception_fp_ieee_overflow 0
		.amdhsa_exception_fp_ieee_underflow 0
		.amdhsa_exception_fp_ieee_inexact 0
		.amdhsa_exception_int_div_zero 0
	.end_amdhsa_kernel
	.section	.text._ZN4vllm3moe10topkGatingILi4ELi4ELi4ELi8ELi32El6__halfLNS0_11ScoringFuncE1EEEvPKT5_PKbPfiPT4_PiiiibPKf,"axG",@progbits,_ZN4vllm3moe10topkGatingILi4ELi4ELi4ELi8ELi32El6__halfLNS0_11ScoringFuncE1EEEvPKT5_PKbPfiPT4_PiiiibPKf,comdat
.Lfunc_end295:
	.size	_ZN4vllm3moe10topkGatingILi4ELi4ELi4ELi8ELi32El6__halfLNS0_11ScoringFuncE1EEEvPKT5_PKbPfiPT4_PiiiibPKf, .Lfunc_end295-_ZN4vllm3moe10topkGatingILi4ELi4ELi4ELi8ELi32El6__halfLNS0_11ScoringFuncE1EEEvPKT5_PKbPfiPT4_PiiiibPKf
                                        ; -- End function
	.section	.AMDGPU.csdata,"",@progbits
; Kernel info:
; codeLenInByte = 1596
; NumSgprs: 18
; NumVgprs: 25
; ScratchSize: 0
; MemoryBound: 0
; FloatMode: 240
; IeeeMode: 1
; LDSByteSize: 0 bytes/workgroup (compile time only)
; SGPRBlocks: 2
; VGPRBlocks: 3
; NumSGPRsForWavesPerEU: 18
; NumVGPRsForWavesPerEU: 25
; Occupancy: 16
; WaveLimiterHint : 0
; COMPUTE_PGM_RSRC2:SCRATCH_EN: 0
; COMPUTE_PGM_RSRC2:USER_SGPR: 15
; COMPUTE_PGM_RSRC2:TRAP_HANDLER: 0
; COMPUTE_PGM_RSRC2:TGID_X_EN: 1
; COMPUTE_PGM_RSRC2:TGID_Y_EN: 0
; COMPUTE_PGM_RSRC2:TGID_Z_EN: 0
; COMPUTE_PGM_RSRC2:TIDIG_COMP_CNT: 1
	.section	.text._ZN4vllm3moe10topkGatingILi8ELi8ELi4ELi16ELi64El6__halfLNS0_11ScoringFuncE1EEEvPKT5_PKbPfiPT4_PiiiibPKf,"axG",@progbits,_ZN4vllm3moe10topkGatingILi8ELi8ELi4ELi16ELi64El6__halfLNS0_11ScoringFuncE1EEEvPKT5_PKbPfiPT4_PiiiibPKf,comdat
	.protected	_ZN4vllm3moe10topkGatingILi8ELi8ELi4ELi16ELi64El6__halfLNS0_11ScoringFuncE1EEEvPKT5_PKbPfiPT4_PiiiibPKf ; -- Begin function _ZN4vllm3moe10topkGatingILi8ELi8ELi4ELi16ELi64El6__halfLNS0_11ScoringFuncE1EEEvPKT5_PKbPfiPT4_PiiiibPKf
	.globl	_ZN4vllm3moe10topkGatingILi8ELi8ELi4ELi16ELi64El6__halfLNS0_11ScoringFuncE1EEEvPKT5_PKbPfiPT4_PiiiibPKf
	.p2align	8
	.type	_ZN4vllm3moe10topkGatingILi8ELi8ELi4ELi16ELi64El6__halfLNS0_11ScoringFuncE1EEEvPKT5_PKbPfiPT4_PiiiibPKf,@function
_ZN4vllm3moe10topkGatingILi8ELi8ELi4ELi16ELi64El6__halfLNS0_11ScoringFuncE1EEEvPKT5_PKbPfiPT4_PiiiibPKf: ; @_ZN4vllm3moe10topkGatingILi8ELi8ELi4ELi16ELi64El6__halfLNS0_11ScoringFuncE1EEEvPKT5_PKbPfiPT4_PiiiibPKf
; %bb.0:
	s_load_b32 s14, s[0:1], 0x18
	v_bfe_u32 v1, v0, 10, 10
	v_and_b32_e32 v0, 0x3ff, v0
	s_lshl_b32 s2, s15, 8
	s_delay_alu instid0(VALU_DEP_2) | instskip(NEXT) | instid1(VALU_DEP_1)
	v_lshlrev_b32_e32 v1, 6, v1
	v_add3_u32 v16, v1, v0, s2
	s_mov_b32 s2, exec_lo
	s_waitcnt lgkmcnt(0)
	s_delay_alu instid0(VALU_DEP_1)
	v_cmpx_gt_i32_e64 s14, v16
	s_cbranch_execz .LBB296_15
; %bb.1:
	s_clause 0x1
	s_load_b128 s[4:7], s[0:1], 0x0
	s_load_b64 s[12:13], s[0:1], 0x10
	s_mov_b32 s9, -1
	s_mov_b32 s15, -1
	s_waitcnt lgkmcnt(0)
	s_cmp_eq_u64 s[6:7], 0
	s_cbranch_scc1 .LBB296_3
; %bb.2:
	v_ashrrev_i32_e32 v1, 31, v16
	v_add_co_u32 v0, vcc_lo, s6, v16
	s_delay_alu instid0(VALU_DEP_2) | instskip(SKIP_3) | instid1(VALU_DEP_1)
	v_add_co_ci_u32_e32 v1, vcc_lo, s7, v1, vcc_lo
	global_load_u8 v0, v[0:1], off
	s_waitcnt vmcnt(0)
	v_and_b32_e32 v0, 1, v0
	v_cmp_eq_u32_e32 vcc_lo, 1, v0
	s_xor_b32 s2, vcc_lo, -1
	s_delay_alu instid0(SALU_CYCLE_1)
	s_or_not1_b32 s15, s2, exec_lo
.LBB296_3:
	v_lshlrev_b32_e32 v0, 3, v16
	s_load_b64 s[10:11], s[0:1], 0x40
	s_delay_alu instid0(VALU_DEP_1) | instskip(NEXT) | instid1(VALU_DEP_1)
	v_ashrrev_i32_e32 v1, 31, v0
	v_lshlrev_b64 v[0:1], 1, v[0:1]
	s_delay_alu instid0(VALU_DEP_1) | instskip(NEXT) | instid1(VALU_DEP_2)
	v_add_co_u32 v0, vcc_lo, s4, v0
	v_add_co_ci_u32_e32 v1, vcc_lo, s5, v1, vcc_lo
	s_waitcnt lgkmcnt(0)
	s_cmp_eq_u64 s[10:11], 0
	global_load_b128 v[0:3], v[0:1], off
	s_waitcnt vmcnt(0)
	v_cvt_f32_f16_e32 v4, v0
	v_lshrrev_b32_e32 v0, 16, v0
	v_cvt_f32_f16_e32 v7, v3
	v_lshrrev_b32_e32 v3, 16, v3
	v_cvt_f32_f16_e32 v5, v1
	v_mul_f32_e32 v4, 0xbfb8aa3b, v4
	v_cvt_f32_f16_e32 v0, v0
	v_mul_f32_e32 v7, 0xbfb8aa3b, v7
	v_cvt_f32_f16_e32 v3, v3
	v_lshrrev_b32_e32 v1, 16, v1
	v_exp_f32_e32 v4, v4
	v_cvt_f32_f16_e32 v6, v2
	v_lshrrev_b32_e32 v2, 16, v2
	v_dual_mul_f32 v5, 0xbfb8aa3b, v5 :: v_dual_mul_f32 v0, 0xbfb8aa3b, v0
	v_mul_f32_e32 v3, 0xbfb8aa3b, v3
	v_exp_f32_e32 v7, v7
	v_cvt_f32_f16_e32 v1, v1
	v_cvt_f32_f16_e32 v2, v2
	v_mul_f32_e32 v6, 0xbfb8aa3b, v6
	v_exp_f32_e32 v5, v5
	v_exp_f32_e32 v0, v0
	v_mul_f32_e32 v1, 0xbfb8aa3b, v1
	v_exp_f32_e32 v3, v3
	v_add_f32_e32 v4, 1.0, v4
	v_exp_f32_e32 v6, v6
	v_dual_add_f32 v7, 1.0, v7 :: v_dual_mul_f32 v2, 0xbfb8aa3b, v2
	v_exp_f32_e32 v1, v1
	s_delay_alu instid0(VALU_DEP_2) | instskip(SKIP_1) | instid1(VALU_DEP_3)
	v_div_scale_f32 v8, null, v4, v4, 1.0
	v_add_f32_e32 v5, 1.0, v5
	v_exp_f32_e32 v2, v2
	v_dual_add_f32 v0, 1.0, v0 :: v_dual_add_f32 v17, 1.0, v3
	s_delay_alu instid0(VALU_DEP_3) | instskip(SKIP_2) | instid1(TRANS32_DEP_3)
	v_rcp_f32_e32 v3, v8
	v_add_f32_e32 v6, 1.0, v6
	v_div_scale_f32 v10, null, v5, v5, 1.0
	v_add_f32_e32 v1, 1.0, v1
	v_div_scale_f32 v18, null, v0, v0, 1.0
	s_delay_alu instid0(VALU_DEP_4) | instskip(NEXT) | instid1(VALU_DEP_4)
	v_div_scale_f32 v12, null, v6, v6, 1.0
	v_rcp_f32_e32 v20, v10
	s_delay_alu instid0(TRANS32_DEP_2) | instskip(SKIP_3) | instid1(VALU_DEP_3)
	v_fma_f32 v32, -v8, v3, 1.0
	v_add_f32_e32 v14, 1.0, v2
	v_div_scale_f32 v2, null, v7, v7, 1.0
	v_rcp_f32_e32 v23, v12
	v_fmac_f32_e32 v3, v32, v3
	s_delay_alu instid0(VALU_DEP_3) | instskip(NEXT) | instid1(VALU_DEP_3)
	v_div_scale_f32 v24, null, v14, v14, 1.0
	v_rcp_f32_e32 v26, v2
	v_div_scale_f32 v27, null, v17, v17, 1.0
	v_rcp_f32_e32 v28, v18
	;; [unrolled: 2-line block ×3, first 2 shown]
	s_delay_alu instid0(VALU_DEP_2) | instskip(SKIP_1) | instid1(VALU_DEP_2)
	v_rcp_f32_e32 v33, v27
	v_div_scale_f32 v9, vcc_lo, 1.0, v4, 1.0
	v_rcp_f32_e32 v30, v21
	v_fma_f32 v34, -v10, v20, 1.0
	v_fma_f32 v35, -v12, v23, 1.0
	;; [unrolled: 1-line block ×4, first 2 shown]
	v_div_scale_f32 v11, s2, 1.0, v5, 1.0
	v_div_scale_f32 v19, s5, 1.0, v0, 1.0
	v_dual_fmac_f32 v20, v34, v20 :: v_dual_fmac_f32 v23, v35, v23
	v_fma_f32 v35, -v24, v31, 1.0
	v_dual_fmac_f32 v26, v36, v26 :: v_dual_mul_f32 v37, v9, v3
	v_fma_f32 v36, -v27, v33, 1.0
	s_delay_alu instid0(VALU_DEP_3) | instskip(SKIP_1) | instid1(VALU_DEP_3)
	v_dual_fmac_f32 v28, v32, v28 :: v_dual_fmac_f32 v31, v35, v31
	v_fma_f32 v34, -v21, v30, 1.0
	v_dual_mul_f32 v32, v11, v20 :: v_dual_fmac_f32 v33, v36, v33
	v_fma_f32 v36, -v8, v37, v9
	s_delay_alu instid0(VALU_DEP_4) | instskip(NEXT) | instid1(VALU_DEP_4)
	v_mul_f32_e32 v38, v19, v28
	v_fmac_f32_e32 v30, v34, v30
	v_div_scale_f32 v22, s6, 1.0, v1, 1.0
	s_delay_alu instid0(VALU_DEP_4) | instskip(NEXT) | instid1(VALU_DEP_4)
	v_fmac_f32_e32 v37, v36, v3
	v_fma_f32 v36, -v18, v38, v19
	v_div_scale_f32 v13, s3, 1.0, v6, 1.0
	v_div_scale_f32 v15, s4, 1.0, v7, 1.0
	s_delay_alu instid0(VALU_DEP_4) | instskip(NEXT) | instid1(VALU_DEP_4)
	v_fma_f32 v8, -v8, v37, v9
	v_fmac_f32_e32 v38, v36, v28
	v_fma_f32 v39, -v10, v32, v11
	v_div_scale_f32 v25, s7, 1.0, v14, 1.0
	s_delay_alu instid0(VALU_DEP_4) | instskip(NEXT) | instid1(VALU_DEP_4)
	v_div_fmas_f32 v3, v8, v3, v37
	v_fma_f32 v8, -v18, v38, v19
	s_mov_b32 vcc_lo, s5
	v_dual_mul_f32 v34, v13, v23 :: v_dual_mul_f32 v35, v15, v26
	s_delay_alu instid0(VALU_DEP_3) | instskip(NEXT) | instid1(VALU_DEP_3)
	v_div_fixup_f32 v3, v3, v4, 1.0
	v_div_fmas_f32 v4, v8, v28, v38
	v_fmac_f32_e32 v32, v39, v20
	s_delay_alu instid0(VALU_DEP_4)
	v_fma_f32 v41, -v12, v34, v13
	v_fma_f32 v43, -v2, v35, v15
	v_mul_f32_e32 v42, v25, v31
	v_div_fixup_f32 v4, v4, v0, 1.0
	v_mul_f32_e32 v40, v22, v30
	v_div_scale_f32 v29, s8, 1.0, v17, 1.0
	v_fma_f32 v9, -v10, v32, v11
	v_fmac_f32_e32 v34, v41, v23
	s_delay_alu instid0(VALU_DEP_4)
	v_fma_f32 v39, -v21, v40, v22
	v_fmac_f32_e32 v35, v43, v26
	v_fma_f32 v41, -v24, v42, v25
	s_mov_b32 vcc_lo, s2
	v_mul_f32_e32 v44, v29, v33
	v_fmac_f32_e32 v40, v39, v30
	v_div_fmas_f32 v8, v9, v20, v32
	s_mov_b32 vcc_lo, s6
	v_fmac_f32_e32 v42, v41, v31
	v_fma_f32 v10, -v12, v34, v13
	v_fma_f32 v11, -v21, v40, v22
	;; [unrolled: 1-line block ×5, first 2 shown]
	v_div_fixup_f32 v5, v8, v5, 1.0
	v_div_fmas_f32 v9, v11, v30, v40
	v_cmp_class_f32_e64 vcc_lo, v3, 0x1f8
	v_fmac_f32_e32 v44, v43, v33
	s_delay_alu instid0(VALU_DEP_3) | instskip(SKIP_2) | instid1(VALU_DEP_3)
	v_div_fixup_f32 v9, v9, v1, 1.0
	v_cndmask_b32_e32 v0, 0, v3, vcc_lo
	s_mov_b32 vcc_lo, s3
	v_fma_f32 v13, -v27, v44, v29
	v_div_fmas_f32 v3, v10, v23, v34
	s_mov_b32 vcc_lo, s7
	v_div_fmas_f32 v8, v12, v31, v42
	s_mov_b32 vcc_lo, s4
	v_div_fmas_f32 v10, v2, v26, v35
	v_cmp_class_f32_e64 vcc_lo, v4, 0x1f8
	s_delay_alu instid0(VALU_DEP_2)
	v_div_fixup_f32 v7, v10, v7, 1.0
	v_cndmask_b32_e32 v1, 0, v4, vcc_lo
	s_mov_b32 vcc_lo, s8
	v_div_fixup_f32 v4, v3, v6, 1.0
	v_div_fmas_f32 v6, v13, v33, v44
	v_cmp_class_f32_e64 vcc_lo, v5, 0x1f8
	v_cndmask_b32_e32 v2, 0, v5, vcc_lo
	v_cmp_class_f32_e64 vcc_lo, v9, 0x1f8
	v_div_fixup_f32 v5, v8, v14, 1.0
	v_div_fixup_f32 v8, v6, v17, 1.0
	v_cndmask_b32_e32 v3, 0, v9, vcc_lo
	v_cmp_class_f32_e64 vcc_lo, v4, 0x1f8
	v_cndmask_b32_e32 v4, 0, v4, vcc_lo
	v_cmp_class_f32_e64 vcc_lo, v5, 0x1f8
	;; [unrolled: 2-line block ×4, first 2 shown]
	v_cndmask_b32_e32 v7, 0, v8, vcc_lo
	s_cbranch_scc1 .LBB296_10
; %bb.4:
	s_load_b256 s[4:11], s[10:11], 0x0
	s_waitcnt lgkmcnt(0)
	v_dual_add_f32 v8, s4, v0 :: v_dual_add_f32 v9, s5, v1
	v_dual_add_f32 v10, s6, v2 :: v_dual_add_f32 v11, s7, v3
	;; [unrolled: 1-line block ×4, first 2 shown]
	s_cbranch_execnz .LBB296_6
.LBB296_5:
	v_dual_mov_b32 v15, v7 :: v_dual_mov_b32 v14, v6
	v_dual_mov_b32 v13, v5 :: v_dual_mov_b32 v12, v4
	;; [unrolled: 1-line block ×4, first 2 shown]
.LBB296_6:
	s_load_b128 s[4:7], s[0:1], 0x30
	s_mov_b32 s16, 0
	s_waitcnt lgkmcnt(0)
	s_bitcmp1_b32 s7, 0
	s_cselect_b32 vcc_lo, -1, 0
	s_cmp_gt_i32 s4, 0
	s_cselect_b32 s7, -1, 0
	s_cmp_lt_i32 s4, 1
	s_cbranch_scc1 .LBB296_11
; %bb.7:
	s_load_b128 s[8:11], s[0:1], 0x20
	v_mul_lo_u32 v18, v16, s4
	v_mov_b32_e32 v17, 0
	v_mov_b32_e32 v19, v16
.LBB296_8:                              ; =>This Inner Loop Header: Depth=1
	v_cmp_gt_f32_e64 s0, v9, v8
	s_delay_alu instid0(VALU_DEP_1) | instskip(SKIP_2) | instid1(VALU_DEP_3)
	v_cndmask_b32_e64 v21, v8, v9, s0
	v_cndmask_b32_e64 v20, 0, 1, s0
	;; [unrolled: 1-line block ×3, first 2 shown]
	v_cmp_gt_f32_e64 s1, v10, v21
	s_delay_alu instid0(VALU_DEP_1) | instskip(NEXT) | instid1(VALU_DEP_4)
	v_cndmask_b32_e64 v21, v21, v10, s1
	v_cndmask_b32_e64 v20, v20, 2, s1
	s_delay_alu instid0(VALU_DEP_4) | instskip(NEXT) | instid1(VALU_DEP_3)
	v_cndmask_b32_e64 v22, v22, v2, s1
	v_cmp_gt_f32_e64 s2, v11, v21
	s_delay_alu instid0(VALU_DEP_1) | instskip(NEXT) | instid1(VALU_DEP_4)
	v_cndmask_b32_e64 v21, v21, v11, s2
	v_cndmask_b32_e64 v20, v20, 3, s2
	s_delay_alu instid0(VALU_DEP_4) | instskip(NEXT) | instid1(VALU_DEP_3)
	v_cndmask_b32_e64 v25, v22, v3, s2
	v_cmp_gt_f32_e64 s3, v12, v21
	s_delay_alu instid0(VALU_DEP_1) | instskip(NEXT) | instid1(VALU_DEP_4)
	v_cndmask_b32_e64 v24, v21, v12, s3
	v_cndmask_b32_e64 v23, v20, 4, s3
	v_add_nc_u32_e32 v20, s16, v18
	v_cndmask_b32_e64 v28, v25, v4, s3
	s_add_i32 s16, s16, 1
	v_cmp_gt_f32_e64 s0, v13, v24
	s_delay_alu instid0(VALU_DEP_3) | instskip(NEXT) | instid1(VALU_DEP_2)
	v_ashrrev_i32_e32 v21, 31, v20
	v_cndmask_b32_e64 v27, v24, v13, s0
	v_cndmask_b32_e64 v26, v23, 5, s0
	s_delay_alu instid0(VALU_DEP_3) | instskip(SKIP_1) | instid1(VALU_DEP_4)
	v_lshlrev_b64 v[22:23], 2, v[20:21]
	v_cndmask_b32_e64 v28, v28, v5, s0
	v_cmp_gt_f32_e64 s1, v14, v27
	s_delay_alu instid0(VALU_DEP_3) | instskip(NEXT) | instid1(VALU_DEP_2)
	v_add_co_u32 v24, s2, s12, v22
	v_cndmask_b32_e64 v27, v27, v14, s1
	s_waitcnt lgkmcnt(0)
	v_add_co_u32 v22, s0, s10, v22
	v_add_co_ci_u32_e64 v25, s2, s13, v23, s2
	v_add_co_ci_u32_e64 v23, s0, s11, v23, s0
	v_cndmask_b32_e64 v26, v26, 6, s1
	v_cmp_gt_f32_e64 s0, v15, v27
	v_cndmask_b32_e64 v28, v28, v6, s1
	global_store_b32 v[22:23], v19, off
	v_add_nc_u32_e32 v19, s14, v19
	v_cndmask_b32_e64 v26, v26, 7, s0
	v_cndmask_b32_e64 v27, v28, v7, s0
	s_delay_alu instid0(VALU_DEP_2) | instskip(NEXT) | instid1(VALU_DEP_2)
	v_cmp_ne_u32_e64 s2, 0, v26
	v_add_f32_e32 v35, v17, v27
	v_lshlrev_b64 v[20:21], 3, v[20:21]
	v_cmp_le_i32_e64 s0, s5, v26
	v_subrev_nc_u32_e32 v22, s5, v26
	v_cndmask_b32_e64 v28, 0xc61c4000, v8, s2
	v_cmp_ne_u32_e64 s2, 1, v26
	v_cndmask_b32_e32 v17, v17, v35, vcc_lo
	v_add_co_u32 v20, s1, s8, v20
	s_delay_alu instid0(VALU_DEP_1) | instskip(NEXT) | instid1(VALU_DEP_4)
	v_add_co_ci_u32_e64 v21, s1, s9, v21, s1
	v_cndmask_b32_e64 v29, 0xc61c4000, v9, s2
	v_cmp_ne_u32_e64 s2, 2, v26
	v_cmp_gt_i32_e64 s1, s6, v26
	v_ashrrev_i32_e32 v23, 31, v22
	s_delay_alu instid0(VALU_DEP_3) | instskip(SKIP_1) | instid1(VALU_DEP_4)
	v_cndmask_b32_e64 v30, 0xc61c4000, v10, s2
	v_cmp_ne_u32_e64 s2, 3, v26
	s_and_b32 s0, s0, s1
	s_delay_alu instid0(SALU_CYCLE_1) | instskip(SKIP_1) | instid1(VALU_DEP_1)
	s_and_b32 s0, s15, s0
	s_cmp_lt_i32 s16, s4
	v_cndmask_b32_e64 v31, 0xc61c4000, v11, s2
	v_cmp_ne_u32_e64 s2, 4, v26
	v_cndmask_b32_e64 v23, 0, v23, s0
	v_cndmask_b32_e64 v22, 8, v22, s0
	s_cselect_b32 s0, -1, 0
	s_cmp_eq_u32 s4, s16
	v_cndmask_b32_e64 v32, 0xc61c4000, v12, s2
	v_cmp_ne_u32_e64 s2, 5, v26
	v_cndmask_b32_e64 v11, v11, v31, s0
	v_cndmask_b32_e64 v10, v10, v30, s0
	;; [unrolled: 1-line block ×5, first 2 shown]
	v_cmp_ne_u32_e64 s2, 6, v26
	v_cndmask_b32_e64 v8, v8, v28, s0
	global_store_b32 v[24:25], v27, off
	global_store_b64 v[20:21], v[22:23], off
	v_cndmask_b32_e64 v13, v13, v33, s0
	v_cndmask_b32_e64 v34, 0xc61c4000, v14, s2
	v_cmp_ne_u32_e64 s2, 7, v26
	s_delay_alu instid0(VALU_DEP_2) | instskip(NEXT) | instid1(VALU_DEP_2)
	v_cndmask_b32_e64 v14, v14, v34, s0
	v_cndmask_b32_e64 v26, 0xc61c4000, v15, s2
	s_delay_alu instid0(VALU_DEP_1)
	v_cndmask_b32_e64 v15, v15, v26, s0
	s_cbranch_scc0 .LBB296_8
; %bb.9:
	s_and_b32 vcc_lo, exec_lo, vcc_lo
	s_cbranch_vccnz .LBB296_12
	s_branch .LBB296_15
.LBB296_10:
                                        ; implicit-def: $vgpr8_vgpr9_vgpr10_vgpr11_vgpr12_vgpr13_vgpr14_vgpr15
	s_and_not1_b32 vcc_lo, exec_lo, s9
	s_cbranch_vccz .LBB296_5
	s_branch .LBB296_6
.LBB296_11:
	v_mov_b32_e32 v17, 0
	s_and_b32 vcc_lo, exec_lo, vcc_lo
	s_cbranch_vccz .LBB296_15
.LBB296_12:
	s_and_not1_b32 vcc_lo, exec_lo, s7
	s_cbranch_vccnz .LBB296_15
; %bb.13:
	v_mul_lo_u32 v0, v16, s4
	v_cmp_lt_f32_e32 vcc_lo, 0, v17
	v_cndmask_b32_e32 v2, 1.0, v17, vcc_lo
	s_delay_alu instid0(VALU_DEP_3) | instskip(NEXT) | instid1(VALU_DEP_1)
	v_ashrrev_i32_e32 v1, 31, v0
	v_lshlrev_b64 v[0:1], 2, v[0:1]
	s_delay_alu instid0(VALU_DEP_1) | instskip(NEXT) | instid1(VALU_DEP_2)
	v_add_co_u32 v0, vcc_lo, s12, v0
	v_add_co_ci_u32_e32 v1, vcc_lo, s13, v1, vcc_lo
	.p2align	6
.LBB296_14:                             ; =>This Inner Loop Header: Depth=1
	global_load_b32 v3, v[0:1], off
	s_add_i32 s4, s4, -1
	s_delay_alu instid0(SALU_CYCLE_1) | instskip(SKIP_3) | instid1(VALU_DEP_2)
	s_cmp_lg_u32 s4, 0
	s_waitcnt vmcnt(0)
	v_div_scale_f32 v4, null, v2, v2, v3
	v_div_scale_f32 v7, vcc_lo, v3, v2, v3
	v_rcp_f32_e32 v5, v4
	s_waitcnt_depctr 0xfff
	v_fma_f32 v6, -v4, v5, 1.0
	s_delay_alu instid0(VALU_DEP_1) | instskip(NEXT) | instid1(VALU_DEP_1)
	v_fmac_f32_e32 v5, v6, v5
	v_mul_f32_e32 v6, v7, v5
	s_delay_alu instid0(VALU_DEP_1) | instskip(NEXT) | instid1(VALU_DEP_1)
	v_fma_f32 v8, -v4, v6, v7
	v_fmac_f32_e32 v6, v8, v5
	s_delay_alu instid0(VALU_DEP_1) | instskip(NEXT) | instid1(VALU_DEP_1)
	v_fma_f32 v4, -v4, v6, v7
	v_div_fmas_f32 v4, v4, v5, v6
	s_delay_alu instid0(VALU_DEP_1)
	v_div_fixup_f32 v3, v4, v2, v3
	global_store_b32 v[0:1], v3, off
	v_add_co_u32 v0, vcc_lo, v0, 4
	v_add_co_ci_u32_e32 v1, vcc_lo, 0, v1, vcc_lo
	s_cbranch_scc1 .LBB296_14
.LBB296_15:
	s_nop 0
	s_sendmsg sendmsg(MSG_DEALLOC_VGPRS)
	s_endpgm
	.section	.rodata,"a",@progbits
	.p2align	6, 0x0
	.amdhsa_kernel _ZN4vllm3moe10topkGatingILi8ELi8ELi4ELi16ELi64El6__halfLNS0_11ScoringFuncE1EEEvPKT5_PKbPfiPT4_PiiiibPKf
		.amdhsa_group_segment_fixed_size 0
		.amdhsa_private_segment_fixed_size 0
		.amdhsa_kernarg_size 72
		.amdhsa_user_sgpr_count 15
		.amdhsa_user_sgpr_dispatch_ptr 0
		.amdhsa_user_sgpr_queue_ptr 0
		.amdhsa_user_sgpr_kernarg_segment_ptr 1
		.amdhsa_user_sgpr_dispatch_id 0
		.amdhsa_user_sgpr_private_segment_size 0
		.amdhsa_wavefront_size32 1
		.amdhsa_uses_dynamic_stack 0
		.amdhsa_enable_private_segment 0
		.amdhsa_system_sgpr_workgroup_id_x 1
		.amdhsa_system_sgpr_workgroup_id_y 0
		.amdhsa_system_sgpr_workgroup_id_z 0
		.amdhsa_system_sgpr_workgroup_info 0
		.amdhsa_system_vgpr_workitem_id 1
		.amdhsa_next_free_vgpr 45
		.amdhsa_next_free_sgpr 17
		.amdhsa_reserve_vcc 1
		.amdhsa_float_round_mode_32 0
		.amdhsa_float_round_mode_16_64 0
		.amdhsa_float_denorm_mode_32 3
		.amdhsa_float_denorm_mode_16_64 3
		.amdhsa_dx10_clamp 1
		.amdhsa_ieee_mode 1
		.amdhsa_fp16_overflow 0
		.amdhsa_workgroup_processor_mode 1
		.amdhsa_memory_ordered 1
		.amdhsa_forward_progress 0
		.amdhsa_shared_vgpr_count 0
		.amdhsa_exception_fp_ieee_invalid_op 0
		.amdhsa_exception_fp_denorm_src 0
		.amdhsa_exception_fp_ieee_div_zero 0
		.amdhsa_exception_fp_ieee_overflow 0
		.amdhsa_exception_fp_ieee_underflow 0
		.amdhsa_exception_fp_ieee_inexact 0
		.amdhsa_exception_int_div_zero 0
	.end_amdhsa_kernel
	.section	.text._ZN4vllm3moe10topkGatingILi8ELi8ELi4ELi16ELi64El6__halfLNS0_11ScoringFuncE1EEEvPKT5_PKbPfiPT4_PiiiibPKf,"axG",@progbits,_ZN4vllm3moe10topkGatingILi8ELi8ELi4ELi16ELi64El6__halfLNS0_11ScoringFuncE1EEEvPKT5_PKbPfiPT4_PiiiibPKf,comdat
.Lfunc_end296:
	.size	_ZN4vllm3moe10topkGatingILi8ELi8ELi4ELi16ELi64El6__halfLNS0_11ScoringFuncE1EEEvPKT5_PKbPfiPT4_PiiiibPKf, .Lfunc_end296-_ZN4vllm3moe10topkGatingILi8ELi8ELi4ELi16ELi64El6__halfLNS0_11ScoringFuncE1EEEvPKT5_PKbPfiPT4_PiiiibPKf
                                        ; -- End function
	.section	.AMDGPU.csdata,"",@progbits
; Kernel info:
; codeLenInByte = 2264
; NumSgprs: 19
; NumVgprs: 45
; ScratchSize: 0
; MemoryBound: 0
; FloatMode: 240
; IeeeMode: 1
; LDSByteSize: 0 bytes/workgroup (compile time only)
; SGPRBlocks: 2
; VGPRBlocks: 5
; NumSGPRsForWavesPerEU: 19
; NumVGPRsForWavesPerEU: 45
; Occupancy: 16
; WaveLimiterHint : 0
; COMPUTE_PGM_RSRC2:SCRATCH_EN: 0
; COMPUTE_PGM_RSRC2:USER_SGPR: 15
; COMPUTE_PGM_RSRC2:TRAP_HANDLER: 0
; COMPUTE_PGM_RSRC2:TGID_X_EN: 1
; COMPUTE_PGM_RSRC2:TGID_Y_EN: 0
; COMPUTE_PGM_RSRC2:TGID_Z_EN: 0
; COMPUTE_PGM_RSRC2:TIDIG_COMP_CNT: 1
	.section	.text._ZN4vllm3moe10topkGatingILi8ELi8ELi4ELi16ELi32El6__halfLNS0_11ScoringFuncE1EEEvPKT5_PKbPfiPT4_PiiiibPKf,"axG",@progbits,_ZN4vllm3moe10topkGatingILi8ELi8ELi4ELi16ELi32El6__halfLNS0_11ScoringFuncE1EEEvPKT5_PKbPfiPT4_PiiiibPKf,comdat
	.protected	_ZN4vllm3moe10topkGatingILi8ELi8ELi4ELi16ELi32El6__halfLNS0_11ScoringFuncE1EEEvPKT5_PKbPfiPT4_PiiiibPKf ; -- Begin function _ZN4vllm3moe10topkGatingILi8ELi8ELi4ELi16ELi32El6__halfLNS0_11ScoringFuncE1EEEvPKT5_PKbPfiPT4_PiiiibPKf
	.globl	_ZN4vllm3moe10topkGatingILi8ELi8ELi4ELi16ELi32El6__halfLNS0_11ScoringFuncE1EEEvPKT5_PKbPfiPT4_PiiiibPKf
	.p2align	8
	.type	_ZN4vllm3moe10topkGatingILi8ELi8ELi4ELi16ELi32El6__halfLNS0_11ScoringFuncE1EEEvPKT5_PKbPfiPT4_PiiiibPKf,@function
_ZN4vllm3moe10topkGatingILi8ELi8ELi4ELi16ELi32El6__halfLNS0_11ScoringFuncE1EEEvPKT5_PKbPfiPT4_PiiiibPKf: ; @_ZN4vllm3moe10topkGatingILi8ELi8ELi4ELi16ELi32El6__halfLNS0_11ScoringFuncE1EEEvPKT5_PKbPfiPT4_PiiiibPKf
; %bb.0:
	s_load_b32 s14, s[0:1], 0x18
	v_bfe_u32 v1, v0, 10, 10
	v_and_b32_e32 v0, 0x3ff, v0
	s_lshl_b32 s2, s15, 7
	s_delay_alu instid0(VALU_DEP_2) | instskip(NEXT) | instid1(VALU_DEP_1)
	v_lshlrev_b32_e32 v1, 5, v1
	v_add3_u32 v16, v1, v0, s2
	s_mov_b32 s2, exec_lo
	s_waitcnt lgkmcnt(0)
	s_delay_alu instid0(VALU_DEP_1)
	v_cmpx_gt_i32_e64 s14, v16
	s_cbranch_execz .LBB297_15
; %bb.1:
	s_clause 0x1
	s_load_b128 s[4:7], s[0:1], 0x0
	s_load_b64 s[12:13], s[0:1], 0x10
	s_mov_b32 s9, -1
	s_mov_b32 s15, -1
	s_waitcnt lgkmcnt(0)
	s_cmp_eq_u64 s[6:7], 0
	s_cbranch_scc1 .LBB297_3
; %bb.2:
	v_ashrrev_i32_e32 v1, 31, v16
	v_add_co_u32 v0, vcc_lo, s6, v16
	s_delay_alu instid0(VALU_DEP_2) | instskip(SKIP_3) | instid1(VALU_DEP_1)
	v_add_co_ci_u32_e32 v1, vcc_lo, s7, v1, vcc_lo
	global_load_u8 v0, v[0:1], off
	s_waitcnt vmcnt(0)
	v_and_b32_e32 v0, 1, v0
	v_cmp_eq_u32_e32 vcc_lo, 1, v0
	s_xor_b32 s2, vcc_lo, -1
	s_delay_alu instid0(SALU_CYCLE_1)
	s_or_not1_b32 s15, s2, exec_lo
.LBB297_3:
	v_lshlrev_b32_e32 v0, 3, v16
	s_load_b64 s[10:11], s[0:1], 0x40
	s_delay_alu instid0(VALU_DEP_1) | instskip(NEXT) | instid1(VALU_DEP_1)
	v_ashrrev_i32_e32 v1, 31, v0
	v_lshlrev_b64 v[0:1], 1, v[0:1]
	s_delay_alu instid0(VALU_DEP_1) | instskip(NEXT) | instid1(VALU_DEP_2)
	v_add_co_u32 v0, vcc_lo, s4, v0
	v_add_co_ci_u32_e32 v1, vcc_lo, s5, v1, vcc_lo
	s_waitcnt lgkmcnt(0)
	s_cmp_eq_u64 s[10:11], 0
	global_load_b128 v[0:3], v[0:1], off
	s_waitcnt vmcnt(0)
	v_cvt_f32_f16_e32 v4, v0
	v_lshrrev_b32_e32 v0, 16, v0
	v_cvt_f32_f16_e32 v7, v3
	v_lshrrev_b32_e32 v3, 16, v3
	v_cvt_f32_f16_e32 v5, v1
	v_mul_f32_e32 v4, 0xbfb8aa3b, v4
	v_cvt_f32_f16_e32 v0, v0
	v_mul_f32_e32 v7, 0xbfb8aa3b, v7
	v_cvt_f32_f16_e32 v3, v3
	v_lshrrev_b32_e32 v1, 16, v1
	v_exp_f32_e32 v4, v4
	v_cvt_f32_f16_e32 v6, v2
	v_lshrrev_b32_e32 v2, 16, v2
	v_dual_mul_f32 v5, 0xbfb8aa3b, v5 :: v_dual_mul_f32 v0, 0xbfb8aa3b, v0
	v_mul_f32_e32 v3, 0xbfb8aa3b, v3
	v_exp_f32_e32 v7, v7
	v_cvt_f32_f16_e32 v1, v1
	v_cvt_f32_f16_e32 v2, v2
	v_mul_f32_e32 v6, 0xbfb8aa3b, v6
	v_exp_f32_e32 v5, v5
	v_exp_f32_e32 v0, v0
	v_mul_f32_e32 v1, 0xbfb8aa3b, v1
	v_exp_f32_e32 v3, v3
	v_add_f32_e32 v4, 1.0, v4
	v_exp_f32_e32 v6, v6
	v_dual_add_f32 v7, 1.0, v7 :: v_dual_mul_f32 v2, 0xbfb8aa3b, v2
	v_exp_f32_e32 v1, v1
	s_delay_alu instid0(VALU_DEP_2) | instskip(SKIP_1) | instid1(VALU_DEP_3)
	v_div_scale_f32 v8, null, v4, v4, 1.0
	v_add_f32_e32 v5, 1.0, v5
	v_exp_f32_e32 v2, v2
	v_dual_add_f32 v0, 1.0, v0 :: v_dual_add_f32 v17, 1.0, v3
	s_delay_alu instid0(VALU_DEP_3) | instskip(SKIP_2) | instid1(TRANS32_DEP_3)
	v_rcp_f32_e32 v3, v8
	v_add_f32_e32 v6, 1.0, v6
	v_div_scale_f32 v10, null, v5, v5, 1.0
	v_add_f32_e32 v1, 1.0, v1
	v_div_scale_f32 v18, null, v0, v0, 1.0
	s_delay_alu instid0(VALU_DEP_4) | instskip(NEXT) | instid1(VALU_DEP_4)
	v_div_scale_f32 v12, null, v6, v6, 1.0
	v_rcp_f32_e32 v20, v10
	s_delay_alu instid0(TRANS32_DEP_2) | instskip(SKIP_3) | instid1(VALU_DEP_3)
	v_fma_f32 v32, -v8, v3, 1.0
	v_add_f32_e32 v14, 1.0, v2
	v_div_scale_f32 v2, null, v7, v7, 1.0
	v_rcp_f32_e32 v23, v12
	v_fmac_f32_e32 v3, v32, v3
	s_delay_alu instid0(VALU_DEP_3) | instskip(NEXT) | instid1(VALU_DEP_3)
	v_div_scale_f32 v24, null, v14, v14, 1.0
	v_rcp_f32_e32 v26, v2
	v_div_scale_f32 v27, null, v17, v17, 1.0
	v_rcp_f32_e32 v28, v18
	v_div_scale_f32 v21, null, v1, v1, 1.0
	v_rcp_f32_e32 v31, v24
	s_delay_alu instid0(VALU_DEP_2) | instskip(SKIP_1) | instid1(VALU_DEP_2)
	v_rcp_f32_e32 v33, v27
	v_div_scale_f32 v9, vcc_lo, 1.0, v4, 1.0
	v_rcp_f32_e32 v30, v21
	v_fma_f32 v34, -v10, v20, 1.0
	v_fma_f32 v35, -v12, v23, 1.0
	;; [unrolled: 1-line block ×4, first 2 shown]
	v_div_scale_f32 v11, s2, 1.0, v5, 1.0
	v_div_scale_f32 v19, s5, 1.0, v0, 1.0
	v_dual_fmac_f32 v20, v34, v20 :: v_dual_fmac_f32 v23, v35, v23
	v_fma_f32 v35, -v24, v31, 1.0
	v_dual_fmac_f32 v26, v36, v26 :: v_dual_mul_f32 v37, v9, v3
	v_fma_f32 v36, -v27, v33, 1.0
	s_delay_alu instid0(VALU_DEP_3) | instskip(SKIP_1) | instid1(VALU_DEP_3)
	v_dual_fmac_f32 v28, v32, v28 :: v_dual_fmac_f32 v31, v35, v31
	v_fma_f32 v34, -v21, v30, 1.0
	v_dual_mul_f32 v32, v11, v20 :: v_dual_fmac_f32 v33, v36, v33
	v_fma_f32 v36, -v8, v37, v9
	s_delay_alu instid0(VALU_DEP_4) | instskip(NEXT) | instid1(VALU_DEP_4)
	v_mul_f32_e32 v38, v19, v28
	v_fmac_f32_e32 v30, v34, v30
	v_div_scale_f32 v22, s6, 1.0, v1, 1.0
	s_delay_alu instid0(VALU_DEP_4) | instskip(NEXT) | instid1(VALU_DEP_4)
	v_fmac_f32_e32 v37, v36, v3
	v_fma_f32 v36, -v18, v38, v19
	v_div_scale_f32 v13, s3, 1.0, v6, 1.0
	v_div_scale_f32 v15, s4, 1.0, v7, 1.0
	s_delay_alu instid0(VALU_DEP_4) | instskip(NEXT) | instid1(VALU_DEP_4)
	v_fma_f32 v8, -v8, v37, v9
	v_fmac_f32_e32 v38, v36, v28
	v_fma_f32 v39, -v10, v32, v11
	v_div_scale_f32 v25, s7, 1.0, v14, 1.0
	s_delay_alu instid0(VALU_DEP_4) | instskip(NEXT) | instid1(VALU_DEP_4)
	v_div_fmas_f32 v3, v8, v3, v37
	v_fma_f32 v8, -v18, v38, v19
	s_mov_b32 vcc_lo, s5
	v_dual_mul_f32 v34, v13, v23 :: v_dual_mul_f32 v35, v15, v26
	s_delay_alu instid0(VALU_DEP_3) | instskip(NEXT) | instid1(VALU_DEP_3)
	v_div_fixup_f32 v3, v3, v4, 1.0
	v_div_fmas_f32 v4, v8, v28, v38
	v_fmac_f32_e32 v32, v39, v20
	s_delay_alu instid0(VALU_DEP_4)
	v_fma_f32 v41, -v12, v34, v13
	v_fma_f32 v43, -v2, v35, v15
	v_mul_f32_e32 v42, v25, v31
	v_div_fixup_f32 v4, v4, v0, 1.0
	v_mul_f32_e32 v40, v22, v30
	v_div_scale_f32 v29, s8, 1.0, v17, 1.0
	v_fma_f32 v9, -v10, v32, v11
	v_fmac_f32_e32 v34, v41, v23
	s_delay_alu instid0(VALU_DEP_4)
	v_fma_f32 v39, -v21, v40, v22
	v_fmac_f32_e32 v35, v43, v26
	v_fma_f32 v41, -v24, v42, v25
	s_mov_b32 vcc_lo, s2
	v_mul_f32_e32 v44, v29, v33
	v_fmac_f32_e32 v40, v39, v30
	v_div_fmas_f32 v8, v9, v20, v32
	s_mov_b32 vcc_lo, s6
	v_fmac_f32_e32 v42, v41, v31
	v_fma_f32 v10, -v12, v34, v13
	v_fma_f32 v11, -v21, v40, v22
	;; [unrolled: 1-line block ×5, first 2 shown]
	v_div_fixup_f32 v5, v8, v5, 1.0
	v_div_fmas_f32 v9, v11, v30, v40
	v_cmp_class_f32_e64 vcc_lo, v3, 0x1f8
	v_fmac_f32_e32 v44, v43, v33
	s_delay_alu instid0(VALU_DEP_3) | instskip(SKIP_2) | instid1(VALU_DEP_3)
	v_div_fixup_f32 v9, v9, v1, 1.0
	v_cndmask_b32_e32 v0, 0, v3, vcc_lo
	s_mov_b32 vcc_lo, s3
	v_fma_f32 v13, -v27, v44, v29
	v_div_fmas_f32 v3, v10, v23, v34
	s_mov_b32 vcc_lo, s7
	v_div_fmas_f32 v8, v12, v31, v42
	s_mov_b32 vcc_lo, s4
	v_div_fmas_f32 v10, v2, v26, v35
	v_cmp_class_f32_e64 vcc_lo, v4, 0x1f8
	s_delay_alu instid0(VALU_DEP_2)
	v_div_fixup_f32 v7, v10, v7, 1.0
	v_cndmask_b32_e32 v1, 0, v4, vcc_lo
	s_mov_b32 vcc_lo, s8
	v_div_fixup_f32 v4, v3, v6, 1.0
	v_div_fmas_f32 v6, v13, v33, v44
	v_cmp_class_f32_e64 vcc_lo, v5, 0x1f8
	v_cndmask_b32_e32 v2, 0, v5, vcc_lo
	v_cmp_class_f32_e64 vcc_lo, v9, 0x1f8
	v_div_fixup_f32 v5, v8, v14, 1.0
	v_div_fixup_f32 v8, v6, v17, 1.0
	v_cndmask_b32_e32 v3, 0, v9, vcc_lo
	v_cmp_class_f32_e64 vcc_lo, v4, 0x1f8
	v_cndmask_b32_e32 v4, 0, v4, vcc_lo
	v_cmp_class_f32_e64 vcc_lo, v5, 0x1f8
	;; [unrolled: 2-line block ×4, first 2 shown]
	v_cndmask_b32_e32 v7, 0, v8, vcc_lo
	s_cbranch_scc1 .LBB297_10
; %bb.4:
	s_load_b256 s[4:11], s[10:11], 0x0
	s_waitcnt lgkmcnt(0)
	v_dual_add_f32 v8, s4, v0 :: v_dual_add_f32 v9, s5, v1
	v_dual_add_f32 v10, s6, v2 :: v_dual_add_f32 v11, s7, v3
	;; [unrolled: 1-line block ×4, first 2 shown]
	s_cbranch_execnz .LBB297_6
.LBB297_5:
	v_dual_mov_b32 v15, v7 :: v_dual_mov_b32 v14, v6
	v_dual_mov_b32 v13, v5 :: v_dual_mov_b32 v12, v4
	;; [unrolled: 1-line block ×4, first 2 shown]
.LBB297_6:
	s_load_b128 s[4:7], s[0:1], 0x30
	s_mov_b32 s16, 0
	s_waitcnt lgkmcnt(0)
	s_bitcmp1_b32 s7, 0
	s_cselect_b32 vcc_lo, -1, 0
	s_cmp_gt_i32 s4, 0
	s_cselect_b32 s7, -1, 0
	s_cmp_lt_i32 s4, 1
	s_cbranch_scc1 .LBB297_11
; %bb.7:
	s_load_b128 s[8:11], s[0:1], 0x20
	v_mul_lo_u32 v18, v16, s4
	v_mov_b32_e32 v17, 0
	v_mov_b32_e32 v19, v16
.LBB297_8:                              ; =>This Inner Loop Header: Depth=1
	v_cmp_gt_f32_e64 s0, v9, v8
	s_delay_alu instid0(VALU_DEP_1) | instskip(SKIP_2) | instid1(VALU_DEP_3)
	v_cndmask_b32_e64 v21, v8, v9, s0
	v_cndmask_b32_e64 v20, 0, 1, s0
	;; [unrolled: 1-line block ×3, first 2 shown]
	v_cmp_gt_f32_e64 s1, v10, v21
	s_delay_alu instid0(VALU_DEP_1) | instskip(NEXT) | instid1(VALU_DEP_4)
	v_cndmask_b32_e64 v21, v21, v10, s1
	v_cndmask_b32_e64 v20, v20, 2, s1
	s_delay_alu instid0(VALU_DEP_4) | instskip(NEXT) | instid1(VALU_DEP_3)
	v_cndmask_b32_e64 v22, v22, v2, s1
	v_cmp_gt_f32_e64 s2, v11, v21
	s_delay_alu instid0(VALU_DEP_1) | instskip(NEXT) | instid1(VALU_DEP_4)
	v_cndmask_b32_e64 v21, v21, v11, s2
	v_cndmask_b32_e64 v20, v20, 3, s2
	s_delay_alu instid0(VALU_DEP_4) | instskip(NEXT) | instid1(VALU_DEP_3)
	v_cndmask_b32_e64 v25, v22, v3, s2
	v_cmp_gt_f32_e64 s3, v12, v21
	s_delay_alu instid0(VALU_DEP_1) | instskip(NEXT) | instid1(VALU_DEP_4)
	v_cndmask_b32_e64 v24, v21, v12, s3
	v_cndmask_b32_e64 v23, v20, 4, s3
	v_add_nc_u32_e32 v20, s16, v18
	v_cndmask_b32_e64 v28, v25, v4, s3
	s_add_i32 s16, s16, 1
	v_cmp_gt_f32_e64 s0, v13, v24
	s_delay_alu instid0(VALU_DEP_3) | instskip(NEXT) | instid1(VALU_DEP_2)
	v_ashrrev_i32_e32 v21, 31, v20
	v_cndmask_b32_e64 v27, v24, v13, s0
	v_cndmask_b32_e64 v26, v23, 5, s0
	s_delay_alu instid0(VALU_DEP_3) | instskip(SKIP_1) | instid1(VALU_DEP_4)
	v_lshlrev_b64 v[22:23], 2, v[20:21]
	v_cndmask_b32_e64 v28, v28, v5, s0
	v_cmp_gt_f32_e64 s1, v14, v27
	s_delay_alu instid0(VALU_DEP_3) | instskip(NEXT) | instid1(VALU_DEP_2)
	v_add_co_u32 v24, s2, s12, v22
	v_cndmask_b32_e64 v27, v27, v14, s1
	s_waitcnt lgkmcnt(0)
	v_add_co_u32 v22, s0, s10, v22
	v_add_co_ci_u32_e64 v25, s2, s13, v23, s2
	v_add_co_ci_u32_e64 v23, s0, s11, v23, s0
	v_cndmask_b32_e64 v26, v26, 6, s1
	v_cmp_gt_f32_e64 s0, v15, v27
	v_cndmask_b32_e64 v28, v28, v6, s1
	global_store_b32 v[22:23], v19, off
	v_add_nc_u32_e32 v19, s14, v19
	v_cndmask_b32_e64 v26, v26, 7, s0
	v_cndmask_b32_e64 v27, v28, v7, s0
	s_delay_alu instid0(VALU_DEP_2) | instskip(NEXT) | instid1(VALU_DEP_2)
	v_cmp_ne_u32_e64 s2, 0, v26
	v_add_f32_e32 v35, v17, v27
	v_lshlrev_b64 v[20:21], 3, v[20:21]
	v_cmp_le_i32_e64 s0, s5, v26
	v_subrev_nc_u32_e32 v22, s5, v26
	v_cndmask_b32_e64 v28, 0xc61c4000, v8, s2
	v_cmp_ne_u32_e64 s2, 1, v26
	v_cndmask_b32_e32 v17, v17, v35, vcc_lo
	v_add_co_u32 v20, s1, s8, v20
	s_delay_alu instid0(VALU_DEP_1) | instskip(NEXT) | instid1(VALU_DEP_4)
	v_add_co_ci_u32_e64 v21, s1, s9, v21, s1
	v_cndmask_b32_e64 v29, 0xc61c4000, v9, s2
	v_cmp_ne_u32_e64 s2, 2, v26
	v_cmp_gt_i32_e64 s1, s6, v26
	v_ashrrev_i32_e32 v23, 31, v22
	s_delay_alu instid0(VALU_DEP_3) | instskip(SKIP_1) | instid1(VALU_DEP_4)
	v_cndmask_b32_e64 v30, 0xc61c4000, v10, s2
	v_cmp_ne_u32_e64 s2, 3, v26
	s_and_b32 s0, s0, s1
	s_delay_alu instid0(SALU_CYCLE_1) | instskip(SKIP_1) | instid1(VALU_DEP_1)
	s_and_b32 s0, s15, s0
	s_cmp_lt_i32 s16, s4
	v_cndmask_b32_e64 v31, 0xc61c4000, v11, s2
	v_cmp_ne_u32_e64 s2, 4, v26
	v_cndmask_b32_e64 v23, 0, v23, s0
	v_cndmask_b32_e64 v22, 8, v22, s0
	s_cselect_b32 s0, -1, 0
	s_cmp_eq_u32 s4, s16
	v_cndmask_b32_e64 v32, 0xc61c4000, v12, s2
	v_cmp_ne_u32_e64 s2, 5, v26
	v_cndmask_b32_e64 v11, v11, v31, s0
	v_cndmask_b32_e64 v10, v10, v30, s0
	;; [unrolled: 1-line block ×5, first 2 shown]
	v_cmp_ne_u32_e64 s2, 6, v26
	v_cndmask_b32_e64 v8, v8, v28, s0
	global_store_b32 v[24:25], v27, off
	global_store_b64 v[20:21], v[22:23], off
	v_cndmask_b32_e64 v13, v13, v33, s0
	v_cndmask_b32_e64 v34, 0xc61c4000, v14, s2
	v_cmp_ne_u32_e64 s2, 7, v26
	s_delay_alu instid0(VALU_DEP_2) | instskip(NEXT) | instid1(VALU_DEP_2)
	v_cndmask_b32_e64 v14, v14, v34, s0
	v_cndmask_b32_e64 v26, 0xc61c4000, v15, s2
	s_delay_alu instid0(VALU_DEP_1)
	v_cndmask_b32_e64 v15, v15, v26, s0
	s_cbranch_scc0 .LBB297_8
; %bb.9:
	s_and_b32 vcc_lo, exec_lo, vcc_lo
	s_cbranch_vccnz .LBB297_12
	s_branch .LBB297_15
.LBB297_10:
                                        ; implicit-def: $vgpr8_vgpr9_vgpr10_vgpr11_vgpr12_vgpr13_vgpr14_vgpr15
	s_and_not1_b32 vcc_lo, exec_lo, s9
	s_cbranch_vccz .LBB297_5
	s_branch .LBB297_6
.LBB297_11:
	v_mov_b32_e32 v17, 0
	s_and_b32 vcc_lo, exec_lo, vcc_lo
	s_cbranch_vccz .LBB297_15
.LBB297_12:
	s_and_not1_b32 vcc_lo, exec_lo, s7
	s_cbranch_vccnz .LBB297_15
; %bb.13:
	v_mul_lo_u32 v0, v16, s4
	v_cmp_lt_f32_e32 vcc_lo, 0, v17
	v_cndmask_b32_e32 v2, 1.0, v17, vcc_lo
	s_delay_alu instid0(VALU_DEP_3) | instskip(NEXT) | instid1(VALU_DEP_1)
	v_ashrrev_i32_e32 v1, 31, v0
	v_lshlrev_b64 v[0:1], 2, v[0:1]
	s_delay_alu instid0(VALU_DEP_1) | instskip(NEXT) | instid1(VALU_DEP_2)
	v_add_co_u32 v0, vcc_lo, s12, v0
	v_add_co_ci_u32_e32 v1, vcc_lo, s13, v1, vcc_lo
	.p2align	6
.LBB297_14:                             ; =>This Inner Loop Header: Depth=1
	global_load_b32 v3, v[0:1], off
	s_add_i32 s4, s4, -1
	s_delay_alu instid0(SALU_CYCLE_1) | instskip(SKIP_3) | instid1(VALU_DEP_2)
	s_cmp_lg_u32 s4, 0
	s_waitcnt vmcnt(0)
	v_div_scale_f32 v4, null, v2, v2, v3
	v_div_scale_f32 v7, vcc_lo, v3, v2, v3
	v_rcp_f32_e32 v5, v4
	s_waitcnt_depctr 0xfff
	v_fma_f32 v6, -v4, v5, 1.0
	s_delay_alu instid0(VALU_DEP_1) | instskip(NEXT) | instid1(VALU_DEP_1)
	v_fmac_f32_e32 v5, v6, v5
	v_mul_f32_e32 v6, v7, v5
	s_delay_alu instid0(VALU_DEP_1) | instskip(NEXT) | instid1(VALU_DEP_1)
	v_fma_f32 v8, -v4, v6, v7
	v_fmac_f32_e32 v6, v8, v5
	s_delay_alu instid0(VALU_DEP_1) | instskip(NEXT) | instid1(VALU_DEP_1)
	v_fma_f32 v4, -v4, v6, v7
	v_div_fmas_f32 v4, v4, v5, v6
	s_delay_alu instid0(VALU_DEP_1)
	v_div_fixup_f32 v3, v4, v2, v3
	global_store_b32 v[0:1], v3, off
	v_add_co_u32 v0, vcc_lo, v0, 4
	v_add_co_ci_u32_e32 v1, vcc_lo, 0, v1, vcc_lo
	s_cbranch_scc1 .LBB297_14
.LBB297_15:
	s_nop 0
	s_sendmsg sendmsg(MSG_DEALLOC_VGPRS)
	s_endpgm
	.section	.rodata,"a",@progbits
	.p2align	6, 0x0
	.amdhsa_kernel _ZN4vllm3moe10topkGatingILi8ELi8ELi4ELi16ELi32El6__halfLNS0_11ScoringFuncE1EEEvPKT5_PKbPfiPT4_PiiiibPKf
		.amdhsa_group_segment_fixed_size 0
		.amdhsa_private_segment_fixed_size 0
		.amdhsa_kernarg_size 72
		.amdhsa_user_sgpr_count 15
		.amdhsa_user_sgpr_dispatch_ptr 0
		.amdhsa_user_sgpr_queue_ptr 0
		.amdhsa_user_sgpr_kernarg_segment_ptr 1
		.amdhsa_user_sgpr_dispatch_id 0
		.amdhsa_user_sgpr_private_segment_size 0
		.amdhsa_wavefront_size32 1
		.amdhsa_uses_dynamic_stack 0
		.amdhsa_enable_private_segment 0
		.amdhsa_system_sgpr_workgroup_id_x 1
		.amdhsa_system_sgpr_workgroup_id_y 0
		.amdhsa_system_sgpr_workgroup_id_z 0
		.amdhsa_system_sgpr_workgroup_info 0
		.amdhsa_system_vgpr_workitem_id 1
		.amdhsa_next_free_vgpr 45
		.amdhsa_next_free_sgpr 17
		.amdhsa_reserve_vcc 1
		.amdhsa_float_round_mode_32 0
		.amdhsa_float_round_mode_16_64 0
		.amdhsa_float_denorm_mode_32 3
		.amdhsa_float_denorm_mode_16_64 3
		.amdhsa_dx10_clamp 1
		.amdhsa_ieee_mode 1
		.amdhsa_fp16_overflow 0
		.amdhsa_workgroup_processor_mode 1
		.amdhsa_memory_ordered 1
		.amdhsa_forward_progress 0
		.amdhsa_shared_vgpr_count 0
		.amdhsa_exception_fp_ieee_invalid_op 0
		.amdhsa_exception_fp_denorm_src 0
		.amdhsa_exception_fp_ieee_div_zero 0
		.amdhsa_exception_fp_ieee_overflow 0
		.amdhsa_exception_fp_ieee_underflow 0
		.amdhsa_exception_fp_ieee_inexact 0
		.amdhsa_exception_int_div_zero 0
	.end_amdhsa_kernel
	.section	.text._ZN4vllm3moe10topkGatingILi8ELi8ELi4ELi16ELi32El6__halfLNS0_11ScoringFuncE1EEEvPKT5_PKbPfiPT4_PiiiibPKf,"axG",@progbits,_ZN4vllm3moe10topkGatingILi8ELi8ELi4ELi16ELi32El6__halfLNS0_11ScoringFuncE1EEEvPKT5_PKbPfiPT4_PiiiibPKf,comdat
.Lfunc_end297:
	.size	_ZN4vllm3moe10topkGatingILi8ELi8ELi4ELi16ELi32El6__halfLNS0_11ScoringFuncE1EEEvPKT5_PKbPfiPT4_PiiiibPKf, .Lfunc_end297-_ZN4vllm3moe10topkGatingILi8ELi8ELi4ELi16ELi32El6__halfLNS0_11ScoringFuncE1EEEvPKT5_PKbPfiPT4_PiiiibPKf
                                        ; -- End function
	.section	.AMDGPU.csdata,"",@progbits
; Kernel info:
; codeLenInByte = 2264
; NumSgprs: 19
; NumVgprs: 45
; ScratchSize: 0
; MemoryBound: 0
; FloatMode: 240
; IeeeMode: 1
; LDSByteSize: 0 bytes/workgroup (compile time only)
; SGPRBlocks: 2
; VGPRBlocks: 5
; NumSGPRsForWavesPerEU: 19
; NumVGPRsForWavesPerEU: 45
; Occupancy: 16
; WaveLimiterHint : 0
; COMPUTE_PGM_RSRC2:SCRATCH_EN: 0
; COMPUTE_PGM_RSRC2:USER_SGPR: 15
; COMPUTE_PGM_RSRC2:TRAP_HANDLER: 0
; COMPUTE_PGM_RSRC2:TGID_X_EN: 1
; COMPUTE_PGM_RSRC2:TGID_Y_EN: 0
; COMPUTE_PGM_RSRC2:TGID_Z_EN: 0
; COMPUTE_PGM_RSRC2:TIDIG_COMP_CNT: 1
	.section	.text._ZN4vllm3moe10topkGatingILi8ELi16ELi4ELi16ELi64El6__halfLNS0_11ScoringFuncE1EEEvPKT5_PKbPfiPT4_PiiiibPKf,"axG",@progbits,_ZN4vllm3moe10topkGatingILi8ELi16ELi4ELi16ELi64El6__halfLNS0_11ScoringFuncE1EEEvPKT5_PKbPfiPT4_PiiiibPKf,comdat
	.protected	_ZN4vllm3moe10topkGatingILi8ELi16ELi4ELi16ELi64El6__halfLNS0_11ScoringFuncE1EEEvPKT5_PKbPfiPT4_PiiiibPKf ; -- Begin function _ZN4vllm3moe10topkGatingILi8ELi16ELi4ELi16ELi64El6__halfLNS0_11ScoringFuncE1EEEvPKT5_PKbPfiPT4_PiiiibPKf
	.globl	_ZN4vllm3moe10topkGatingILi8ELi16ELi4ELi16ELi64El6__halfLNS0_11ScoringFuncE1EEEvPKT5_PKbPfiPT4_PiiiibPKf
	.p2align	8
	.type	_ZN4vllm3moe10topkGatingILi8ELi16ELi4ELi16ELi64El6__halfLNS0_11ScoringFuncE1EEEvPKT5_PKbPfiPT4_PiiiibPKf,@function
_ZN4vllm3moe10topkGatingILi8ELi16ELi4ELi16ELi64El6__halfLNS0_11ScoringFuncE1EEEvPKT5_PKbPfiPT4_PiiiibPKf: ; @_ZN4vllm3moe10topkGatingILi8ELi16ELi4ELi16ELi64El6__halfLNS0_11ScoringFuncE1EEEvPKT5_PKbPfiPT4_PiiiibPKf
; %bb.0:
	s_load_b32 s18, s[0:1], 0x18
	v_bfe_u32 v1, v0, 10, 10
	v_and_b32_e32 v0, 0x3ff, v0
	s_lshl_b32 s2, s15, 7
	s_delay_alu instid0(VALU_DEP_2) | instskip(NEXT) | instid1(VALU_DEP_2)
	v_lshlrev_b32_e32 v1, 5, v1
	v_lshrrev_b32_e32 v2, 1, v0
	s_delay_alu instid0(VALU_DEP_1) | instskip(SKIP_2) | instid1(VALU_DEP_1)
	v_add3_u32 v16, s2, v1, v2
	s_mov_b32 s2, exec_lo
	s_waitcnt lgkmcnt(0)
	v_cmpx_gt_i32_e64 s18, v16
	s_cbranch_execz .LBB298_25
; %bb.1:
	s_clause 0x1
	s_load_b128 s[4:7], s[0:1], 0x0
	s_load_b64 s[16:17], s[0:1], 0x10
	s_mov_b32 s9, -1
	s_mov_b32 s19, -1
	s_waitcnt lgkmcnt(0)
	s_cmp_eq_u64 s[6:7], 0
	s_cbranch_scc1 .LBB298_3
; %bb.2:
	v_ashrrev_i32_e32 v2, 31, v16
	v_add_co_u32 v1, vcc_lo, s6, v16
	s_delay_alu instid0(VALU_DEP_2) | instskip(SKIP_3) | instid1(VALU_DEP_1)
	v_add_co_ci_u32_e32 v2, vcc_lo, s7, v2, vcc_lo
	global_load_u8 v1, v[1:2], off
	s_waitcnt vmcnt(0)
	v_and_b32_e32 v1, 1, v1
	v_cmp_eq_u32_e32 vcc_lo, 1, v1
	s_xor_b32 s2, vcc_lo, -1
	s_delay_alu instid0(SALU_CYCLE_1)
	s_or_not1_b32 s19, s2, exec_lo
.LBB298_3:
	v_lshlrev_b32_e32 v1, 4, v16
	v_and_b32_e32 v17, 1, v0
	s_load_b64 s[10:11], s[0:1], 0x40
	s_delay_alu instid0(VALU_DEP_2) | instskip(NEXT) | instid1(VALU_DEP_1)
	v_ashrrev_i32_e32 v2, 31, v1
	v_lshlrev_b64 v[0:1], 1, v[1:2]
	s_delay_alu instid0(VALU_DEP_3) | instskip(NEXT) | instid1(VALU_DEP_2)
	v_lshlrev_b32_e32 v2, 4, v17
	v_add_co_u32 v0, vcc_lo, s4, v0
	s_delay_alu instid0(VALU_DEP_3) | instskip(NEXT) | instid1(VALU_DEP_2)
	v_add_co_ci_u32_e32 v1, vcc_lo, s5, v1, vcc_lo
	v_add_co_u32 v0, vcc_lo, v0, v2
	s_delay_alu instid0(VALU_DEP_2)
	v_add_co_ci_u32_e32 v1, vcc_lo, 0, v1, vcc_lo
	s_waitcnt lgkmcnt(0)
	s_cmp_eq_u64 s[10:11], 0
	global_load_b128 v[0:3], v[0:1], off
	s_waitcnt vmcnt(0)
	v_cvt_f32_f16_e32 v4, v0
	v_lshrrev_b32_e32 v0, 16, v0
	v_cvt_f32_f16_e32 v5, v1
	v_lshrrev_b32_e32 v1, 16, v1
	;; [unrolled: 2-line block ×4, first 2 shown]
	v_dual_mul_f32 v4, 0xbfb8aa3b, v4 :: v_dual_mul_f32 v5, 0xbfb8aa3b, v5
	v_cvt_f32_f16_e32 v0, v0
	v_cvt_f32_f16_e32 v1, v1
	;; [unrolled: 1-line block ×4, first 2 shown]
	v_dual_mul_f32 v6, 0xbfb8aa3b, v6 :: v_dual_mul_f32 v7, 0xbfb8aa3b, v7
	v_exp_f32_e32 v4, v4
	v_dual_mul_f32 v0, 0xbfb8aa3b, v0 :: v_dual_mul_f32 v1, 0xbfb8aa3b, v1
	v_exp_f32_e32 v5, v5
	s_delay_alu instid0(VALU_DEP_2)
	v_exp_f32_e32 v6, v6
	v_mul_f32_e32 v2, 0xbfb8aa3b, v2
	v_exp_f32_e32 v7, v7
	v_dual_mul_f32 v3, 0xbfb8aa3b, v3 :: v_dual_lshlrev_b32 v18, 3, v17
	v_exp_f32_e32 v0, v0
	v_exp_f32_e32 v1, v1
	;; [unrolled: 1-line block ×3, first 2 shown]
	s_delay_alu instid0(VALU_DEP_1) | instskip(SKIP_2) | instid1(VALU_DEP_2)
	v_exp_f32_e32 v3, v3
	v_dual_add_f32 v4, 1.0, v4 :: v_dual_add_f32 v5, 1.0, v5
	v_dual_add_f32 v6, 1.0, v6 :: v_dual_add_f32 v7, 1.0, v7
	v_div_scale_f32 v8, null, v4, v4, 1.0
	s_delay_alu instid0(TRANS32_DEP_3) | instskip(NEXT) | instid1(VALU_DEP_4)
	v_dual_add_f32 v0, 1.0, v0 :: v_dual_add_f32 v1, 1.0, v1
	v_div_scale_f32 v10, null, v5, v5, 1.0
	s_delay_alu instid0(VALU_DEP_4) | instskip(NEXT) | instid1(TRANS32_DEP_1)
	v_div_scale_f32 v12, null, v6, v6, 1.0
	v_dual_add_f32 v14, 1.0, v2 :: v_dual_add_f32 v19, 1.0, v3
	v_div_scale_f32 v2, null, v7, v7, 1.0
	v_rcp_f32_e32 v3, v8
	v_div_scale_f32 v20, null, v0, v0, 1.0
	v_rcp_f32_e32 v22, v10
	;; [unrolled: 2-line block ×3, first 2 shown]
	v_rcp_f32_e32 v28, v2
	v_div_scale_f32 v29, null, v19, v19, 1.0
	v_rcp_f32_e32 v30, v20
	v_div_scale_f32 v26, null, v14, v14, 1.0
	v_rcp_f32_e32 v32, v23
	v_fma_f32 v34, -v8, v3, 1.0
	v_rcp_f32_e32 v35, v29
	v_div_scale_f32 v9, vcc_lo, 1.0, v4, 1.0
	v_rcp_f32_e32 v33, v26
	v_fma_f32 v36, -v10, v22, 1.0
	v_fma_f32 v37, -v12, v25, 1.0
	;; [unrolled: 1-line block ×3, first 2 shown]
	v_fmac_f32_e32 v3, v34, v3
	v_fma_f32 v34, -v20, v30, 1.0
	v_fmac_f32_e32 v22, v36, v22
	v_div_scale_f32 v11, s2, 1.0, v5, 1.0
	v_fma_f32 v36, -v23, v32, 1.0
	v_dual_fmac_f32 v25, v37, v25 :: v_dual_fmac_f32 v28, v38, v28
	v_fma_f32 v38, -v29, v35, 1.0
	v_dual_mul_f32 v39, v9, v3 :: v_dual_fmac_f32 v30, v34, v30
	v_div_scale_f32 v21, s5, 1.0, v0, 1.0
	v_div_scale_f32 v24, s6, 1.0, v1, 1.0
	v_fma_f32 v37, -v26, v33, 1.0
	v_mul_f32_e32 v34, v11, v22
	v_dual_fmac_f32 v32, v36, v32 :: v_dual_fmac_f32 v35, v38, v35
	v_fma_f32 v38, -v8, v39, v9
	v_mul_f32_e32 v40, v21, v30
	v_div_scale_f32 v13, s3, 1.0, v6, 1.0
	v_div_scale_f32 v15, s4, 1.0, v7, 1.0
	s_delay_alu instid0(VALU_DEP_4)
	v_fmac_f32_e32 v39, v38, v3
	v_fmac_f32_e32 v33, v37, v33
	v_fma_f32 v41, -v10, v34, v11
	v_mul_f32_e32 v42, v24, v32
	v_fma_f32 v38, -v20, v40, v21
	v_div_scale_f32 v27, s7, 1.0, v14, 1.0
	v_dual_mul_f32 v36, v13, v25 :: v_dual_mul_f32 v37, v15, v28
	v_fmac_f32_e32 v34, v41, v22
	v_fma_f32 v41, -v23, v42, v24
	v_fma_f32 v8, -v8, v39, v9
	v_fmac_f32_e32 v40, v38, v30
	v_fma_f32 v43, -v12, v36, v13
	v_fma_f32 v45, -v2, v37, v15
	v_mul_f32_e32 v44, v27, v33
	v_fmac_f32_e32 v42, v41, v32
	v_div_fmas_f32 v3, v8, v3, v39
	v_fma_f32 v8, -v20, v40, v21
	v_fmac_f32_e32 v37, v45, v28
	v_fma_f32 v9, -v10, v34, v11
	v_fmac_f32_e32 v36, v43, v25
	v_fma_f32 v43, -v26, v44, v27
	s_mov_b32 vcc_lo, s5
	v_fma_f32 v11, -v23, v42, v24
	v_div_fixup_f32 v3, v3, v4, 1.0
	v_div_fmas_f32 v4, v8, v30, v40
	s_mov_b32 vcc_lo, s2
	v_fmac_f32_e32 v44, v43, v33
	v_div_fmas_f32 v8, v9, v22, v34
	s_mov_b32 vcc_lo, s6
	v_fma_f32 v10, -v12, v36, v13
	v_div_fmas_f32 v9, v11, v32, v42
	v_cmp_class_f32_e64 vcc_lo, v3, 0x1f8
	v_fma_f32 v12, -v26, v44, v27
	v_div_fixup_f32 v4, v4, v0, 1.0
	v_div_scale_f32 v31, s8, 1.0, v19, 1.0
	v_cndmask_b32_e32 v0, 0, v3, vcc_lo
	s_mov_b32 vcc_lo, s3
	v_fma_f32 v2, -v2, v37, v15
	v_div_fmas_f32 v3, v10, v25, v36
	s_mov_b32 vcc_lo, s7
	v_div_fixup_f32 v5, v8, v5, 1.0
	v_div_fmas_f32 v8, v12, v33, v44
	s_mov_b32 vcc_lo, s4
	v_div_fixup_f32 v9, v9, v1, 1.0
	v_div_fmas_f32 v10, v2, v28, v37
	v_cmp_class_f32_e64 vcc_lo, v4, 0x1f8
	v_mul_f32_e32 v46, v31, v35
	s_delay_alu instid0(VALU_DEP_3) | instskip(SKIP_1) | instid1(VALU_DEP_3)
	v_div_fixup_f32 v7, v10, v7, 1.0
	v_cndmask_b32_e32 v1, 0, v4, vcc_lo
	v_fma_f32 v45, -v29, v46, v31
	s_mov_b32 vcc_lo, s8
	v_div_fixup_f32 v4, v3, v6, 1.0
	s_delay_alu instid0(VALU_DEP_2) | instskip(NEXT) | instid1(VALU_DEP_1)
	v_fmac_f32_e32 v46, v45, v35
	v_fma_f32 v13, -v29, v46, v31
	s_delay_alu instid0(VALU_DEP_1)
	v_div_fmas_f32 v6, v13, v35, v46
	v_cmp_class_f32_e64 vcc_lo, v5, 0x1f8
	v_cndmask_b32_e32 v2, 0, v5, vcc_lo
	v_cmp_class_f32_e64 vcc_lo, v9, 0x1f8
	v_div_fixup_f32 v5, v8, v14, 1.0
	v_div_fixup_f32 v8, v6, v19, 1.0
	v_cndmask_b32_e32 v3, 0, v9, vcc_lo
	v_cmp_class_f32_e64 vcc_lo, v4, 0x1f8
	v_cndmask_b32_e32 v4, 0, v4, vcc_lo
	v_cmp_class_f32_e64 vcc_lo, v5, 0x1f8
	;; [unrolled: 2-line block ×4, first 2 shown]
	v_cndmask_b32_e32 v7, 0, v8, vcc_lo
	s_cbranch_scc1 .LBB298_19
; %bb.4:
	v_lshlrev_b32_e32 v12, 2, v18
	s_clause 0x1
	global_load_b128 v[8:11], v12, s[10:11]
	global_load_b128 v[12:15], v12, s[10:11] offset:16
	s_waitcnt vmcnt(1)
	v_dual_add_f32 v9, v9, v1 :: v_dual_add_f32 v8, v8, v0
	v_dual_add_f32 v11, v11, v3 :: v_dual_add_f32 v10, v10, v2
	s_waitcnt vmcnt(0)
	v_dual_add_f32 v13, v13, v5 :: v_dual_add_f32 v12, v12, v4
	v_dual_add_f32 v15, v15, v7 :: v_dual_add_f32 v14, v14, v6
	s_cbranch_execnz .LBB298_6
.LBB298_5:
	v_dual_mov_b32 v15, v7 :: v_dual_mov_b32 v14, v6
	v_dual_mov_b32 v13, v5 :: v_dual_mov_b32 v12, v4
	;; [unrolled: 1-line block ×4, first 2 shown]
.LBB298_6:
	s_load_b128 s[8:11], s[0:1], 0x30
	v_cmp_eq_u32_e64 s2, 0, v17
	s_mov_b32 s6, 0
	s_waitcnt lgkmcnt(0)
	s_bitcmp1_b32 s11, 0
	s_cselect_b32 vcc_lo, -1, 0
	s_cmp_gt_i32 s8, 0
	s_cselect_b32 s5, -1, 0
	s_cmp_lt_i32 s8, 1
	s_cbranch_scc1 .LBB298_20
; %bb.7:
	v_mbcnt_lo_u32_b32 v19, -1, 0
	s_load_b128 s[12:15], s[0:1], 0x20
	v_mov_b32_e32 v22, v16
	s_delay_alu instid0(VALU_DEP_2) | instskip(SKIP_1) | instid1(VALU_DEP_2)
	v_and_b32_e32 v20, 30, v19
	v_xor_b32_e32 v21, 1, v19
	v_add_nc_u32_e32 v20, 2, v20
	s_delay_alu instid0(VALU_DEP_1) | instskip(SKIP_1) | instid1(VALU_DEP_2)
	v_cmp_lt_i32_e64 s0, v21, v20
	v_mul_lo_u32 v20, v16, s8
	v_cndmask_b32_e64 v21, v19, v21, s0
	v_mov_b32_e32 v19, 0
	s_delay_alu instid0(VALU_DEP_2)
	v_lshlrev_b32_e32 v21, 2, v21
	s_branch .LBB298_10
.LBB298_8:                              ;   in Loop: Header=BB298_10 Depth=1
	s_or_b32 exec_lo, exec_lo, s1
.LBB298_9:                              ;   in Loop: Header=BB298_10 Depth=1
	v_add_nc_u32_e32 v22, s18, v22
	s_cmp_eq_u32 s8, s6
	s_cbranch_scc1 .LBB298_21
.LBB298_10:                             ; =>This Inner Loop Header: Depth=1
	v_cmp_gt_f32_e64 s0, v9, v8
	s_delay_alu instid0(VALU_DEP_1) | instskip(SKIP_2) | instid1(VALU_DEP_3)
	v_cndmask_b32_e64 v24, v8, v9, s0
	v_cndmask_b32_e64 v23, 0, 1, s0
	;; [unrolled: 1-line block ×3, first 2 shown]
	v_cmp_gt_f32_e64 s1, v10, v24
	s_delay_alu instid0(VALU_DEP_1) | instskip(NEXT) | instid1(VALU_DEP_4)
	v_cndmask_b32_e64 v24, v24, v10, s1
	v_cndmask_b32_e64 v23, v23, 2, s1
	s_delay_alu instid0(VALU_DEP_4) | instskip(NEXT) | instid1(VALU_DEP_3)
	v_cndmask_b32_e64 v25, v25, v2, s1
	v_cmp_gt_f32_e64 s3, v11, v24
	s_delay_alu instid0(VALU_DEP_1) | instskip(NEXT) | instid1(VALU_DEP_4)
	v_cndmask_b32_e64 v24, v24, v11, s3
	v_cndmask_b32_e64 v23, v23, 3, s3
	s_delay_alu instid0(VALU_DEP_4) | instskip(NEXT) | instid1(VALU_DEP_3)
	v_cndmask_b32_e64 v25, v25, v3, s3
	v_cmp_gt_f32_e64 s4, v12, v24
	s_delay_alu instid0(VALU_DEP_1) | instskip(NEXT) | instid1(VALU_DEP_4)
	v_cndmask_b32_e64 v24, v24, v12, s4
	v_cndmask_b32_e64 v23, v23, 4, s4
	s_delay_alu instid0(VALU_DEP_4) | instskip(SKIP_1) | instid1(VALU_DEP_3)
	v_cndmask_b32_e64 v25, v25, v4, s4
	s_mov_b32 s4, exec_lo
	v_cmp_gt_f32_e64 s0, v13, v24
	s_delay_alu instid0(VALU_DEP_1) | instskip(SKIP_2) | instid1(VALU_DEP_3)
	v_cndmask_b32_e64 v24, v24, v13, s0
	v_cndmask_b32_e64 v23, v23, 5, s0
	v_cndmask_b32_e64 v25, v25, v5, s0
	v_cmp_gt_f32_e64 s1, v14, v24
	s_delay_alu instid0(VALU_DEP_1) | instskip(NEXT) | instid1(VALU_DEP_4)
	v_cndmask_b32_e64 v24, v24, v14, s1
	v_cndmask_b32_e64 v23, v23, 6, s1
	s_delay_alu instid0(VALU_DEP_4) | instskip(NEXT) | instid1(VALU_DEP_3)
	v_cndmask_b32_e64 v25, v25, v6, s1
	v_cmp_gt_f32_e64 s0, v15, v24
	s_delay_alu instid0(VALU_DEP_1) | instskip(SKIP_1) | instid1(VALU_DEP_4)
	v_cndmask_b32_e64 v23, v23, 7, s0
	v_cndmask_b32_e64 v27, v24, v15, s0
	;; [unrolled: 1-line block ×3, first 2 shown]
	s_delay_alu instid0(VALU_DEP_3)
	v_or_b32_e32 v23, v18, v23
	ds_bpermute_b32 v28, v21, v27
	ds_bpermute_b32 v25, v21, v24
	;; [unrolled: 1-line block ×3, first 2 shown]
	s_waitcnt lgkmcnt(0)
	v_cmp_lt_f32_e64 s3, v27, v28
	v_cmpx_nlt_f32_e32 v27, v28
	s_cbranch_execnz .LBB298_14
; %bb.11:                               ;   in Loop: Header=BB298_10 Depth=1
	s_or_b32 exec_lo, exec_lo, s4
	s_delay_alu instid0(VALU_DEP_2)
	s_and_saveexec_b32 s0, s3
	s_cbranch_execnz .LBB298_15
.LBB298_12:                             ;   in Loop: Header=BB298_10 Depth=1
	s_or_b32 exec_lo, exec_lo, s0
	s_and_saveexec_b32 s3, s2
	s_cbranch_execnz .LBB298_16
.LBB298_13:                             ;   in Loop: Header=BB298_10 Depth=1
	s_or_b32 exec_lo, exec_lo, s3
	s_add_i32 s6, s6, 1
	s_delay_alu instid0(SALU_CYCLE_1)
	s_cmp_ge_i32 s6, s8
	s_cbranch_scc1 .LBB298_9
	s_branch .LBB298_17
.LBB298_14:                             ;   in Loop: Header=BB298_10 Depth=1
	v_cmp_eq_f32_e64 s0, v27, v28
	v_cmp_lt_i32_e64 s1, v26, v23
	s_delay_alu instid0(VALU_DEP_1) | instskip(SKIP_2) | instid1(SALU_CYCLE_1)
	s_and_b32 s0, s0, s1
	s_and_not1_b32 s1, s3, exec_lo
	s_and_b32 s0, s0, exec_lo
	s_or_b32 s3, s1, s0
	s_or_b32 exec_lo, exec_lo, s4
	s_and_saveexec_b32 s0, s3
	s_cbranch_execz .LBB298_12
.LBB298_15:                             ;   in Loop: Header=BB298_10 Depth=1
	v_dual_mov_b32 v23, v26 :: v_dual_mov_b32 v24, v25
	s_or_b32 exec_lo, exec_lo, s0
	s_and_saveexec_b32 s3, s2
	s_cbranch_execz .LBB298_13
.LBB298_16:                             ;   in Loop: Header=BB298_10 Depth=1
	v_add_nc_u32_e32 v25, s6, v20
	v_subrev_nc_u32_e32 v29, s9, v23
	v_cmp_le_i32_e64 s0, s9, v23
	v_cmp_gt_i32_e64 s1, s10, v23
	v_add_f32_e32 v33, v19, v24
	v_ashrrev_i32_e32 v26, 31, v25
	v_ashrrev_i32_e32 v30, 31, v29
	s_delay_alu instid0(VALU_DEP_4) | instskip(NEXT) | instid1(VALU_DEP_3)
	s_and_b32 s0, s0, s1
	v_cndmask_b32_e32 v19, v19, v33, vcc_lo
	s_delay_alu instid0(VALU_DEP_3) | instskip(SKIP_2) | instid1(SALU_CYCLE_1)
	v_lshlrev_b64 v[27:28], 2, v[25:26]
	v_lshlrev_b64 v[25:26], 3, v[25:26]
	s_and_b32 s0, s19, s0
	v_cndmask_b32_e64 v30, 0, v30, s0
	v_cndmask_b32_e64 v29, 16, v29, s0
	s_delay_alu instid0(VALU_DEP_4) | instskip(NEXT) | instid1(VALU_DEP_1)
	v_add_co_u32 v31, s0, s16, v27
	v_add_co_ci_u32_e64 v32, s0, s17, v28, s0
	v_add_co_u32 v25, s0, s12, v25
	s_delay_alu instid0(VALU_DEP_1) | instskip(SKIP_1) | instid1(VALU_DEP_1)
	v_add_co_ci_u32_e64 v26, s0, s13, v26, s0
	v_add_co_u32 v27, s0, s14, v27
	v_add_co_ci_u32_e64 v28, s0, s15, v28, s0
	global_store_b32 v[31:32], v24, off
	global_store_b64 v[25:26], v[29:30], off
	global_store_b32 v[27:28], v22, off
	s_or_b32 exec_lo, exec_lo, s3
	s_add_i32 s6, s6, 1
	s_delay_alu instid0(SALU_CYCLE_1)
	s_cmp_ge_i32 s6, s8
	s_cbranch_scc1 .LBB298_9
.LBB298_17:                             ;   in Loop: Header=BB298_10 Depth=1
	v_ashrrev_i32_e32 v25, 31, v23
	s_mov_b32 s1, exec_lo
	s_delay_alu instid0(VALU_DEP_1) | instskip(NEXT) | instid1(VALU_DEP_1)
	v_lshrrev_b32_e32 v24, 29, v25
	v_add_nc_u32_e32 v26, v23, v24
	s_delay_alu instid0(VALU_DEP_1) | instskip(SKIP_1) | instid1(VALU_DEP_1)
	v_ashrrev_i32_e32 v24, 3, v26
	v_lshrrev_b32_e32 v26, 31, v26
	v_add_nc_u32_e32 v26, v24, v26
	s_delay_alu instid0(VALU_DEP_1) | instskip(NEXT) | instid1(VALU_DEP_1)
	v_and_b32_e32 v26, -2, v26
	v_sub_nc_u32_e32 v26, v24, v26
	s_delay_alu instid0(VALU_DEP_1)
	v_cmpx_eq_u32_e64 v17, v26
	s_cbranch_execz .LBB298_8
; %bb.18:                               ;   in Loop: Header=BB298_10 Depth=1
	v_lshrrev_b32_e32 v25, 28, v25
	v_lshlrev_b32_e32 v24, 3, v24
	s_delay_alu instid0(VALU_DEP_2) | instskip(NEXT) | instid1(VALU_DEP_2)
	v_add_nc_u32_e32 v25, v23, v25
	v_sub_nc_u32_e32 v23, v23, v24
	s_delay_alu instid0(VALU_DEP_2) | instskip(NEXT) | instid1(VALU_DEP_1)
	v_ashrrev_i32_e32 v24, 4, v25
	v_lshl_add_u32 v23, v24, 3, v23
	s_delay_alu instid0(VALU_DEP_1) | instskip(NEXT) | instid1(VALU_DEP_1)
	v_cmp_ne_u32_e64 s0, 7, v23
	v_cndmask_b32_e64 v15, 0xc61c4000, v15, s0
	v_cmp_ne_u32_e64 s0, 6, v23
	s_delay_alu instid0(VALU_DEP_1) | instskip(SKIP_1) | instid1(VALU_DEP_1)
	v_cndmask_b32_e64 v14, 0xc61c4000, v14, s0
	v_cmp_ne_u32_e64 s0, 5, v23
	v_cndmask_b32_e64 v13, 0xc61c4000, v13, s0
	v_cmp_ne_u32_e64 s0, 4, v23
	s_delay_alu instid0(VALU_DEP_1) | instskip(SKIP_1) | instid1(VALU_DEP_1)
	v_cndmask_b32_e64 v12, 0xc61c4000, v12, s0
	v_cmp_ne_u32_e64 s0, 3, v23
	v_cndmask_b32_e64 v11, 0xc61c4000, v11, s0
	v_cmp_ne_u32_e64 s0, 2, v23
	s_delay_alu instid0(VALU_DEP_1) | instskip(SKIP_1) | instid1(VALU_DEP_1)
	v_cndmask_b32_e64 v10, 0xc61c4000, v10, s0
	v_cmp_ne_u32_e64 s0, 1, v23
	v_cndmask_b32_e64 v9, 0xc61c4000, v9, s0
	v_cmp_ne_u32_e64 s0, 0, v23
	s_delay_alu instid0(VALU_DEP_1)
	v_cndmask_b32_e64 v8, 0xc61c4000, v8, s0
	s_branch .LBB298_8
.LBB298_19:
                                        ; implicit-def: $vgpr8_vgpr9_vgpr10_vgpr11_vgpr12_vgpr13_vgpr14_vgpr15
	s_and_not1_b32 vcc_lo, exec_lo, s9
	s_cbranch_vccz .LBB298_5
	s_branch .LBB298_6
.LBB298_20:
	v_mov_b32_e32 v19, 0
.LBB298_21:
	v_cmp_eq_u32_e64 s0, 0, v17
	s_delay_alu instid0(VALU_DEP_1) | instskip(NEXT) | instid1(SALU_CYCLE_1)
	s_and_b32 s0, s0, vcc_lo
	s_and_b32 exec_lo, exec_lo, s0
	s_cbranch_execz .LBB298_25
; %bb.22:
	s_and_not1_b32 vcc_lo, exec_lo, s5
	s_cbranch_vccnz .LBB298_25
; %bb.23:
	v_mul_lo_u32 v0, v16, s8
	v_cmp_lt_f32_e32 vcc_lo, 0, v19
	v_cndmask_b32_e32 v2, 1.0, v19, vcc_lo
	s_delay_alu instid0(VALU_DEP_3) | instskip(NEXT) | instid1(VALU_DEP_1)
	v_ashrrev_i32_e32 v1, 31, v0
	v_lshlrev_b64 v[0:1], 2, v[0:1]
	s_delay_alu instid0(VALU_DEP_1) | instskip(NEXT) | instid1(VALU_DEP_2)
	v_add_co_u32 v0, vcc_lo, s16, v0
	v_add_co_ci_u32_e32 v1, vcc_lo, s17, v1, vcc_lo
	.p2align	6
.LBB298_24:                             ; =>This Inner Loop Header: Depth=1
	global_load_b32 v3, v[0:1], off
	s_add_i32 s8, s8, -1
	s_delay_alu instid0(SALU_CYCLE_1) | instskip(SKIP_3) | instid1(VALU_DEP_2)
	s_cmp_lg_u32 s8, 0
	s_waitcnt vmcnt(0)
	v_div_scale_f32 v4, null, v2, v2, v3
	v_div_scale_f32 v7, vcc_lo, v3, v2, v3
	v_rcp_f32_e32 v5, v4
	s_waitcnt_depctr 0xfff
	v_fma_f32 v6, -v4, v5, 1.0
	s_delay_alu instid0(VALU_DEP_1) | instskip(NEXT) | instid1(VALU_DEP_1)
	v_fmac_f32_e32 v5, v6, v5
	v_mul_f32_e32 v6, v7, v5
	s_delay_alu instid0(VALU_DEP_1) | instskip(NEXT) | instid1(VALU_DEP_1)
	v_fma_f32 v8, -v4, v6, v7
	v_fmac_f32_e32 v6, v8, v5
	s_delay_alu instid0(VALU_DEP_1) | instskip(NEXT) | instid1(VALU_DEP_1)
	v_fma_f32 v4, -v4, v6, v7
	v_div_fmas_f32 v4, v4, v5, v6
	s_delay_alu instid0(VALU_DEP_1)
	v_div_fixup_f32 v3, v4, v2, v3
	global_store_b32 v[0:1], v3, off
	v_add_co_u32 v0, vcc_lo, v0, 4
	v_add_co_ci_u32_e32 v1, vcc_lo, 0, v1, vcc_lo
	s_cbranch_scc1 .LBB298_24
.LBB298_25:
	s_nop 0
	s_sendmsg sendmsg(MSG_DEALLOC_VGPRS)
	s_endpgm
	.section	.rodata,"a",@progbits
	.p2align	6, 0x0
	.amdhsa_kernel _ZN4vllm3moe10topkGatingILi8ELi16ELi4ELi16ELi64El6__halfLNS0_11ScoringFuncE1EEEvPKT5_PKbPfiPT4_PiiiibPKf
		.amdhsa_group_segment_fixed_size 0
		.amdhsa_private_segment_fixed_size 0
		.amdhsa_kernarg_size 72
		.amdhsa_user_sgpr_count 15
		.amdhsa_user_sgpr_dispatch_ptr 0
		.amdhsa_user_sgpr_queue_ptr 0
		.amdhsa_user_sgpr_kernarg_segment_ptr 1
		.amdhsa_user_sgpr_dispatch_id 0
		.amdhsa_user_sgpr_private_segment_size 0
		.amdhsa_wavefront_size32 1
		.amdhsa_uses_dynamic_stack 0
		.amdhsa_enable_private_segment 0
		.amdhsa_system_sgpr_workgroup_id_x 1
		.amdhsa_system_sgpr_workgroup_id_y 0
		.amdhsa_system_sgpr_workgroup_id_z 0
		.amdhsa_system_sgpr_workgroup_info 0
		.amdhsa_system_vgpr_workitem_id 1
		.amdhsa_next_free_vgpr 47
		.amdhsa_next_free_sgpr 20
		.amdhsa_reserve_vcc 1
		.amdhsa_float_round_mode_32 0
		.amdhsa_float_round_mode_16_64 0
		.amdhsa_float_denorm_mode_32 3
		.amdhsa_float_denorm_mode_16_64 3
		.amdhsa_dx10_clamp 1
		.amdhsa_ieee_mode 1
		.amdhsa_fp16_overflow 0
		.amdhsa_workgroup_processor_mode 1
		.amdhsa_memory_ordered 1
		.amdhsa_forward_progress 0
		.amdhsa_shared_vgpr_count 0
		.amdhsa_exception_fp_ieee_invalid_op 0
		.amdhsa_exception_fp_denorm_src 0
		.amdhsa_exception_fp_ieee_div_zero 0
		.amdhsa_exception_fp_ieee_overflow 0
		.amdhsa_exception_fp_ieee_underflow 0
		.amdhsa_exception_fp_ieee_inexact 0
		.amdhsa_exception_int_div_zero 0
	.end_amdhsa_kernel
	.section	.text._ZN4vllm3moe10topkGatingILi8ELi16ELi4ELi16ELi64El6__halfLNS0_11ScoringFuncE1EEEvPKT5_PKbPfiPT4_PiiiibPKf,"axG",@progbits,_ZN4vllm3moe10topkGatingILi8ELi16ELi4ELi16ELi64El6__halfLNS0_11ScoringFuncE1EEEvPKT5_PKbPfiPT4_PiiiibPKf,comdat
.Lfunc_end298:
	.size	_ZN4vllm3moe10topkGatingILi8ELi16ELi4ELi16ELi64El6__halfLNS0_11ScoringFuncE1EEEvPKT5_PKbPfiPT4_PiiiibPKf, .Lfunc_end298-_ZN4vllm3moe10topkGatingILi8ELi16ELi4ELi16ELi64El6__halfLNS0_11ScoringFuncE1EEEvPKT5_PKbPfiPT4_PiiiibPKf
                                        ; -- End function
	.section	.AMDGPU.csdata,"",@progbits
; Kernel info:
; codeLenInByte = 2600
; NumSgprs: 22
; NumVgprs: 47
; ScratchSize: 0
; MemoryBound: 0
; FloatMode: 240
; IeeeMode: 1
; LDSByteSize: 0 bytes/workgroup (compile time only)
; SGPRBlocks: 2
; VGPRBlocks: 5
; NumSGPRsForWavesPerEU: 22
; NumVGPRsForWavesPerEU: 47
; Occupancy: 16
; WaveLimiterHint : 0
; COMPUTE_PGM_RSRC2:SCRATCH_EN: 0
; COMPUTE_PGM_RSRC2:USER_SGPR: 15
; COMPUTE_PGM_RSRC2:TRAP_HANDLER: 0
; COMPUTE_PGM_RSRC2:TGID_X_EN: 1
; COMPUTE_PGM_RSRC2:TGID_Y_EN: 0
; COMPUTE_PGM_RSRC2:TGID_Z_EN: 0
; COMPUTE_PGM_RSRC2:TIDIG_COMP_CNT: 1
	.section	.text._ZN4vllm3moe10topkGatingILi8ELi16ELi4ELi16ELi32El6__halfLNS0_11ScoringFuncE1EEEvPKT5_PKbPfiPT4_PiiiibPKf,"axG",@progbits,_ZN4vllm3moe10topkGatingILi8ELi16ELi4ELi16ELi32El6__halfLNS0_11ScoringFuncE1EEEvPKT5_PKbPfiPT4_PiiiibPKf,comdat
	.protected	_ZN4vllm3moe10topkGatingILi8ELi16ELi4ELi16ELi32El6__halfLNS0_11ScoringFuncE1EEEvPKT5_PKbPfiPT4_PiiiibPKf ; -- Begin function _ZN4vllm3moe10topkGatingILi8ELi16ELi4ELi16ELi32El6__halfLNS0_11ScoringFuncE1EEEvPKT5_PKbPfiPT4_PiiiibPKf
	.globl	_ZN4vllm3moe10topkGatingILi8ELi16ELi4ELi16ELi32El6__halfLNS0_11ScoringFuncE1EEEvPKT5_PKbPfiPT4_PiiiibPKf
	.p2align	8
	.type	_ZN4vllm3moe10topkGatingILi8ELi16ELi4ELi16ELi32El6__halfLNS0_11ScoringFuncE1EEEvPKT5_PKbPfiPT4_PiiiibPKf,@function
_ZN4vllm3moe10topkGatingILi8ELi16ELi4ELi16ELi32El6__halfLNS0_11ScoringFuncE1EEEvPKT5_PKbPfiPT4_PiiiibPKf: ; @_ZN4vllm3moe10topkGatingILi8ELi16ELi4ELi16ELi32El6__halfLNS0_11ScoringFuncE1EEEvPKT5_PKbPfiPT4_PiiiibPKf
; %bb.0:
	s_load_b32 s18, s[0:1], 0x18
	v_bfe_u32 v1, v0, 10, 10
	v_and_b32_e32 v0, 0x3ff, v0
	s_lshl_b32 s2, s15, 6
	s_delay_alu instid0(VALU_DEP_2) | instskip(NEXT) | instid1(VALU_DEP_2)
	v_lshlrev_b32_e32 v1, 4, v1
	v_lshrrev_b32_e32 v2, 1, v0
	s_delay_alu instid0(VALU_DEP_1) | instskip(SKIP_2) | instid1(VALU_DEP_1)
	v_add3_u32 v16, s2, v1, v2
	s_mov_b32 s2, exec_lo
	s_waitcnt lgkmcnt(0)
	v_cmpx_gt_i32_e64 s18, v16
	s_cbranch_execz .LBB299_25
; %bb.1:
	s_clause 0x1
	s_load_b128 s[4:7], s[0:1], 0x0
	s_load_b64 s[16:17], s[0:1], 0x10
	s_mov_b32 s9, -1
	s_mov_b32 s19, -1
	s_waitcnt lgkmcnt(0)
	s_cmp_eq_u64 s[6:7], 0
	s_cbranch_scc1 .LBB299_3
; %bb.2:
	v_ashrrev_i32_e32 v2, 31, v16
	v_add_co_u32 v1, vcc_lo, s6, v16
	s_delay_alu instid0(VALU_DEP_2) | instskip(SKIP_3) | instid1(VALU_DEP_1)
	v_add_co_ci_u32_e32 v2, vcc_lo, s7, v2, vcc_lo
	global_load_u8 v1, v[1:2], off
	s_waitcnt vmcnt(0)
	v_and_b32_e32 v1, 1, v1
	v_cmp_eq_u32_e32 vcc_lo, 1, v1
	s_xor_b32 s2, vcc_lo, -1
	s_delay_alu instid0(SALU_CYCLE_1)
	s_or_not1_b32 s19, s2, exec_lo
.LBB299_3:
	v_lshlrev_b32_e32 v1, 4, v16
	v_and_b32_e32 v17, 1, v0
	s_load_b64 s[10:11], s[0:1], 0x40
	s_delay_alu instid0(VALU_DEP_2) | instskip(NEXT) | instid1(VALU_DEP_1)
	v_ashrrev_i32_e32 v2, 31, v1
	v_lshlrev_b64 v[0:1], 1, v[1:2]
	s_delay_alu instid0(VALU_DEP_3) | instskip(NEXT) | instid1(VALU_DEP_2)
	v_lshlrev_b32_e32 v2, 4, v17
	v_add_co_u32 v0, vcc_lo, s4, v0
	s_delay_alu instid0(VALU_DEP_3) | instskip(NEXT) | instid1(VALU_DEP_2)
	v_add_co_ci_u32_e32 v1, vcc_lo, s5, v1, vcc_lo
	v_add_co_u32 v0, vcc_lo, v0, v2
	s_delay_alu instid0(VALU_DEP_2)
	v_add_co_ci_u32_e32 v1, vcc_lo, 0, v1, vcc_lo
	s_waitcnt lgkmcnt(0)
	s_cmp_eq_u64 s[10:11], 0
	global_load_b128 v[0:3], v[0:1], off
	s_waitcnt vmcnt(0)
	v_cvt_f32_f16_e32 v4, v0
	v_lshrrev_b32_e32 v0, 16, v0
	v_cvt_f32_f16_e32 v5, v1
	v_lshrrev_b32_e32 v1, 16, v1
	;; [unrolled: 2-line block ×4, first 2 shown]
	v_dual_mul_f32 v4, 0xbfb8aa3b, v4 :: v_dual_mul_f32 v5, 0xbfb8aa3b, v5
	v_cvt_f32_f16_e32 v0, v0
	v_cvt_f32_f16_e32 v1, v1
	;; [unrolled: 1-line block ×4, first 2 shown]
	v_dual_mul_f32 v6, 0xbfb8aa3b, v6 :: v_dual_mul_f32 v7, 0xbfb8aa3b, v7
	v_exp_f32_e32 v4, v4
	v_dual_mul_f32 v0, 0xbfb8aa3b, v0 :: v_dual_mul_f32 v1, 0xbfb8aa3b, v1
	v_exp_f32_e32 v5, v5
	s_delay_alu instid0(VALU_DEP_2)
	v_exp_f32_e32 v6, v6
	v_mul_f32_e32 v2, 0xbfb8aa3b, v2
	v_exp_f32_e32 v7, v7
	v_dual_mul_f32 v3, 0xbfb8aa3b, v3 :: v_dual_lshlrev_b32 v18, 3, v17
	v_exp_f32_e32 v0, v0
	v_exp_f32_e32 v1, v1
	;; [unrolled: 1-line block ×3, first 2 shown]
	s_delay_alu instid0(VALU_DEP_1) | instskip(SKIP_2) | instid1(VALU_DEP_2)
	v_exp_f32_e32 v3, v3
	v_dual_add_f32 v4, 1.0, v4 :: v_dual_add_f32 v5, 1.0, v5
	v_dual_add_f32 v6, 1.0, v6 :: v_dual_add_f32 v7, 1.0, v7
	v_div_scale_f32 v8, null, v4, v4, 1.0
	s_delay_alu instid0(TRANS32_DEP_3) | instskip(NEXT) | instid1(VALU_DEP_4)
	v_dual_add_f32 v0, 1.0, v0 :: v_dual_add_f32 v1, 1.0, v1
	v_div_scale_f32 v10, null, v5, v5, 1.0
	s_delay_alu instid0(VALU_DEP_4) | instskip(NEXT) | instid1(TRANS32_DEP_1)
	v_div_scale_f32 v12, null, v6, v6, 1.0
	v_dual_add_f32 v14, 1.0, v2 :: v_dual_add_f32 v19, 1.0, v3
	v_div_scale_f32 v2, null, v7, v7, 1.0
	v_rcp_f32_e32 v3, v8
	v_div_scale_f32 v20, null, v0, v0, 1.0
	v_rcp_f32_e32 v22, v10
	;; [unrolled: 2-line block ×3, first 2 shown]
	v_rcp_f32_e32 v28, v2
	v_div_scale_f32 v29, null, v19, v19, 1.0
	v_rcp_f32_e32 v30, v20
	v_div_scale_f32 v26, null, v14, v14, 1.0
	v_rcp_f32_e32 v32, v23
	v_fma_f32 v34, -v8, v3, 1.0
	v_rcp_f32_e32 v35, v29
	v_div_scale_f32 v9, vcc_lo, 1.0, v4, 1.0
	v_rcp_f32_e32 v33, v26
	v_fma_f32 v36, -v10, v22, 1.0
	v_fma_f32 v37, -v12, v25, 1.0
	;; [unrolled: 1-line block ×3, first 2 shown]
	v_fmac_f32_e32 v3, v34, v3
	v_fma_f32 v34, -v20, v30, 1.0
	v_fmac_f32_e32 v22, v36, v22
	v_div_scale_f32 v11, s2, 1.0, v5, 1.0
	v_fma_f32 v36, -v23, v32, 1.0
	v_dual_fmac_f32 v25, v37, v25 :: v_dual_fmac_f32 v28, v38, v28
	v_fma_f32 v38, -v29, v35, 1.0
	v_dual_mul_f32 v39, v9, v3 :: v_dual_fmac_f32 v30, v34, v30
	v_div_scale_f32 v21, s5, 1.0, v0, 1.0
	v_div_scale_f32 v24, s6, 1.0, v1, 1.0
	v_fma_f32 v37, -v26, v33, 1.0
	v_mul_f32_e32 v34, v11, v22
	v_dual_fmac_f32 v32, v36, v32 :: v_dual_fmac_f32 v35, v38, v35
	v_fma_f32 v38, -v8, v39, v9
	v_mul_f32_e32 v40, v21, v30
	v_div_scale_f32 v13, s3, 1.0, v6, 1.0
	v_div_scale_f32 v15, s4, 1.0, v7, 1.0
	s_delay_alu instid0(VALU_DEP_4)
	v_fmac_f32_e32 v39, v38, v3
	v_fmac_f32_e32 v33, v37, v33
	v_fma_f32 v41, -v10, v34, v11
	v_mul_f32_e32 v42, v24, v32
	v_fma_f32 v38, -v20, v40, v21
	v_div_scale_f32 v27, s7, 1.0, v14, 1.0
	v_dual_mul_f32 v36, v13, v25 :: v_dual_mul_f32 v37, v15, v28
	v_fmac_f32_e32 v34, v41, v22
	v_fma_f32 v41, -v23, v42, v24
	v_fma_f32 v8, -v8, v39, v9
	v_fmac_f32_e32 v40, v38, v30
	v_fma_f32 v43, -v12, v36, v13
	v_fma_f32 v45, -v2, v37, v15
	v_mul_f32_e32 v44, v27, v33
	v_fmac_f32_e32 v42, v41, v32
	v_div_fmas_f32 v3, v8, v3, v39
	v_fma_f32 v8, -v20, v40, v21
	v_fmac_f32_e32 v37, v45, v28
	v_fma_f32 v9, -v10, v34, v11
	v_fmac_f32_e32 v36, v43, v25
	v_fma_f32 v43, -v26, v44, v27
	s_mov_b32 vcc_lo, s5
	v_fma_f32 v11, -v23, v42, v24
	v_div_fixup_f32 v3, v3, v4, 1.0
	v_div_fmas_f32 v4, v8, v30, v40
	s_mov_b32 vcc_lo, s2
	v_fmac_f32_e32 v44, v43, v33
	v_div_fmas_f32 v8, v9, v22, v34
	s_mov_b32 vcc_lo, s6
	v_fma_f32 v10, -v12, v36, v13
	v_div_fmas_f32 v9, v11, v32, v42
	v_cmp_class_f32_e64 vcc_lo, v3, 0x1f8
	v_fma_f32 v12, -v26, v44, v27
	v_div_fixup_f32 v4, v4, v0, 1.0
	v_div_scale_f32 v31, s8, 1.0, v19, 1.0
	v_cndmask_b32_e32 v0, 0, v3, vcc_lo
	s_mov_b32 vcc_lo, s3
	v_fma_f32 v2, -v2, v37, v15
	v_div_fmas_f32 v3, v10, v25, v36
	s_mov_b32 vcc_lo, s7
	v_div_fixup_f32 v5, v8, v5, 1.0
	v_div_fmas_f32 v8, v12, v33, v44
	s_mov_b32 vcc_lo, s4
	v_div_fixup_f32 v9, v9, v1, 1.0
	v_div_fmas_f32 v10, v2, v28, v37
	v_cmp_class_f32_e64 vcc_lo, v4, 0x1f8
	v_mul_f32_e32 v46, v31, v35
	s_delay_alu instid0(VALU_DEP_3) | instskip(SKIP_1) | instid1(VALU_DEP_3)
	v_div_fixup_f32 v7, v10, v7, 1.0
	v_cndmask_b32_e32 v1, 0, v4, vcc_lo
	v_fma_f32 v45, -v29, v46, v31
	s_mov_b32 vcc_lo, s8
	v_div_fixup_f32 v4, v3, v6, 1.0
	s_delay_alu instid0(VALU_DEP_2) | instskip(NEXT) | instid1(VALU_DEP_1)
	v_fmac_f32_e32 v46, v45, v35
	v_fma_f32 v13, -v29, v46, v31
	s_delay_alu instid0(VALU_DEP_1)
	v_div_fmas_f32 v6, v13, v35, v46
	v_cmp_class_f32_e64 vcc_lo, v5, 0x1f8
	v_cndmask_b32_e32 v2, 0, v5, vcc_lo
	v_cmp_class_f32_e64 vcc_lo, v9, 0x1f8
	v_div_fixup_f32 v5, v8, v14, 1.0
	v_div_fixup_f32 v8, v6, v19, 1.0
	v_cndmask_b32_e32 v3, 0, v9, vcc_lo
	v_cmp_class_f32_e64 vcc_lo, v4, 0x1f8
	v_cndmask_b32_e32 v4, 0, v4, vcc_lo
	v_cmp_class_f32_e64 vcc_lo, v5, 0x1f8
	;; [unrolled: 2-line block ×4, first 2 shown]
	v_cndmask_b32_e32 v7, 0, v8, vcc_lo
	s_cbranch_scc1 .LBB299_19
; %bb.4:
	v_lshlrev_b32_e32 v12, 2, v18
	s_clause 0x1
	global_load_b128 v[8:11], v12, s[10:11]
	global_load_b128 v[12:15], v12, s[10:11] offset:16
	s_waitcnt vmcnt(1)
	v_dual_add_f32 v9, v9, v1 :: v_dual_add_f32 v8, v8, v0
	v_dual_add_f32 v11, v11, v3 :: v_dual_add_f32 v10, v10, v2
	s_waitcnt vmcnt(0)
	v_dual_add_f32 v13, v13, v5 :: v_dual_add_f32 v12, v12, v4
	v_dual_add_f32 v15, v15, v7 :: v_dual_add_f32 v14, v14, v6
	s_cbranch_execnz .LBB299_6
.LBB299_5:
	v_dual_mov_b32 v15, v7 :: v_dual_mov_b32 v14, v6
	v_dual_mov_b32 v13, v5 :: v_dual_mov_b32 v12, v4
	;; [unrolled: 1-line block ×4, first 2 shown]
.LBB299_6:
	s_load_b128 s[8:11], s[0:1], 0x30
	v_cmp_eq_u32_e64 s2, 0, v17
	s_mov_b32 s6, 0
	s_waitcnt lgkmcnt(0)
	s_bitcmp1_b32 s11, 0
	s_cselect_b32 vcc_lo, -1, 0
	s_cmp_gt_i32 s8, 0
	s_cselect_b32 s5, -1, 0
	s_cmp_lt_i32 s8, 1
	s_cbranch_scc1 .LBB299_20
; %bb.7:
	v_mbcnt_lo_u32_b32 v19, -1, 0
	s_load_b128 s[12:15], s[0:1], 0x20
	v_mov_b32_e32 v22, v16
	s_delay_alu instid0(VALU_DEP_2) | instskip(SKIP_1) | instid1(VALU_DEP_2)
	v_and_b32_e32 v20, 30, v19
	v_xor_b32_e32 v21, 1, v19
	v_add_nc_u32_e32 v20, 2, v20
	s_delay_alu instid0(VALU_DEP_1) | instskip(SKIP_1) | instid1(VALU_DEP_2)
	v_cmp_lt_i32_e64 s0, v21, v20
	v_mul_lo_u32 v20, v16, s8
	v_cndmask_b32_e64 v21, v19, v21, s0
	v_mov_b32_e32 v19, 0
	s_delay_alu instid0(VALU_DEP_2)
	v_lshlrev_b32_e32 v21, 2, v21
	s_branch .LBB299_10
.LBB299_8:                              ;   in Loop: Header=BB299_10 Depth=1
	s_or_b32 exec_lo, exec_lo, s1
.LBB299_9:                              ;   in Loop: Header=BB299_10 Depth=1
	v_add_nc_u32_e32 v22, s18, v22
	s_cmp_eq_u32 s8, s6
	s_cbranch_scc1 .LBB299_21
.LBB299_10:                             ; =>This Inner Loop Header: Depth=1
	v_cmp_gt_f32_e64 s0, v9, v8
	s_delay_alu instid0(VALU_DEP_1) | instskip(SKIP_2) | instid1(VALU_DEP_3)
	v_cndmask_b32_e64 v24, v8, v9, s0
	v_cndmask_b32_e64 v23, 0, 1, s0
	;; [unrolled: 1-line block ×3, first 2 shown]
	v_cmp_gt_f32_e64 s1, v10, v24
	s_delay_alu instid0(VALU_DEP_1) | instskip(NEXT) | instid1(VALU_DEP_4)
	v_cndmask_b32_e64 v24, v24, v10, s1
	v_cndmask_b32_e64 v23, v23, 2, s1
	s_delay_alu instid0(VALU_DEP_4) | instskip(NEXT) | instid1(VALU_DEP_3)
	v_cndmask_b32_e64 v25, v25, v2, s1
	v_cmp_gt_f32_e64 s3, v11, v24
	s_delay_alu instid0(VALU_DEP_1) | instskip(NEXT) | instid1(VALU_DEP_4)
	v_cndmask_b32_e64 v24, v24, v11, s3
	v_cndmask_b32_e64 v23, v23, 3, s3
	s_delay_alu instid0(VALU_DEP_4) | instskip(NEXT) | instid1(VALU_DEP_3)
	v_cndmask_b32_e64 v25, v25, v3, s3
	v_cmp_gt_f32_e64 s4, v12, v24
	s_delay_alu instid0(VALU_DEP_1) | instskip(NEXT) | instid1(VALU_DEP_4)
	v_cndmask_b32_e64 v24, v24, v12, s4
	v_cndmask_b32_e64 v23, v23, 4, s4
	s_delay_alu instid0(VALU_DEP_4) | instskip(SKIP_1) | instid1(VALU_DEP_3)
	v_cndmask_b32_e64 v25, v25, v4, s4
	s_mov_b32 s4, exec_lo
	v_cmp_gt_f32_e64 s0, v13, v24
	s_delay_alu instid0(VALU_DEP_1) | instskip(SKIP_2) | instid1(VALU_DEP_3)
	v_cndmask_b32_e64 v24, v24, v13, s0
	v_cndmask_b32_e64 v23, v23, 5, s0
	;; [unrolled: 1-line block ×3, first 2 shown]
	v_cmp_gt_f32_e64 s1, v14, v24
	s_delay_alu instid0(VALU_DEP_1) | instskip(NEXT) | instid1(VALU_DEP_4)
	v_cndmask_b32_e64 v24, v24, v14, s1
	v_cndmask_b32_e64 v23, v23, 6, s1
	s_delay_alu instid0(VALU_DEP_4) | instskip(NEXT) | instid1(VALU_DEP_3)
	v_cndmask_b32_e64 v25, v25, v6, s1
	v_cmp_gt_f32_e64 s0, v15, v24
	s_delay_alu instid0(VALU_DEP_1) | instskip(SKIP_1) | instid1(VALU_DEP_4)
	v_cndmask_b32_e64 v23, v23, 7, s0
	v_cndmask_b32_e64 v27, v24, v15, s0
	;; [unrolled: 1-line block ×3, first 2 shown]
	s_delay_alu instid0(VALU_DEP_3)
	v_or_b32_e32 v23, v18, v23
	ds_bpermute_b32 v28, v21, v27
	ds_bpermute_b32 v25, v21, v24
	;; [unrolled: 1-line block ×3, first 2 shown]
	s_waitcnt lgkmcnt(0)
	v_cmp_lt_f32_e64 s3, v27, v28
	v_cmpx_nlt_f32_e32 v27, v28
	s_cbranch_execnz .LBB299_14
; %bb.11:                               ;   in Loop: Header=BB299_10 Depth=1
	s_or_b32 exec_lo, exec_lo, s4
	s_delay_alu instid0(VALU_DEP_2)
	s_and_saveexec_b32 s0, s3
	s_cbranch_execnz .LBB299_15
.LBB299_12:                             ;   in Loop: Header=BB299_10 Depth=1
	s_or_b32 exec_lo, exec_lo, s0
	s_and_saveexec_b32 s3, s2
	s_cbranch_execnz .LBB299_16
.LBB299_13:                             ;   in Loop: Header=BB299_10 Depth=1
	s_or_b32 exec_lo, exec_lo, s3
	s_add_i32 s6, s6, 1
	s_delay_alu instid0(SALU_CYCLE_1)
	s_cmp_ge_i32 s6, s8
	s_cbranch_scc1 .LBB299_9
	s_branch .LBB299_17
.LBB299_14:                             ;   in Loop: Header=BB299_10 Depth=1
	v_cmp_eq_f32_e64 s0, v27, v28
	v_cmp_lt_i32_e64 s1, v26, v23
	s_delay_alu instid0(VALU_DEP_1) | instskip(SKIP_2) | instid1(SALU_CYCLE_1)
	s_and_b32 s0, s0, s1
	s_and_not1_b32 s1, s3, exec_lo
	s_and_b32 s0, s0, exec_lo
	s_or_b32 s3, s1, s0
	s_or_b32 exec_lo, exec_lo, s4
	s_and_saveexec_b32 s0, s3
	s_cbranch_execz .LBB299_12
.LBB299_15:                             ;   in Loop: Header=BB299_10 Depth=1
	v_dual_mov_b32 v23, v26 :: v_dual_mov_b32 v24, v25
	s_or_b32 exec_lo, exec_lo, s0
	s_and_saveexec_b32 s3, s2
	s_cbranch_execz .LBB299_13
.LBB299_16:                             ;   in Loop: Header=BB299_10 Depth=1
	v_add_nc_u32_e32 v25, s6, v20
	v_subrev_nc_u32_e32 v29, s9, v23
	v_cmp_le_i32_e64 s0, s9, v23
	v_cmp_gt_i32_e64 s1, s10, v23
	v_add_f32_e32 v33, v19, v24
	v_ashrrev_i32_e32 v26, 31, v25
	v_ashrrev_i32_e32 v30, 31, v29
	s_delay_alu instid0(VALU_DEP_4) | instskip(NEXT) | instid1(VALU_DEP_3)
	s_and_b32 s0, s0, s1
	v_cndmask_b32_e32 v19, v19, v33, vcc_lo
	s_delay_alu instid0(VALU_DEP_3) | instskip(SKIP_2) | instid1(SALU_CYCLE_1)
	v_lshlrev_b64 v[27:28], 2, v[25:26]
	v_lshlrev_b64 v[25:26], 3, v[25:26]
	s_and_b32 s0, s19, s0
	v_cndmask_b32_e64 v30, 0, v30, s0
	v_cndmask_b32_e64 v29, 16, v29, s0
	s_delay_alu instid0(VALU_DEP_4) | instskip(NEXT) | instid1(VALU_DEP_1)
	v_add_co_u32 v31, s0, s16, v27
	v_add_co_ci_u32_e64 v32, s0, s17, v28, s0
	v_add_co_u32 v25, s0, s12, v25
	s_delay_alu instid0(VALU_DEP_1) | instskip(SKIP_1) | instid1(VALU_DEP_1)
	v_add_co_ci_u32_e64 v26, s0, s13, v26, s0
	v_add_co_u32 v27, s0, s14, v27
	v_add_co_ci_u32_e64 v28, s0, s15, v28, s0
	global_store_b32 v[31:32], v24, off
	global_store_b64 v[25:26], v[29:30], off
	global_store_b32 v[27:28], v22, off
	s_or_b32 exec_lo, exec_lo, s3
	s_add_i32 s6, s6, 1
	s_delay_alu instid0(SALU_CYCLE_1)
	s_cmp_ge_i32 s6, s8
	s_cbranch_scc1 .LBB299_9
.LBB299_17:                             ;   in Loop: Header=BB299_10 Depth=1
	v_ashrrev_i32_e32 v25, 31, v23
	s_mov_b32 s1, exec_lo
	s_delay_alu instid0(VALU_DEP_1) | instskip(NEXT) | instid1(VALU_DEP_1)
	v_lshrrev_b32_e32 v24, 29, v25
	v_add_nc_u32_e32 v26, v23, v24
	s_delay_alu instid0(VALU_DEP_1) | instskip(SKIP_1) | instid1(VALU_DEP_1)
	v_ashrrev_i32_e32 v24, 3, v26
	v_lshrrev_b32_e32 v26, 31, v26
	v_add_nc_u32_e32 v26, v24, v26
	s_delay_alu instid0(VALU_DEP_1) | instskip(NEXT) | instid1(VALU_DEP_1)
	v_and_b32_e32 v26, -2, v26
	v_sub_nc_u32_e32 v26, v24, v26
	s_delay_alu instid0(VALU_DEP_1)
	v_cmpx_eq_u32_e64 v17, v26
	s_cbranch_execz .LBB299_8
; %bb.18:                               ;   in Loop: Header=BB299_10 Depth=1
	v_lshrrev_b32_e32 v25, 28, v25
	v_lshlrev_b32_e32 v24, 3, v24
	s_delay_alu instid0(VALU_DEP_2) | instskip(NEXT) | instid1(VALU_DEP_2)
	v_add_nc_u32_e32 v25, v23, v25
	v_sub_nc_u32_e32 v23, v23, v24
	s_delay_alu instid0(VALU_DEP_2) | instskip(NEXT) | instid1(VALU_DEP_1)
	v_ashrrev_i32_e32 v24, 4, v25
	v_lshl_add_u32 v23, v24, 3, v23
	s_delay_alu instid0(VALU_DEP_1) | instskip(NEXT) | instid1(VALU_DEP_1)
	v_cmp_ne_u32_e64 s0, 7, v23
	v_cndmask_b32_e64 v15, 0xc61c4000, v15, s0
	v_cmp_ne_u32_e64 s0, 6, v23
	s_delay_alu instid0(VALU_DEP_1) | instskip(SKIP_1) | instid1(VALU_DEP_1)
	v_cndmask_b32_e64 v14, 0xc61c4000, v14, s0
	v_cmp_ne_u32_e64 s0, 5, v23
	v_cndmask_b32_e64 v13, 0xc61c4000, v13, s0
	v_cmp_ne_u32_e64 s0, 4, v23
	s_delay_alu instid0(VALU_DEP_1) | instskip(SKIP_1) | instid1(VALU_DEP_1)
	v_cndmask_b32_e64 v12, 0xc61c4000, v12, s0
	v_cmp_ne_u32_e64 s0, 3, v23
	v_cndmask_b32_e64 v11, 0xc61c4000, v11, s0
	v_cmp_ne_u32_e64 s0, 2, v23
	s_delay_alu instid0(VALU_DEP_1) | instskip(SKIP_1) | instid1(VALU_DEP_1)
	v_cndmask_b32_e64 v10, 0xc61c4000, v10, s0
	v_cmp_ne_u32_e64 s0, 1, v23
	v_cndmask_b32_e64 v9, 0xc61c4000, v9, s0
	v_cmp_ne_u32_e64 s0, 0, v23
	s_delay_alu instid0(VALU_DEP_1)
	v_cndmask_b32_e64 v8, 0xc61c4000, v8, s0
	s_branch .LBB299_8
.LBB299_19:
                                        ; implicit-def: $vgpr8_vgpr9_vgpr10_vgpr11_vgpr12_vgpr13_vgpr14_vgpr15
	s_and_not1_b32 vcc_lo, exec_lo, s9
	s_cbranch_vccz .LBB299_5
	s_branch .LBB299_6
.LBB299_20:
	v_mov_b32_e32 v19, 0
.LBB299_21:
	v_cmp_eq_u32_e64 s0, 0, v17
	s_delay_alu instid0(VALU_DEP_1) | instskip(NEXT) | instid1(SALU_CYCLE_1)
	s_and_b32 s0, s0, vcc_lo
	s_and_b32 exec_lo, exec_lo, s0
	s_cbranch_execz .LBB299_25
; %bb.22:
	s_and_not1_b32 vcc_lo, exec_lo, s5
	s_cbranch_vccnz .LBB299_25
; %bb.23:
	v_mul_lo_u32 v0, v16, s8
	v_cmp_lt_f32_e32 vcc_lo, 0, v19
	v_cndmask_b32_e32 v2, 1.0, v19, vcc_lo
	s_delay_alu instid0(VALU_DEP_3) | instskip(NEXT) | instid1(VALU_DEP_1)
	v_ashrrev_i32_e32 v1, 31, v0
	v_lshlrev_b64 v[0:1], 2, v[0:1]
	s_delay_alu instid0(VALU_DEP_1) | instskip(NEXT) | instid1(VALU_DEP_2)
	v_add_co_u32 v0, vcc_lo, s16, v0
	v_add_co_ci_u32_e32 v1, vcc_lo, s17, v1, vcc_lo
	.p2align	6
.LBB299_24:                             ; =>This Inner Loop Header: Depth=1
	global_load_b32 v3, v[0:1], off
	s_add_i32 s8, s8, -1
	s_delay_alu instid0(SALU_CYCLE_1) | instskip(SKIP_3) | instid1(VALU_DEP_2)
	s_cmp_lg_u32 s8, 0
	s_waitcnt vmcnt(0)
	v_div_scale_f32 v4, null, v2, v2, v3
	v_div_scale_f32 v7, vcc_lo, v3, v2, v3
	v_rcp_f32_e32 v5, v4
	s_waitcnt_depctr 0xfff
	v_fma_f32 v6, -v4, v5, 1.0
	s_delay_alu instid0(VALU_DEP_1) | instskip(NEXT) | instid1(VALU_DEP_1)
	v_fmac_f32_e32 v5, v6, v5
	v_mul_f32_e32 v6, v7, v5
	s_delay_alu instid0(VALU_DEP_1) | instskip(NEXT) | instid1(VALU_DEP_1)
	v_fma_f32 v8, -v4, v6, v7
	v_fmac_f32_e32 v6, v8, v5
	s_delay_alu instid0(VALU_DEP_1) | instskip(NEXT) | instid1(VALU_DEP_1)
	v_fma_f32 v4, -v4, v6, v7
	v_div_fmas_f32 v4, v4, v5, v6
	s_delay_alu instid0(VALU_DEP_1)
	v_div_fixup_f32 v3, v4, v2, v3
	global_store_b32 v[0:1], v3, off
	v_add_co_u32 v0, vcc_lo, v0, 4
	v_add_co_ci_u32_e32 v1, vcc_lo, 0, v1, vcc_lo
	s_cbranch_scc1 .LBB299_24
.LBB299_25:
	s_nop 0
	s_sendmsg sendmsg(MSG_DEALLOC_VGPRS)
	s_endpgm
	.section	.rodata,"a",@progbits
	.p2align	6, 0x0
	.amdhsa_kernel _ZN4vllm3moe10topkGatingILi8ELi16ELi4ELi16ELi32El6__halfLNS0_11ScoringFuncE1EEEvPKT5_PKbPfiPT4_PiiiibPKf
		.amdhsa_group_segment_fixed_size 0
		.amdhsa_private_segment_fixed_size 0
		.amdhsa_kernarg_size 72
		.amdhsa_user_sgpr_count 15
		.amdhsa_user_sgpr_dispatch_ptr 0
		.amdhsa_user_sgpr_queue_ptr 0
		.amdhsa_user_sgpr_kernarg_segment_ptr 1
		.amdhsa_user_sgpr_dispatch_id 0
		.amdhsa_user_sgpr_private_segment_size 0
		.amdhsa_wavefront_size32 1
		.amdhsa_uses_dynamic_stack 0
		.amdhsa_enable_private_segment 0
		.amdhsa_system_sgpr_workgroup_id_x 1
		.amdhsa_system_sgpr_workgroup_id_y 0
		.amdhsa_system_sgpr_workgroup_id_z 0
		.amdhsa_system_sgpr_workgroup_info 0
		.amdhsa_system_vgpr_workitem_id 1
		.amdhsa_next_free_vgpr 47
		.amdhsa_next_free_sgpr 20
		.amdhsa_reserve_vcc 1
		.amdhsa_float_round_mode_32 0
		.amdhsa_float_round_mode_16_64 0
		.amdhsa_float_denorm_mode_32 3
		.amdhsa_float_denorm_mode_16_64 3
		.amdhsa_dx10_clamp 1
		.amdhsa_ieee_mode 1
		.amdhsa_fp16_overflow 0
		.amdhsa_workgroup_processor_mode 1
		.amdhsa_memory_ordered 1
		.amdhsa_forward_progress 0
		.amdhsa_shared_vgpr_count 0
		.amdhsa_exception_fp_ieee_invalid_op 0
		.amdhsa_exception_fp_denorm_src 0
		.amdhsa_exception_fp_ieee_div_zero 0
		.amdhsa_exception_fp_ieee_overflow 0
		.amdhsa_exception_fp_ieee_underflow 0
		.amdhsa_exception_fp_ieee_inexact 0
		.amdhsa_exception_int_div_zero 0
	.end_amdhsa_kernel
	.section	.text._ZN4vllm3moe10topkGatingILi8ELi16ELi4ELi16ELi32El6__halfLNS0_11ScoringFuncE1EEEvPKT5_PKbPfiPT4_PiiiibPKf,"axG",@progbits,_ZN4vllm3moe10topkGatingILi8ELi16ELi4ELi16ELi32El6__halfLNS0_11ScoringFuncE1EEEvPKT5_PKbPfiPT4_PiiiibPKf,comdat
.Lfunc_end299:
	.size	_ZN4vllm3moe10topkGatingILi8ELi16ELi4ELi16ELi32El6__halfLNS0_11ScoringFuncE1EEEvPKT5_PKbPfiPT4_PiiiibPKf, .Lfunc_end299-_ZN4vllm3moe10topkGatingILi8ELi16ELi4ELi16ELi32El6__halfLNS0_11ScoringFuncE1EEEvPKT5_PKbPfiPT4_PiiiibPKf
                                        ; -- End function
	.section	.AMDGPU.csdata,"",@progbits
; Kernel info:
; codeLenInByte = 2600
; NumSgprs: 22
; NumVgprs: 47
; ScratchSize: 0
; MemoryBound: 0
; FloatMode: 240
; IeeeMode: 1
; LDSByteSize: 0 bytes/workgroup (compile time only)
; SGPRBlocks: 2
; VGPRBlocks: 5
; NumSGPRsForWavesPerEU: 22
; NumVGPRsForWavesPerEU: 47
; Occupancy: 16
; WaveLimiterHint : 0
; COMPUTE_PGM_RSRC2:SCRATCH_EN: 0
; COMPUTE_PGM_RSRC2:USER_SGPR: 15
; COMPUTE_PGM_RSRC2:TRAP_HANDLER: 0
; COMPUTE_PGM_RSRC2:TGID_X_EN: 1
; COMPUTE_PGM_RSRC2:TGID_Y_EN: 0
; COMPUTE_PGM_RSRC2:TGID_Z_EN: 0
; COMPUTE_PGM_RSRC2:TIDIG_COMP_CNT: 1
	.section	.text._ZN4vllm3moe10topkGatingILi8ELi32ELi4ELi16ELi64El6__halfLNS0_11ScoringFuncE1EEEvPKT5_PKbPfiPT4_PiiiibPKf,"axG",@progbits,_ZN4vllm3moe10topkGatingILi8ELi32ELi4ELi16ELi64El6__halfLNS0_11ScoringFuncE1EEEvPKT5_PKbPfiPT4_PiiiibPKf,comdat
	.protected	_ZN4vllm3moe10topkGatingILi8ELi32ELi4ELi16ELi64El6__halfLNS0_11ScoringFuncE1EEEvPKT5_PKbPfiPT4_PiiiibPKf ; -- Begin function _ZN4vllm3moe10topkGatingILi8ELi32ELi4ELi16ELi64El6__halfLNS0_11ScoringFuncE1EEEvPKT5_PKbPfiPT4_PiiiibPKf
	.globl	_ZN4vllm3moe10topkGatingILi8ELi32ELi4ELi16ELi64El6__halfLNS0_11ScoringFuncE1EEEvPKT5_PKbPfiPT4_PiiiibPKf
	.p2align	8
	.type	_ZN4vllm3moe10topkGatingILi8ELi32ELi4ELi16ELi64El6__halfLNS0_11ScoringFuncE1EEEvPKT5_PKbPfiPT4_PiiiibPKf,@function
_ZN4vllm3moe10topkGatingILi8ELi32ELi4ELi16ELi64El6__halfLNS0_11ScoringFuncE1EEEvPKT5_PKbPfiPT4_PiiiibPKf: ; @_ZN4vllm3moe10topkGatingILi8ELi32ELi4ELi16ELi64El6__halfLNS0_11ScoringFuncE1EEEvPKT5_PKbPfiPT4_PiiiibPKf
; %bb.0:
	s_load_b32 s18, s[0:1], 0x18
	v_bfe_u32 v1, v0, 10, 10
	v_and_b32_e32 v0, 0x3ff, v0
	s_lshl_b32 s2, s15, 6
	s_delay_alu instid0(VALU_DEP_2) | instskip(NEXT) | instid1(VALU_DEP_2)
	v_lshlrev_b32_e32 v1, 4, v1
	v_lshrrev_b32_e32 v2, 2, v0
	s_delay_alu instid0(VALU_DEP_1) | instskip(SKIP_2) | instid1(VALU_DEP_1)
	v_add3_u32 v16, s2, v1, v2
	s_mov_b32 s2, exec_lo
	s_waitcnt lgkmcnt(0)
	v_cmpx_gt_i32_e64 s18, v16
	s_cbranch_execz .LBB300_29
; %bb.1:
	s_clause 0x1
	s_load_b128 s[4:7], s[0:1], 0x0
	s_load_b64 s[16:17], s[0:1], 0x10
	s_mov_b32 s9, -1
	s_mov_b32 s19, -1
	s_waitcnt lgkmcnt(0)
	s_cmp_eq_u64 s[6:7], 0
	s_cbranch_scc1 .LBB300_3
; %bb.2:
	v_ashrrev_i32_e32 v2, 31, v16
	v_add_co_u32 v1, vcc_lo, s6, v16
	s_delay_alu instid0(VALU_DEP_2) | instskip(SKIP_3) | instid1(VALU_DEP_1)
	v_add_co_ci_u32_e32 v2, vcc_lo, s7, v2, vcc_lo
	global_load_u8 v1, v[1:2], off
	s_waitcnt vmcnt(0)
	v_and_b32_e32 v1, 1, v1
	v_cmp_eq_u32_e32 vcc_lo, 1, v1
	s_xor_b32 s2, vcc_lo, -1
	s_delay_alu instid0(SALU_CYCLE_1)
	s_or_not1_b32 s19, s2, exec_lo
.LBB300_3:
	v_lshlrev_b32_e32 v1, 5, v16
	v_and_b32_e32 v17, 3, v0
	s_load_b64 s[10:11], s[0:1], 0x40
	s_delay_alu instid0(VALU_DEP_2) | instskip(NEXT) | instid1(VALU_DEP_1)
	v_ashrrev_i32_e32 v2, 31, v1
	v_lshlrev_b64 v[0:1], 1, v[1:2]
	s_delay_alu instid0(VALU_DEP_3) | instskip(NEXT) | instid1(VALU_DEP_2)
	v_lshlrev_b32_e32 v2, 4, v17
	v_add_co_u32 v0, vcc_lo, s4, v0
	s_delay_alu instid0(VALU_DEP_3) | instskip(NEXT) | instid1(VALU_DEP_2)
	v_add_co_ci_u32_e32 v1, vcc_lo, s5, v1, vcc_lo
	v_add_co_u32 v0, vcc_lo, v0, v2
	s_delay_alu instid0(VALU_DEP_2)
	v_add_co_ci_u32_e32 v1, vcc_lo, 0, v1, vcc_lo
	s_waitcnt lgkmcnt(0)
	s_cmp_eq_u64 s[10:11], 0
	global_load_b128 v[0:3], v[0:1], off
	s_waitcnt vmcnt(0)
	v_cvt_f32_f16_e32 v4, v0
	v_lshrrev_b32_e32 v0, 16, v0
	v_cvt_f32_f16_e32 v5, v1
	v_lshrrev_b32_e32 v1, 16, v1
	v_cvt_f32_f16_e32 v6, v2
	v_lshrrev_b32_e32 v2, 16, v2
	v_cvt_f32_f16_e32 v7, v3
	v_lshrrev_b32_e32 v3, 16, v3
	v_dual_mul_f32 v4, 0xbfb8aa3b, v4 :: v_dual_mul_f32 v5, 0xbfb8aa3b, v5
	v_cvt_f32_f16_e32 v0, v0
	v_cvt_f32_f16_e32 v1, v1
	;; [unrolled: 1-line block ×4, first 2 shown]
	v_dual_mul_f32 v6, 0xbfb8aa3b, v6 :: v_dual_mul_f32 v7, 0xbfb8aa3b, v7
	v_exp_f32_e32 v4, v4
	v_dual_mul_f32 v0, 0xbfb8aa3b, v0 :: v_dual_mul_f32 v1, 0xbfb8aa3b, v1
	v_exp_f32_e32 v5, v5
	s_delay_alu instid0(VALU_DEP_2)
	v_exp_f32_e32 v6, v6
	v_mul_f32_e32 v2, 0xbfb8aa3b, v2
	v_exp_f32_e32 v7, v7
	v_dual_mul_f32 v3, 0xbfb8aa3b, v3 :: v_dual_lshlrev_b32 v18, 3, v17
	v_exp_f32_e32 v0, v0
	v_exp_f32_e32 v1, v1
	;; [unrolled: 1-line block ×3, first 2 shown]
	s_delay_alu instid0(VALU_DEP_1) | instskip(SKIP_2) | instid1(VALU_DEP_2)
	v_exp_f32_e32 v3, v3
	v_dual_add_f32 v4, 1.0, v4 :: v_dual_add_f32 v5, 1.0, v5
	v_dual_add_f32 v6, 1.0, v6 :: v_dual_add_f32 v7, 1.0, v7
	v_div_scale_f32 v8, null, v4, v4, 1.0
	s_delay_alu instid0(TRANS32_DEP_3) | instskip(NEXT) | instid1(VALU_DEP_4)
	v_dual_add_f32 v0, 1.0, v0 :: v_dual_add_f32 v1, 1.0, v1
	v_div_scale_f32 v10, null, v5, v5, 1.0
	s_delay_alu instid0(VALU_DEP_4) | instskip(NEXT) | instid1(TRANS32_DEP_1)
	v_div_scale_f32 v12, null, v6, v6, 1.0
	v_dual_add_f32 v14, 1.0, v2 :: v_dual_add_f32 v19, 1.0, v3
	v_div_scale_f32 v2, null, v7, v7, 1.0
	v_rcp_f32_e32 v3, v8
	v_div_scale_f32 v20, null, v0, v0, 1.0
	v_rcp_f32_e32 v22, v10
	;; [unrolled: 2-line block ×3, first 2 shown]
	v_rcp_f32_e32 v28, v2
	v_div_scale_f32 v29, null, v19, v19, 1.0
	v_rcp_f32_e32 v30, v20
	v_div_scale_f32 v26, null, v14, v14, 1.0
	v_rcp_f32_e32 v32, v23
	v_fma_f32 v34, -v8, v3, 1.0
	v_rcp_f32_e32 v35, v29
	v_div_scale_f32 v9, vcc_lo, 1.0, v4, 1.0
	v_rcp_f32_e32 v33, v26
	v_fma_f32 v36, -v10, v22, 1.0
	v_fma_f32 v37, -v12, v25, 1.0
	;; [unrolled: 1-line block ×3, first 2 shown]
	v_fmac_f32_e32 v3, v34, v3
	v_fma_f32 v34, -v20, v30, 1.0
	v_fmac_f32_e32 v22, v36, v22
	v_div_scale_f32 v11, s2, 1.0, v5, 1.0
	v_fma_f32 v36, -v23, v32, 1.0
	v_dual_fmac_f32 v25, v37, v25 :: v_dual_fmac_f32 v28, v38, v28
	v_fma_f32 v38, -v29, v35, 1.0
	v_dual_mul_f32 v39, v9, v3 :: v_dual_fmac_f32 v30, v34, v30
	v_div_scale_f32 v21, s5, 1.0, v0, 1.0
	v_div_scale_f32 v24, s6, 1.0, v1, 1.0
	v_fma_f32 v37, -v26, v33, 1.0
	v_mul_f32_e32 v34, v11, v22
	v_dual_fmac_f32 v32, v36, v32 :: v_dual_fmac_f32 v35, v38, v35
	v_fma_f32 v38, -v8, v39, v9
	v_mul_f32_e32 v40, v21, v30
	v_div_scale_f32 v13, s3, 1.0, v6, 1.0
	v_div_scale_f32 v15, s4, 1.0, v7, 1.0
	s_delay_alu instid0(VALU_DEP_4)
	v_fmac_f32_e32 v39, v38, v3
	v_fmac_f32_e32 v33, v37, v33
	v_fma_f32 v41, -v10, v34, v11
	v_mul_f32_e32 v42, v24, v32
	v_fma_f32 v38, -v20, v40, v21
	v_div_scale_f32 v27, s7, 1.0, v14, 1.0
	v_dual_mul_f32 v36, v13, v25 :: v_dual_mul_f32 v37, v15, v28
	v_fmac_f32_e32 v34, v41, v22
	v_fma_f32 v41, -v23, v42, v24
	v_fma_f32 v8, -v8, v39, v9
	v_fmac_f32_e32 v40, v38, v30
	v_fma_f32 v43, -v12, v36, v13
	v_fma_f32 v45, -v2, v37, v15
	v_mul_f32_e32 v44, v27, v33
	v_fmac_f32_e32 v42, v41, v32
	v_div_fmas_f32 v3, v8, v3, v39
	v_fma_f32 v8, -v20, v40, v21
	v_fmac_f32_e32 v37, v45, v28
	v_fma_f32 v9, -v10, v34, v11
	v_fmac_f32_e32 v36, v43, v25
	v_fma_f32 v43, -v26, v44, v27
	s_mov_b32 vcc_lo, s5
	v_fma_f32 v11, -v23, v42, v24
	v_div_fixup_f32 v3, v3, v4, 1.0
	v_div_fmas_f32 v4, v8, v30, v40
	s_mov_b32 vcc_lo, s2
	v_fmac_f32_e32 v44, v43, v33
	v_div_fmas_f32 v8, v9, v22, v34
	s_mov_b32 vcc_lo, s6
	v_fma_f32 v10, -v12, v36, v13
	v_div_fmas_f32 v9, v11, v32, v42
	v_cmp_class_f32_e64 vcc_lo, v3, 0x1f8
	v_fma_f32 v12, -v26, v44, v27
	v_div_fixup_f32 v4, v4, v0, 1.0
	v_div_scale_f32 v31, s8, 1.0, v19, 1.0
	v_cndmask_b32_e32 v0, 0, v3, vcc_lo
	s_mov_b32 vcc_lo, s3
	v_fma_f32 v2, -v2, v37, v15
	v_div_fmas_f32 v3, v10, v25, v36
	s_mov_b32 vcc_lo, s7
	v_div_fixup_f32 v5, v8, v5, 1.0
	v_div_fmas_f32 v8, v12, v33, v44
	s_mov_b32 vcc_lo, s4
	v_div_fixup_f32 v9, v9, v1, 1.0
	v_div_fmas_f32 v10, v2, v28, v37
	v_cmp_class_f32_e64 vcc_lo, v4, 0x1f8
	v_mul_f32_e32 v46, v31, v35
	s_delay_alu instid0(VALU_DEP_3) | instskip(SKIP_1) | instid1(VALU_DEP_3)
	v_div_fixup_f32 v7, v10, v7, 1.0
	v_cndmask_b32_e32 v1, 0, v4, vcc_lo
	v_fma_f32 v45, -v29, v46, v31
	s_mov_b32 vcc_lo, s8
	v_div_fixup_f32 v4, v3, v6, 1.0
	s_delay_alu instid0(VALU_DEP_2) | instskip(NEXT) | instid1(VALU_DEP_1)
	v_fmac_f32_e32 v46, v45, v35
	v_fma_f32 v13, -v29, v46, v31
	s_delay_alu instid0(VALU_DEP_1)
	v_div_fmas_f32 v6, v13, v35, v46
	v_cmp_class_f32_e64 vcc_lo, v5, 0x1f8
	v_cndmask_b32_e32 v2, 0, v5, vcc_lo
	v_cmp_class_f32_e64 vcc_lo, v9, 0x1f8
	v_div_fixup_f32 v5, v8, v14, 1.0
	v_div_fixup_f32 v8, v6, v19, 1.0
	v_cndmask_b32_e32 v3, 0, v9, vcc_lo
	v_cmp_class_f32_e64 vcc_lo, v4, 0x1f8
	v_cndmask_b32_e32 v4, 0, v4, vcc_lo
	v_cmp_class_f32_e64 vcc_lo, v5, 0x1f8
	;; [unrolled: 2-line block ×4, first 2 shown]
	v_cndmask_b32_e32 v7, 0, v8, vcc_lo
	s_cbranch_scc1 .LBB300_23
; %bb.4:
	v_lshlrev_b32_e32 v12, 2, v18
	s_clause 0x1
	global_load_b128 v[8:11], v12, s[10:11]
	global_load_b128 v[12:15], v12, s[10:11] offset:16
	s_waitcnt vmcnt(1)
	v_dual_add_f32 v9, v9, v1 :: v_dual_add_f32 v8, v8, v0
	v_dual_add_f32 v11, v11, v3 :: v_dual_add_f32 v10, v10, v2
	s_waitcnt vmcnt(0)
	v_dual_add_f32 v13, v13, v5 :: v_dual_add_f32 v12, v12, v4
	v_dual_add_f32 v15, v15, v7 :: v_dual_add_f32 v14, v14, v6
	s_cbranch_execnz .LBB300_6
.LBB300_5:
	v_dual_mov_b32 v15, v7 :: v_dual_mov_b32 v14, v6
	v_dual_mov_b32 v13, v5 :: v_dual_mov_b32 v12, v4
	;; [unrolled: 1-line block ×4, first 2 shown]
.LBB300_6:
	s_load_b128 s[8:11], s[0:1], 0x30
	v_cmp_eq_u32_e64 s2, 0, v17
	s_mov_b32 s6, 0
	s_waitcnt lgkmcnt(0)
	s_bitcmp1_b32 s11, 0
	s_cselect_b32 vcc_lo, -1, 0
	s_cmp_gt_i32 s8, 0
	s_cselect_b32 s5, -1, 0
	s_cmp_lt_i32 s8, 1
	s_cbranch_scc1 .LBB300_24
; %bb.7:
	v_mbcnt_lo_u32_b32 v19, -1, 0
	s_load_b128 s[12:15], s[0:1], 0x20
	s_delay_alu instid0(VALU_DEP_1) | instskip(SKIP_2) | instid1(VALU_DEP_3)
	v_dual_mov_b32 v23, v16 :: v_dual_and_b32 v20, 28, v19
	v_xor_b32_e32 v21, 2, v19
	v_xor_b32_e32 v22, 1, v19
	v_add_nc_u32_e32 v20, 4, v20
	s_delay_alu instid0(VALU_DEP_1) | instskip(NEXT) | instid1(VALU_DEP_1)
	v_cmp_lt_i32_e64 s0, v21, v20
	v_cndmask_b32_e64 v21, v19, v21, s0
	s_delay_alu instid0(VALU_DEP_4) | instskip(SKIP_1) | instid1(VALU_DEP_3)
	v_cmp_lt_i32_e64 s0, v22, v20
	v_mul_lo_u32 v20, v16, s8
	v_lshlrev_b32_e32 v21, 2, v21
	s_delay_alu instid0(VALU_DEP_3) | instskip(NEXT) | instid1(VALU_DEP_1)
	v_cndmask_b32_e64 v22, v19, v22, s0
	v_dual_mov_b32 v19, 0 :: v_dual_lshlrev_b32 v22, 2, v22
	s_branch .LBB300_10
.LBB300_8:                              ;   in Loop: Header=BB300_10 Depth=1
	s_or_b32 exec_lo, exec_lo, s1
.LBB300_9:                              ;   in Loop: Header=BB300_10 Depth=1
	v_add_nc_u32_e32 v23, s18, v23
	s_cmp_eq_u32 s8, s6
	s_cbranch_scc1 .LBB300_25
.LBB300_10:                             ; =>This Inner Loop Header: Depth=1
	v_cmp_gt_f32_e64 s0, v9, v8
	s_delay_alu instid0(VALU_DEP_1) | instskip(SKIP_2) | instid1(VALU_DEP_3)
	v_cndmask_b32_e64 v25, v8, v9, s0
	v_cndmask_b32_e64 v24, 0, 1, s0
	;; [unrolled: 1-line block ×3, first 2 shown]
	v_cmp_gt_f32_e64 s1, v10, v25
	s_delay_alu instid0(VALU_DEP_1) | instskip(NEXT) | instid1(VALU_DEP_4)
	v_cndmask_b32_e64 v25, v25, v10, s1
	v_cndmask_b32_e64 v24, v24, 2, s1
	s_delay_alu instid0(VALU_DEP_4) | instskip(NEXT) | instid1(VALU_DEP_3)
	v_cndmask_b32_e64 v26, v26, v2, s1
	v_cmp_gt_f32_e64 s3, v11, v25
	s_delay_alu instid0(VALU_DEP_1) | instskip(NEXT) | instid1(VALU_DEP_4)
	v_cndmask_b32_e64 v25, v25, v11, s3
	v_cndmask_b32_e64 v24, v24, 3, s3
	s_delay_alu instid0(VALU_DEP_4) | instskip(NEXT) | instid1(VALU_DEP_3)
	v_cndmask_b32_e64 v26, v26, v3, s3
	v_cmp_gt_f32_e64 s4, v12, v25
	s_delay_alu instid0(VALU_DEP_1) | instskip(NEXT) | instid1(VALU_DEP_4)
	v_cndmask_b32_e64 v25, v25, v12, s4
	v_cndmask_b32_e64 v24, v24, 4, s4
	s_delay_alu instid0(VALU_DEP_4) | instskip(SKIP_1) | instid1(VALU_DEP_3)
	v_cndmask_b32_e64 v26, v26, v4, s4
	s_mov_b32 s4, exec_lo
	v_cmp_gt_f32_e64 s0, v13, v25
	s_delay_alu instid0(VALU_DEP_1) | instskip(SKIP_2) | instid1(VALU_DEP_3)
	v_cndmask_b32_e64 v25, v25, v13, s0
	v_cndmask_b32_e64 v24, v24, 5, s0
	;; [unrolled: 1-line block ×3, first 2 shown]
	v_cmp_gt_f32_e64 s1, v14, v25
	s_delay_alu instid0(VALU_DEP_1) | instskip(NEXT) | instid1(VALU_DEP_4)
	v_cndmask_b32_e64 v25, v25, v14, s1
	v_cndmask_b32_e64 v24, v24, 6, s1
	s_waitcnt lgkmcnt(0)
	v_cndmask_b32_e64 v27, v26, v6, s1
	s_delay_alu instid0(VALU_DEP_3) | instskip(NEXT) | instid1(VALU_DEP_1)
	v_cmp_gt_f32_e64 s0, v15, v25
	v_cndmask_b32_e64 v24, v24, 7, s0
	v_cndmask_b32_e64 v26, v25, v15, s0
	s_delay_alu instid0(VALU_DEP_4) | instskip(NEXT) | instid1(VALU_DEP_3)
	v_cndmask_b32_e64 v25, v27, v7, s0
	v_or_b32_e32 v24, v18, v24
	ds_bpermute_b32 v27, v21, v26
	ds_bpermute_b32 v29, v21, v25
	;; [unrolled: 1-line block ×3, first 2 shown]
	s_waitcnt lgkmcnt(0)
	v_cmp_lt_f32_e64 s3, v26, v27
	v_cmpx_nlt_f32_e32 v26, v27
; %bb.11:                               ;   in Loop: Header=BB300_10 Depth=1
	v_cmp_eq_f32_e64 s0, v26, v27
	v_cmp_lt_i32_e64 s1, v28, v24
	s_delay_alu instid0(VALU_DEP_1) | instskip(SKIP_2) | instid1(SALU_CYCLE_1)
	s_and_b32 s0, s0, s1
	s_and_not1_b32 s1, s3, exec_lo
	s_and_b32 s0, s0, exec_lo
	s_or_b32 s3, s1, s0
; %bb.12:                               ;   in Loop: Header=BB300_10 Depth=1
	s_or_b32 exec_lo, exec_lo, s4
	s_and_saveexec_b32 s0, s3
; %bb.13:                               ;   in Loop: Header=BB300_10 Depth=1
	v_dual_mov_b32 v25, v29 :: v_dual_mov_b32 v26, v27
	v_mov_b32_e32 v24, v28
; %bb.14:                               ;   in Loop: Header=BB300_10 Depth=1
	s_or_b32 exec_lo, exec_lo, s0
	ds_bpermute_b32 v29, v22, v26
	ds_bpermute_b32 v27, v22, v25
	;; [unrolled: 1-line block ×3, first 2 shown]
	s_mov_b32 s4, exec_lo
	s_waitcnt lgkmcnt(2)
	v_cmp_lt_f32_e64 s3, v26, v29
	v_cmpx_nlt_f32_e32 v26, v29
	s_cbranch_execnz .LBB300_18
; %bb.15:                               ;   in Loop: Header=BB300_10 Depth=1
	s_or_b32 exec_lo, exec_lo, s4
	s_delay_alu instid0(VALU_DEP_2)
	s_and_saveexec_b32 s0, s3
	s_cbranch_execnz .LBB300_19
.LBB300_16:                             ;   in Loop: Header=BB300_10 Depth=1
	s_or_b32 exec_lo, exec_lo, s0
	s_and_saveexec_b32 s3, s2
	s_cbranch_execnz .LBB300_20
.LBB300_17:                             ;   in Loop: Header=BB300_10 Depth=1
	s_or_b32 exec_lo, exec_lo, s3
	s_add_i32 s6, s6, 1
	s_delay_alu instid0(SALU_CYCLE_1)
	s_cmp_ge_i32 s6, s8
	s_cbranch_scc1 .LBB300_9
	s_branch .LBB300_21
.LBB300_18:                             ;   in Loop: Header=BB300_10 Depth=1
	v_cmp_eq_f32_e64 s0, v26, v29
	s_waitcnt lgkmcnt(0)
	v_cmp_lt_i32_e64 s1, v28, v24
	s_delay_alu instid0(VALU_DEP_1) | instskip(SKIP_2) | instid1(SALU_CYCLE_1)
	s_and_b32 s0, s0, s1
	s_and_not1_b32 s1, s3, exec_lo
	s_and_b32 s0, s0, exec_lo
	s_or_b32 s3, s1, s0
	s_or_b32 exec_lo, exec_lo, s4
	s_and_saveexec_b32 s0, s3
	s_cbranch_execz .LBB300_16
.LBB300_19:                             ;   in Loop: Header=BB300_10 Depth=1
	s_waitcnt lgkmcnt(0)
	v_dual_mov_b32 v24, v28 :: v_dual_mov_b32 v25, v27
	s_or_b32 exec_lo, exec_lo, s0
	s_and_saveexec_b32 s3, s2
	s_cbranch_execz .LBB300_17
.LBB300_20:                             ;   in Loop: Header=BB300_10 Depth=1
	s_delay_alu instid0(VALU_DEP_1)
	v_add_f32_e32 v34, v19, v25
	v_add_nc_u32_e32 v26, s6, v20
	v_subrev_nc_u32_e32 v30, s9, v24
	v_cmp_le_i32_e64 s0, s9, v24
	v_cmp_gt_i32_e64 s1, s10, v24
	v_cndmask_b32_e32 v19, v19, v34, vcc_lo
	s_waitcnt lgkmcnt(1)
	v_ashrrev_i32_e32 v27, 31, v26
	v_ashrrev_i32_e32 v31, 31, v30
	s_and_b32 s0, s0, s1
	s_waitcnt lgkmcnt(0)
	s_delay_alu instid0(VALU_DEP_2) | instskip(SKIP_2) | instid1(SALU_CYCLE_1)
	v_lshlrev_b64 v[28:29], 2, v[26:27]
	v_lshlrev_b64 v[26:27], 3, v[26:27]
	s_and_b32 s0, s19, s0
	v_cndmask_b32_e64 v31, 0, v31, s0
	v_cndmask_b32_e64 v30, 32, v30, s0
	s_delay_alu instid0(VALU_DEP_4) | instskip(NEXT) | instid1(VALU_DEP_1)
	v_add_co_u32 v32, s0, s16, v28
	v_add_co_ci_u32_e64 v33, s0, s17, v29, s0
	v_add_co_u32 v26, s0, s12, v26
	s_delay_alu instid0(VALU_DEP_1) | instskip(SKIP_1) | instid1(VALU_DEP_1)
	v_add_co_ci_u32_e64 v27, s0, s13, v27, s0
	v_add_co_u32 v28, s0, s14, v28
	v_add_co_ci_u32_e64 v29, s0, s15, v29, s0
	global_store_b32 v[32:33], v25, off
	global_store_b64 v[26:27], v[30:31], off
	global_store_b32 v[28:29], v23, off
	s_or_b32 exec_lo, exec_lo, s3
	s_add_i32 s6, s6, 1
	s_delay_alu instid0(SALU_CYCLE_1)
	s_cmp_ge_i32 s6, s8
	s_cbranch_scc1 .LBB300_9
.LBB300_21:                             ;   in Loop: Header=BB300_10 Depth=1
	v_ashrrev_i32_e32 v26, 31, v24
	s_mov_b32 s1, exec_lo
	s_delay_alu instid0(VALU_DEP_1) | instskip(NEXT) | instid1(VALU_DEP_1)
	v_lshrrev_b32_e32 v25, 29, v26
	v_add_nc_u32_e32 v25, v24, v25
	s_delay_alu instid0(VALU_DEP_1) | instskip(SKIP_1) | instid1(VALU_DEP_1)
	v_ashrrev_i32_e32 v25, 3, v25
	s_waitcnt lgkmcnt(1)
	v_lshrrev_b32_e32 v27, 30, v25
	s_delay_alu instid0(VALU_DEP_1) | instskip(NEXT) | instid1(VALU_DEP_1)
	v_add_nc_u32_e32 v27, v25, v27
	v_and_b32_e32 v27, -4, v27
	s_delay_alu instid0(VALU_DEP_1) | instskip(NEXT) | instid1(VALU_DEP_1)
	v_sub_nc_u32_e32 v27, v25, v27
	v_cmpx_eq_u32_e64 v17, v27
	s_cbranch_execz .LBB300_8
; %bb.22:                               ;   in Loop: Header=BB300_10 Depth=1
	v_lshrrev_b32_e32 v26, 27, v26
	v_lshlrev_b32_e32 v25, 3, v25
	s_delay_alu instid0(VALU_DEP_2) | instskip(NEXT) | instid1(VALU_DEP_2)
	v_add_nc_u32_e32 v26, v24, v26
	v_sub_nc_u32_e32 v24, v24, v25
	s_delay_alu instid0(VALU_DEP_2) | instskip(NEXT) | instid1(VALU_DEP_1)
	v_ashrrev_i32_e32 v25, 5, v26
	v_lshl_add_u32 v24, v25, 3, v24
	s_delay_alu instid0(VALU_DEP_1) | instskip(NEXT) | instid1(VALU_DEP_1)
	v_cmp_ne_u32_e64 s0, 7, v24
	v_cndmask_b32_e64 v15, 0xc61c4000, v15, s0
	v_cmp_ne_u32_e64 s0, 6, v24
	s_delay_alu instid0(VALU_DEP_1) | instskip(SKIP_1) | instid1(VALU_DEP_1)
	v_cndmask_b32_e64 v14, 0xc61c4000, v14, s0
	v_cmp_ne_u32_e64 s0, 5, v24
	v_cndmask_b32_e64 v13, 0xc61c4000, v13, s0
	v_cmp_ne_u32_e64 s0, 4, v24
	s_delay_alu instid0(VALU_DEP_1) | instskip(SKIP_1) | instid1(VALU_DEP_1)
	v_cndmask_b32_e64 v12, 0xc61c4000, v12, s0
	;; [unrolled: 5-line block ×3, first 2 shown]
	v_cmp_ne_u32_e64 s0, 1, v24
	v_cndmask_b32_e64 v9, 0xc61c4000, v9, s0
	v_cmp_ne_u32_e64 s0, 0, v24
	s_delay_alu instid0(VALU_DEP_1)
	v_cndmask_b32_e64 v8, 0xc61c4000, v8, s0
	s_branch .LBB300_8
.LBB300_23:
                                        ; implicit-def: $vgpr8_vgpr9_vgpr10_vgpr11_vgpr12_vgpr13_vgpr14_vgpr15
	s_and_not1_b32 vcc_lo, exec_lo, s9
	s_cbranch_vccz .LBB300_5
	s_branch .LBB300_6
.LBB300_24:
	v_mov_b32_e32 v19, 0
.LBB300_25:
	v_cmp_eq_u32_e64 s0, 0, v17
	s_delay_alu instid0(VALU_DEP_1) | instskip(NEXT) | instid1(SALU_CYCLE_1)
	s_and_b32 s0, s0, vcc_lo
	s_and_b32 exec_lo, exec_lo, s0
	s_cbranch_execz .LBB300_29
; %bb.26:
	s_and_not1_b32 vcc_lo, exec_lo, s5
	s_cbranch_vccnz .LBB300_29
; %bb.27:
	v_mul_lo_u32 v0, v16, s8
	v_cmp_lt_f32_e32 vcc_lo, 0, v19
	v_cndmask_b32_e32 v2, 1.0, v19, vcc_lo
	s_delay_alu instid0(VALU_DEP_3) | instskip(NEXT) | instid1(VALU_DEP_1)
	v_ashrrev_i32_e32 v1, 31, v0
	v_lshlrev_b64 v[0:1], 2, v[0:1]
	s_delay_alu instid0(VALU_DEP_1) | instskip(NEXT) | instid1(VALU_DEP_2)
	v_add_co_u32 v0, vcc_lo, s16, v0
	v_add_co_ci_u32_e32 v1, vcc_lo, s17, v1, vcc_lo
	.p2align	6
.LBB300_28:                             ; =>This Inner Loop Header: Depth=1
	global_load_b32 v3, v[0:1], off
	s_add_i32 s8, s8, -1
	s_delay_alu instid0(SALU_CYCLE_1) | instskip(SKIP_3) | instid1(VALU_DEP_2)
	s_cmp_lg_u32 s8, 0
	s_waitcnt vmcnt(0)
	v_div_scale_f32 v4, null, v2, v2, v3
	v_div_scale_f32 v7, vcc_lo, v3, v2, v3
	v_rcp_f32_e32 v5, v4
	s_waitcnt_depctr 0xfff
	v_fma_f32 v6, -v4, v5, 1.0
	s_delay_alu instid0(VALU_DEP_1) | instskip(NEXT) | instid1(VALU_DEP_1)
	v_fmac_f32_e32 v5, v6, v5
	v_mul_f32_e32 v6, v7, v5
	s_delay_alu instid0(VALU_DEP_1) | instskip(NEXT) | instid1(VALU_DEP_1)
	v_fma_f32 v8, -v4, v6, v7
	v_fmac_f32_e32 v6, v8, v5
	s_delay_alu instid0(VALU_DEP_1) | instskip(NEXT) | instid1(VALU_DEP_1)
	v_fma_f32 v4, -v4, v6, v7
	v_div_fmas_f32 v4, v4, v5, v6
	s_delay_alu instid0(VALU_DEP_1)
	v_div_fixup_f32 v3, v4, v2, v3
	global_store_b32 v[0:1], v3, off
	v_add_co_u32 v0, vcc_lo, v0, 4
	v_add_co_ci_u32_e32 v1, vcc_lo, 0, v1, vcc_lo
	s_cbranch_scc1 .LBB300_28
.LBB300_29:
	s_nop 0
	s_sendmsg sendmsg(MSG_DEALLOC_VGPRS)
	s_endpgm
	.section	.rodata,"a",@progbits
	.p2align	6, 0x0
	.amdhsa_kernel _ZN4vllm3moe10topkGatingILi8ELi32ELi4ELi16ELi64El6__halfLNS0_11ScoringFuncE1EEEvPKT5_PKbPfiPT4_PiiiibPKf
		.amdhsa_group_segment_fixed_size 0
		.amdhsa_private_segment_fixed_size 0
		.amdhsa_kernarg_size 72
		.amdhsa_user_sgpr_count 15
		.amdhsa_user_sgpr_dispatch_ptr 0
		.amdhsa_user_sgpr_queue_ptr 0
		.amdhsa_user_sgpr_kernarg_segment_ptr 1
		.amdhsa_user_sgpr_dispatch_id 0
		.amdhsa_user_sgpr_private_segment_size 0
		.amdhsa_wavefront_size32 1
		.amdhsa_uses_dynamic_stack 0
		.amdhsa_enable_private_segment 0
		.amdhsa_system_sgpr_workgroup_id_x 1
		.amdhsa_system_sgpr_workgroup_id_y 0
		.amdhsa_system_sgpr_workgroup_id_z 0
		.amdhsa_system_sgpr_workgroup_info 0
		.amdhsa_system_vgpr_workitem_id 1
		.amdhsa_next_free_vgpr 47
		.amdhsa_next_free_sgpr 20
		.amdhsa_reserve_vcc 1
		.amdhsa_float_round_mode_32 0
		.amdhsa_float_round_mode_16_64 0
		.amdhsa_float_denorm_mode_32 3
		.amdhsa_float_denorm_mode_16_64 3
		.amdhsa_dx10_clamp 1
		.amdhsa_ieee_mode 1
		.amdhsa_fp16_overflow 0
		.amdhsa_workgroup_processor_mode 1
		.amdhsa_memory_ordered 1
		.amdhsa_forward_progress 0
		.amdhsa_shared_vgpr_count 0
		.amdhsa_exception_fp_ieee_invalid_op 0
		.amdhsa_exception_fp_denorm_src 0
		.amdhsa_exception_fp_ieee_div_zero 0
		.amdhsa_exception_fp_ieee_overflow 0
		.amdhsa_exception_fp_ieee_underflow 0
		.amdhsa_exception_fp_ieee_inexact 0
		.amdhsa_exception_int_div_zero 0
	.end_amdhsa_kernel
	.section	.text._ZN4vllm3moe10topkGatingILi8ELi32ELi4ELi16ELi64El6__halfLNS0_11ScoringFuncE1EEEvPKT5_PKbPfiPT4_PiiiibPKf,"axG",@progbits,_ZN4vllm3moe10topkGatingILi8ELi32ELi4ELi16ELi64El6__halfLNS0_11ScoringFuncE1EEEvPKT5_PKbPfiPT4_PiiiibPKf,comdat
.Lfunc_end300:
	.size	_ZN4vllm3moe10topkGatingILi8ELi32ELi4ELi16ELi64El6__halfLNS0_11ScoringFuncE1EEEvPKT5_PKbPfiPT4_PiiiibPKf, .Lfunc_end300-_ZN4vllm3moe10topkGatingILi8ELi32ELi4ELi16ELi64El6__halfLNS0_11ScoringFuncE1EEEvPKT5_PKbPfiPT4_PiiiibPKf
                                        ; -- End function
	.section	.AMDGPU.csdata,"",@progbits
; Kernel info:
; codeLenInByte = 2752
; NumSgprs: 22
; NumVgprs: 47
; ScratchSize: 0
; MemoryBound: 0
; FloatMode: 240
; IeeeMode: 1
; LDSByteSize: 0 bytes/workgroup (compile time only)
; SGPRBlocks: 2
; VGPRBlocks: 5
; NumSGPRsForWavesPerEU: 22
; NumVGPRsForWavesPerEU: 47
; Occupancy: 16
; WaveLimiterHint : 0
; COMPUTE_PGM_RSRC2:SCRATCH_EN: 0
; COMPUTE_PGM_RSRC2:USER_SGPR: 15
; COMPUTE_PGM_RSRC2:TRAP_HANDLER: 0
; COMPUTE_PGM_RSRC2:TGID_X_EN: 1
; COMPUTE_PGM_RSRC2:TGID_Y_EN: 0
; COMPUTE_PGM_RSRC2:TGID_Z_EN: 0
; COMPUTE_PGM_RSRC2:TIDIG_COMP_CNT: 1
	.section	.text._ZN4vllm3moe10topkGatingILi8ELi32ELi4ELi16ELi32El6__halfLNS0_11ScoringFuncE1EEEvPKT5_PKbPfiPT4_PiiiibPKf,"axG",@progbits,_ZN4vllm3moe10topkGatingILi8ELi32ELi4ELi16ELi32El6__halfLNS0_11ScoringFuncE1EEEvPKT5_PKbPfiPT4_PiiiibPKf,comdat
	.protected	_ZN4vllm3moe10topkGatingILi8ELi32ELi4ELi16ELi32El6__halfLNS0_11ScoringFuncE1EEEvPKT5_PKbPfiPT4_PiiiibPKf ; -- Begin function _ZN4vllm3moe10topkGatingILi8ELi32ELi4ELi16ELi32El6__halfLNS0_11ScoringFuncE1EEEvPKT5_PKbPfiPT4_PiiiibPKf
	.globl	_ZN4vllm3moe10topkGatingILi8ELi32ELi4ELi16ELi32El6__halfLNS0_11ScoringFuncE1EEEvPKT5_PKbPfiPT4_PiiiibPKf
	.p2align	8
	.type	_ZN4vllm3moe10topkGatingILi8ELi32ELi4ELi16ELi32El6__halfLNS0_11ScoringFuncE1EEEvPKT5_PKbPfiPT4_PiiiibPKf,@function
_ZN4vllm3moe10topkGatingILi8ELi32ELi4ELi16ELi32El6__halfLNS0_11ScoringFuncE1EEEvPKT5_PKbPfiPT4_PiiiibPKf: ; @_ZN4vllm3moe10topkGatingILi8ELi32ELi4ELi16ELi32El6__halfLNS0_11ScoringFuncE1EEEvPKT5_PKbPfiPT4_PiiiibPKf
; %bb.0:
	s_load_b32 s18, s[0:1], 0x18
	v_bfe_u32 v1, v0, 10, 10
	v_and_b32_e32 v0, 0x3ff, v0
	s_lshl_b32 s2, s15, 5
	s_delay_alu instid0(VALU_DEP_2) | instskip(NEXT) | instid1(VALU_DEP_2)
	v_lshlrev_b32_e32 v1, 3, v1
	v_lshrrev_b32_e32 v2, 2, v0
	s_delay_alu instid0(VALU_DEP_1) | instskip(SKIP_2) | instid1(VALU_DEP_1)
	v_add3_u32 v16, s2, v1, v2
	s_mov_b32 s2, exec_lo
	s_waitcnt lgkmcnt(0)
	v_cmpx_gt_i32_e64 s18, v16
	s_cbranch_execz .LBB301_29
; %bb.1:
	s_clause 0x1
	s_load_b128 s[4:7], s[0:1], 0x0
	s_load_b64 s[16:17], s[0:1], 0x10
	s_mov_b32 s9, -1
	s_mov_b32 s19, -1
	s_waitcnt lgkmcnt(0)
	s_cmp_eq_u64 s[6:7], 0
	s_cbranch_scc1 .LBB301_3
; %bb.2:
	v_ashrrev_i32_e32 v2, 31, v16
	v_add_co_u32 v1, vcc_lo, s6, v16
	s_delay_alu instid0(VALU_DEP_2) | instskip(SKIP_3) | instid1(VALU_DEP_1)
	v_add_co_ci_u32_e32 v2, vcc_lo, s7, v2, vcc_lo
	global_load_u8 v1, v[1:2], off
	s_waitcnt vmcnt(0)
	v_and_b32_e32 v1, 1, v1
	v_cmp_eq_u32_e32 vcc_lo, 1, v1
	s_xor_b32 s2, vcc_lo, -1
	s_delay_alu instid0(SALU_CYCLE_1)
	s_or_not1_b32 s19, s2, exec_lo
.LBB301_3:
	v_lshlrev_b32_e32 v1, 5, v16
	v_and_b32_e32 v17, 3, v0
	s_load_b64 s[10:11], s[0:1], 0x40
	s_delay_alu instid0(VALU_DEP_2) | instskip(NEXT) | instid1(VALU_DEP_1)
	v_ashrrev_i32_e32 v2, 31, v1
	v_lshlrev_b64 v[0:1], 1, v[1:2]
	s_delay_alu instid0(VALU_DEP_3) | instskip(NEXT) | instid1(VALU_DEP_2)
	v_lshlrev_b32_e32 v2, 4, v17
	v_add_co_u32 v0, vcc_lo, s4, v0
	s_delay_alu instid0(VALU_DEP_3) | instskip(NEXT) | instid1(VALU_DEP_2)
	v_add_co_ci_u32_e32 v1, vcc_lo, s5, v1, vcc_lo
	v_add_co_u32 v0, vcc_lo, v0, v2
	s_delay_alu instid0(VALU_DEP_2)
	v_add_co_ci_u32_e32 v1, vcc_lo, 0, v1, vcc_lo
	s_waitcnt lgkmcnt(0)
	s_cmp_eq_u64 s[10:11], 0
	global_load_b128 v[0:3], v[0:1], off
	s_waitcnt vmcnt(0)
	v_cvt_f32_f16_e32 v4, v0
	v_lshrrev_b32_e32 v0, 16, v0
	v_cvt_f32_f16_e32 v5, v1
	v_lshrrev_b32_e32 v1, 16, v1
	;; [unrolled: 2-line block ×4, first 2 shown]
	v_dual_mul_f32 v4, 0xbfb8aa3b, v4 :: v_dual_mul_f32 v5, 0xbfb8aa3b, v5
	v_cvt_f32_f16_e32 v0, v0
	v_cvt_f32_f16_e32 v1, v1
	;; [unrolled: 1-line block ×4, first 2 shown]
	v_dual_mul_f32 v6, 0xbfb8aa3b, v6 :: v_dual_mul_f32 v7, 0xbfb8aa3b, v7
	v_exp_f32_e32 v4, v4
	v_dual_mul_f32 v0, 0xbfb8aa3b, v0 :: v_dual_mul_f32 v1, 0xbfb8aa3b, v1
	v_exp_f32_e32 v5, v5
	s_delay_alu instid0(VALU_DEP_2)
	v_exp_f32_e32 v6, v6
	v_mul_f32_e32 v2, 0xbfb8aa3b, v2
	v_exp_f32_e32 v7, v7
	v_dual_mul_f32 v3, 0xbfb8aa3b, v3 :: v_dual_lshlrev_b32 v18, 3, v17
	v_exp_f32_e32 v0, v0
	v_exp_f32_e32 v1, v1
	;; [unrolled: 1-line block ×3, first 2 shown]
	s_delay_alu instid0(VALU_DEP_1) | instskip(SKIP_2) | instid1(VALU_DEP_2)
	v_exp_f32_e32 v3, v3
	v_dual_add_f32 v4, 1.0, v4 :: v_dual_add_f32 v5, 1.0, v5
	v_dual_add_f32 v6, 1.0, v6 :: v_dual_add_f32 v7, 1.0, v7
	v_div_scale_f32 v8, null, v4, v4, 1.0
	s_delay_alu instid0(TRANS32_DEP_3) | instskip(NEXT) | instid1(VALU_DEP_4)
	v_dual_add_f32 v0, 1.0, v0 :: v_dual_add_f32 v1, 1.0, v1
	v_div_scale_f32 v10, null, v5, v5, 1.0
	s_delay_alu instid0(VALU_DEP_4) | instskip(NEXT) | instid1(TRANS32_DEP_1)
	v_div_scale_f32 v12, null, v6, v6, 1.0
	v_dual_add_f32 v14, 1.0, v2 :: v_dual_add_f32 v19, 1.0, v3
	v_div_scale_f32 v2, null, v7, v7, 1.0
	v_rcp_f32_e32 v3, v8
	v_div_scale_f32 v20, null, v0, v0, 1.0
	v_rcp_f32_e32 v22, v10
	;; [unrolled: 2-line block ×3, first 2 shown]
	v_rcp_f32_e32 v28, v2
	v_div_scale_f32 v29, null, v19, v19, 1.0
	v_rcp_f32_e32 v30, v20
	v_div_scale_f32 v26, null, v14, v14, 1.0
	v_rcp_f32_e32 v32, v23
	v_fma_f32 v34, -v8, v3, 1.0
	v_rcp_f32_e32 v35, v29
	v_div_scale_f32 v9, vcc_lo, 1.0, v4, 1.0
	v_rcp_f32_e32 v33, v26
	v_fma_f32 v36, -v10, v22, 1.0
	v_fma_f32 v37, -v12, v25, 1.0
	;; [unrolled: 1-line block ×3, first 2 shown]
	v_fmac_f32_e32 v3, v34, v3
	v_fma_f32 v34, -v20, v30, 1.0
	v_fmac_f32_e32 v22, v36, v22
	v_div_scale_f32 v11, s2, 1.0, v5, 1.0
	v_fma_f32 v36, -v23, v32, 1.0
	v_dual_fmac_f32 v25, v37, v25 :: v_dual_fmac_f32 v28, v38, v28
	v_fma_f32 v38, -v29, v35, 1.0
	v_dual_mul_f32 v39, v9, v3 :: v_dual_fmac_f32 v30, v34, v30
	v_div_scale_f32 v21, s5, 1.0, v0, 1.0
	v_div_scale_f32 v24, s6, 1.0, v1, 1.0
	v_fma_f32 v37, -v26, v33, 1.0
	v_mul_f32_e32 v34, v11, v22
	v_dual_fmac_f32 v32, v36, v32 :: v_dual_fmac_f32 v35, v38, v35
	v_fma_f32 v38, -v8, v39, v9
	v_mul_f32_e32 v40, v21, v30
	v_div_scale_f32 v13, s3, 1.0, v6, 1.0
	v_div_scale_f32 v15, s4, 1.0, v7, 1.0
	s_delay_alu instid0(VALU_DEP_4)
	v_fmac_f32_e32 v39, v38, v3
	v_fmac_f32_e32 v33, v37, v33
	v_fma_f32 v41, -v10, v34, v11
	v_mul_f32_e32 v42, v24, v32
	v_fma_f32 v38, -v20, v40, v21
	v_div_scale_f32 v27, s7, 1.0, v14, 1.0
	v_dual_mul_f32 v36, v13, v25 :: v_dual_mul_f32 v37, v15, v28
	v_fmac_f32_e32 v34, v41, v22
	v_fma_f32 v41, -v23, v42, v24
	v_fma_f32 v8, -v8, v39, v9
	v_fmac_f32_e32 v40, v38, v30
	v_fma_f32 v43, -v12, v36, v13
	v_fma_f32 v45, -v2, v37, v15
	v_mul_f32_e32 v44, v27, v33
	v_fmac_f32_e32 v42, v41, v32
	v_div_fmas_f32 v3, v8, v3, v39
	v_fma_f32 v8, -v20, v40, v21
	v_fmac_f32_e32 v37, v45, v28
	v_fma_f32 v9, -v10, v34, v11
	v_fmac_f32_e32 v36, v43, v25
	v_fma_f32 v43, -v26, v44, v27
	s_mov_b32 vcc_lo, s5
	v_fma_f32 v11, -v23, v42, v24
	v_div_fixup_f32 v3, v3, v4, 1.0
	v_div_fmas_f32 v4, v8, v30, v40
	s_mov_b32 vcc_lo, s2
	v_fmac_f32_e32 v44, v43, v33
	v_div_fmas_f32 v8, v9, v22, v34
	s_mov_b32 vcc_lo, s6
	v_fma_f32 v10, -v12, v36, v13
	v_div_fmas_f32 v9, v11, v32, v42
	v_cmp_class_f32_e64 vcc_lo, v3, 0x1f8
	v_fma_f32 v12, -v26, v44, v27
	v_div_fixup_f32 v4, v4, v0, 1.0
	v_div_scale_f32 v31, s8, 1.0, v19, 1.0
	v_cndmask_b32_e32 v0, 0, v3, vcc_lo
	s_mov_b32 vcc_lo, s3
	v_fma_f32 v2, -v2, v37, v15
	v_div_fmas_f32 v3, v10, v25, v36
	s_mov_b32 vcc_lo, s7
	v_div_fixup_f32 v5, v8, v5, 1.0
	v_div_fmas_f32 v8, v12, v33, v44
	s_mov_b32 vcc_lo, s4
	v_div_fixup_f32 v9, v9, v1, 1.0
	v_div_fmas_f32 v10, v2, v28, v37
	v_cmp_class_f32_e64 vcc_lo, v4, 0x1f8
	v_mul_f32_e32 v46, v31, v35
	s_delay_alu instid0(VALU_DEP_3) | instskip(SKIP_1) | instid1(VALU_DEP_3)
	v_div_fixup_f32 v7, v10, v7, 1.0
	v_cndmask_b32_e32 v1, 0, v4, vcc_lo
	v_fma_f32 v45, -v29, v46, v31
	s_mov_b32 vcc_lo, s8
	v_div_fixup_f32 v4, v3, v6, 1.0
	s_delay_alu instid0(VALU_DEP_2) | instskip(NEXT) | instid1(VALU_DEP_1)
	v_fmac_f32_e32 v46, v45, v35
	v_fma_f32 v13, -v29, v46, v31
	s_delay_alu instid0(VALU_DEP_1)
	v_div_fmas_f32 v6, v13, v35, v46
	v_cmp_class_f32_e64 vcc_lo, v5, 0x1f8
	v_cndmask_b32_e32 v2, 0, v5, vcc_lo
	v_cmp_class_f32_e64 vcc_lo, v9, 0x1f8
	v_div_fixup_f32 v5, v8, v14, 1.0
	v_div_fixup_f32 v8, v6, v19, 1.0
	v_cndmask_b32_e32 v3, 0, v9, vcc_lo
	v_cmp_class_f32_e64 vcc_lo, v4, 0x1f8
	v_cndmask_b32_e32 v4, 0, v4, vcc_lo
	v_cmp_class_f32_e64 vcc_lo, v5, 0x1f8
	;; [unrolled: 2-line block ×4, first 2 shown]
	v_cndmask_b32_e32 v7, 0, v8, vcc_lo
	s_cbranch_scc1 .LBB301_23
; %bb.4:
	v_lshlrev_b32_e32 v12, 2, v18
	s_clause 0x1
	global_load_b128 v[8:11], v12, s[10:11]
	global_load_b128 v[12:15], v12, s[10:11] offset:16
	s_waitcnt vmcnt(1)
	v_dual_add_f32 v9, v9, v1 :: v_dual_add_f32 v8, v8, v0
	v_dual_add_f32 v11, v11, v3 :: v_dual_add_f32 v10, v10, v2
	s_waitcnt vmcnt(0)
	v_dual_add_f32 v13, v13, v5 :: v_dual_add_f32 v12, v12, v4
	v_dual_add_f32 v15, v15, v7 :: v_dual_add_f32 v14, v14, v6
	s_cbranch_execnz .LBB301_6
.LBB301_5:
	v_dual_mov_b32 v15, v7 :: v_dual_mov_b32 v14, v6
	v_dual_mov_b32 v13, v5 :: v_dual_mov_b32 v12, v4
	;; [unrolled: 1-line block ×4, first 2 shown]
.LBB301_6:
	s_load_b128 s[8:11], s[0:1], 0x30
	v_cmp_eq_u32_e64 s2, 0, v17
	s_mov_b32 s6, 0
	s_waitcnt lgkmcnt(0)
	s_bitcmp1_b32 s11, 0
	s_cselect_b32 vcc_lo, -1, 0
	s_cmp_gt_i32 s8, 0
	s_cselect_b32 s5, -1, 0
	s_cmp_lt_i32 s8, 1
	s_cbranch_scc1 .LBB301_24
; %bb.7:
	v_mbcnt_lo_u32_b32 v19, -1, 0
	s_load_b128 s[12:15], s[0:1], 0x20
	s_delay_alu instid0(VALU_DEP_1) | instskip(SKIP_2) | instid1(VALU_DEP_3)
	v_dual_mov_b32 v23, v16 :: v_dual_and_b32 v20, 28, v19
	v_xor_b32_e32 v21, 2, v19
	v_xor_b32_e32 v22, 1, v19
	v_add_nc_u32_e32 v20, 4, v20
	s_delay_alu instid0(VALU_DEP_1) | instskip(NEXT) | instid1(VALU_DEP_1)
	v_cmp_lt_i32_e64 s0, v21, v20
	v_cndmask_b32_e64 v21, v19, v21, s0
	s_delay_alu instid0(VALU_DEP_4) | instskip(SKIP_1) | instid1(VALU_DEP_3)
	v_cmp_lt_i32_e64 s0, v22, v20
	v_mul_lo_u32 v20, v16, s8
	v_lshlrev_b32_e32 v21, 2, v21
	s_delay_alu instid0(VALU_DEP_3) | instskip(NEXT) | instid1(VALU_DEP_1)
	v_cndmask_b32_e64 v22, v19, v22, s0
	v_dual_mov_b32 v19, 0 :: v_dual_lshlrev_b32 v22, 2, v22
	s_branch .LBB301_10
.LBB301_8:                              ;   in Loop: Header=BB301_10 Depth=1
	s_or_b32 exec_lo, exec_lo, s1
.LBB301_9:                              ;   in Loop: Header=BB301_10 Depth=1
	v_add_nc_u32_e32 v23, s18, v23
	s_cmp_eq_u32 s8, s6
	s_cbranch_scc1 .LBB301_25
.LBB301_10:                             ; =>This Inner Loop Header: Depth=1
	v_cmp_gt_f32_e64 s0, v9, v8
	s_delay_alu instid0(VALU_DEP_1) | instskip(SKIP_2) | instid1(VALU_DEP_3)
	v_cndmask_b32_e64 v25, v8, v9, s0
	v_cndmask_b32_e64 v24, 0, 1, s0
	;; [unrolled: 1-line block ×3, first 2 shown]
	v_cmp_gt_f32_e64 s1, v10, v25
	s_delay_alu instid0(VALU_DEP_1) | instskip(NEXT) | instid1(VALU_DEP_4)
	v_cndmask_b32_e64 v25, v25, v10, s1
	v_cndmask_b32_e64 v24, v24, 2, s1
	s_delay_alu instid0(VALU_DEP_4) | instskip(NEXT) | instid1(VALU_DEP_3)
	v_cndmask_b32_e64 v26, v26, v2, s1
	v_cmp_gt_f32_e64 s3, v11, v25
	s_delay_alu instid0(VALU_DEP_1) | instskip(NEXT) | instid1(VALU_DEP_4)
	v_cndmask_b32_e64 v25, v25, v11, s3
	v_cndmask_b32_e64 v24, v24, 3, s3
	s_delay_alu instid0(VALU_DEP_4) | instskip(NEXT) | instid1(VALU_DEP_3)
	v_cndmask_b32_e64 v26, v26, v3, s3
	v_cmp_gt_f32_e64 s4, v12, v25
	s_delay_alu instid0(VALU_DEP_1) | instskip(NEXT) | instid1(VALU_DEP_4)
	v_cndmask_b32_e64 v25, v25, v12, s4
	v_cndmask_b32_e64 v24, v24, 4, s4
	s_delay_alu instid0(VALU_DEP_4) | instskip(SKIP_1) | instid1(VALU_DEP_3)
	v_cndmask_b32_e64 v26, v26, v4, s4
	s_mov_b32 s4, exec_lo
	v_cmp_gt_f32_e64 s0, v13, v25
	s_delay_alu instid0(VALU_DEP_1) | instskip(SKIP_2) | instid1(VALU_DEP_3)
	v_cndmask_b32_e64 v25, v25, v13, s0
	v_cndmask_b32_e64 v24, v24, 5, s0
	;; [unrolled: 1-line block ×3, first 2 shown]
	v_cmp_gt_f32_e64 s1, v14, v25
	s_delay_alu instid0(VALU_DEP_1) | instskip(NEXT) | instid1(VALU_DEP_4)
	v_cndmask_b32_e64 v25, v25, v14, s1
	v_cndmask_b32_e64 v24, v24, 6, s1
	s_waitcnt lgkmcnt(0)
	v_cndmask_b32_e64 v27, v26, v6, s1
	s_delay_alu instid0(VALU_DEP_3) | instskip(NEXT) | instid1(VALU_DEP_1)
	v_cmp_gt_f32_e64 s0, v15, v25
	v_cndmask_b32_e64 v24, v24, 7, s0
	v_cndmask_b32_e64 v26, v25, v15, s0
	s_delay_alu instid0(VALU_DEP_4) | instskip(NEXT) | instid1(VALU_DEP_3)
	v_cndmask_b32_e64 v25, v27, v7, s0
	v_or_b32_e32 v24, v18, v24
	ds_bpermute_b32 v27, v21, v26
	ds_bpermute_b32 v29, v21, v25
	;; [unrolled: 1-line block ×3, first 2 shown]
	s_waitcnt lgkmcnt(0)
	v_cmp_lt_f32_e64 s3, v26, v27
	v_cmpx_nlt_f32_e32 v26, v27
; %bb.11:                               ;   in Loop: Header=BB301_10 Depth=1
	v_cmp_eq_f32_e64 s0, v26, v27
	v_cmp_lt_i32_e64 s1, v28, v24
	s_delay_alu instid0(VALU_DEP_1) | instskip(SKIP_2) | instid1(SALU_CYCLE_1)
	s_and_b32 s0, s0, s1
	s_and_not1_b32 s1, s3, exec_lo
	s_and_b32 s0, s0, exec_lo
	s_or_b32 s3, s1, s0
; %bb.12:                               ;   in Loop: Header=BB301_10 Depth=1
	s_or_b32 exec_lo, exec_lo, s4
	s_and_saveexec_b32 s0, s3
; %bb.13:                               ;   in Loop: Header=BB301_10 Depth=1
	v_dual_mov_b32 v25, v29 :: v_dual_mov_b32 v26, v27
	v_mov_b32_e32 v24, v28
; %bb.14:                               ;   in Loop: Header=BB301_10 Depth=1
	s_or_b32 exec_lo, exec_lo, s0
	ds_bpermute_b32 v29, v22, v26
	ds_bpermute_b32 v27, v22, v25
	;; [unrolled: 1-line block ×3, first 2 shown]
	s_mov_b32 s4, exec_lo
	s_waitcnt lgkmcnt(2)
	v_cmp_lt_f32_e64 s3, v26, v29
	v_cmpx_nlt_f32_e32 v26, v29
	s_cbranch_execnz .LBB301_18
; %bb.15:                               ;   in Loop: Header=BB301_10 Depth=1
	s_or_b32 exec_lo, exec_lo, s4
	s_delay_alu instid0(VALU_DEP_2)
	s_and_saveexec_b32 s0, s3
	s_cbranch_execnz .LBB301_19
.LBB301_16:                             ;   in Loop: Header=BB301_10 Depth=1
	s_or_b32 exec_lo, exec_lo, s0
	s_and_saveexec_b32 s3, s2
	s_cbranch_execnz .LBB301_20
.LBB301_17:                             ;   in Loop: Header=BB301_10 Depth=1
	s_or_b32 exec_lo, exec_lo, s3
	s_add_i32 s6, s6, 1
	s_delay_alu instid0(SALU_CYCLE_1)
	s_cmp_ge_i32 s6, s8
	s_cbranch_scc1 .LBB301_9
	s_branch .LBB301_21
.LBB301_18:                             ;   in Loop: Header=BB301_10 Depth=1
	v_cmp_eq_f32_e64 s0, v26, v29
	s_waitcnt lgkmcnt(0)
	v_cmp_lt_i32_e64 s1, v28, v24
	s_delay_alu instid0(VALU_DEP_1) | instskip(SKIP_2) | instid1(SALU_CYCLE_1)
	s_and_b32 s0, s0, s1
	s_and_not1_b32 s1, s3, exec_lo
	s_and_b32 s0, s0, exec_lo
	s_or_b32 s3, s1, s0
	s_or_b32 exec_lo, exec_lo, s4
	s_and_saveexec_b32 s0, s3
	s_cbranch_execz .LBB301_16
.LBB301_19:                             ;   in Loop: Header=BB301_10 Depth=1
	s_waitcnt lgkmcnt(0)
	v_dual_mov_b32 v24, v28 :: v_dual_mov_b32 v25, v27
	s_or_b32 exec_lo, exec_lo, s0
	s_and_saveexec_b32 s3, s2
	s_cbranch_execz .LBB301_17
.LBB301_20:                             ;   in Loop: Header=BB301_10 Depth=1
	s_delay_alu instid0(VALU_DEP_1)
	v_add_f32_e32 v34, v19, v25
	v_add_nc_u32_e32 v26, s6, v20
	v_subrev_nc_u32_e32 v30, s9, v24
	v_cmp_le_i32_e64 s0, s9, v24
	v_cmp_gt_i32_e64 s1, s10, v24
	v_cndmask_b32_e32 v19, v19, v34, vcc_lo
	s_waitcnt lgkmcnt(1)
	v_ashrrev_i32_e32 v27, 31, v26
	v_ashrrev_i32_e32 v31, 31, v30
	s_and_b32 s0, s0, s1
	s_waitcnt lgkmcnt(0)
	s_delay_alu instid0(VALU_DEP_2) | instskip(SKIP_2) | instid1(SALU_CYCLE_1)
	v_lshlrev_b64 v[28:29], 2, v[26:27]
	v_lshlrev_b64 v[26:27], 3, v[26:27]
	s_and_b32 s0, s19, s0
	v_cndmask_b32_e64 v31, 0, v31, s0
	v_cndmask_b32_e64 v30, 32, v30, s0
	s_delay_alu instid0(VALU_DEP_4) | instskip(NEXT) | instid1(VALU_DEP_1)
	v_add_co_u32 v32, s0, s16, v28
	v_add_co_ci_u32_e64 v33, s0, s17, v29, s0
	v_add_co_u32 v26, s0, s12, v26
	s_delay_alu instid0(VALU_DEP_1) | instskip(SKIP_1) | instid1(VALU_DEP_1)
	v_add_co_ci_u32_e64 v27, s0, s13, v27, s0
	v_add_co_u32 v28, s0, s14, v28
	v_add_co_ci_u32_e64 v29, s0, s15, v29, s0
	global_store_b32 v[32:33], v25, off
	global_store_b64 v[26:27], v[30:31], off
	global_store_b32 v[28:29], v23, off
	s_or_b32 exec_lo, exec_lo, s3
	s_add_i32 s6, s6, 1
	s_delay_alu instid0(SALU_CYCLE_1)
	s_cmp_ge_i32 s6, s8
	s_cbranch_scc1 .LBB301_9
.LBB301_21:                             ;   in Loop: Header=BB301_10 Depth=1
	v_ashrrev_i32_e32 v26, 31, v24
	s_mov_b32 s1, exec_lo
	s_delay_alu instid0(VALU_DEP_1) | instskip(NEXT) | instid1(VALU_DEP_1)
	v_lshrrev_b32_e32 v25, 29, v26
	v_add_nc_u32_e32 v25, v24, v25
	s_delay_alu instid0(VALU_DEP_1) | instskip(SKIP_1) | instid1(VALU_DEP_1)
	v_ashrrev_i32_e32 v25, 3, v25
	s_waitcnt lgkmcnt(1)
	v_lshrrev_b32_e32 v27, 30, v25
	s_delay_alu instid0(VALU_DEP_1) | instskip(NEXT) | instid1(VALU_DEP_1)
	v_add_nc_u32_e32 v27, v25, v27
	v_and_b32_e32 v27, -4, v27
	s_delay_alu instid0(VALU_DEP_1) | instskip(NEXT) | instid1(VALU_DEP_1)
	v_sub_nc_u32_e32 v27, v25, v27
	v_cmpx_eq_u32_e64 v17, v27
	s_cbranch_execz .LBB301_8
; %bb.22:                               ;   in Loop: Header=BB301_10 Depth=1
	v_lshrrev_b32_e32 v26, 27, v26
	v_lshlrev_b32_e32 v25, 3, v25
	s_delay_alu instid0(VALU_DEP_2) | instskip(NEXT) | instid1(VALU_DEP_2)
	v_add_nc_u32_e32 v26, v24, v26
	v_sub_nc_u32_e32 v24, v24, v25
	s_delay_alu instid0(VALU_DEP_2) | instskip(NEXT) | instid1(VALU_DEP_1)
	v_ashrrev_i32_e32 v25, 5, v26
	v_lshl_add_u32 v24, v25, 3, v24
	s_delay_alu instid0(VALU_DEP_1) | instskip(NEXT) | instid1(VALU_DEP_1)
	v_cmp_ne_u32_e64 s0, 7, v24
	v_cndmask_b32_e64 v15, 0xc61c4000, v15, s0
	v_cmp_ne_u32_e64 s0, 6, v24
	s_delay_alu instid0(VALU_DEP_1) | instskip(SKIP_1) | instid1(VALU_DEP_1)
	v_cndmask_b32_e64 v14, 0xc61c4000, v14, s0
	v_cmp_ne_u32_e64 s0, 5, v24
	v_cndmask_b32_e64 v13, 0xc61c4000, v13, s0
	v_cmp_ne_u32_e64 s0, 4, v24
	s_delay_alu instid0(VALU_DEP_1) | instskip(SKIP_1) | instid1(VALU_DEP_1)
	v_cndmask_b32_e64 v12, 0xc61c4000, v12, s0
	;; [unrolled: 5-line block ×3, first 2 shown]
	v_cmp_ne_u32_e64 s0, 1, v24
	v_cndmask_b32_e64 v9, 0xc61c4000, v9, s0
	v_cmp_ne_u32_e64 s0, 0, v24
	s_delay_alu instid0(VALU_DEP_1)
	v_cndmask_b32_e64 v8, 0xc61c4000, v8, s0
	s_branch .LBB301_8
.LBB301_23:
                                        ; implicit-def: $vgpr8_vgpr9_vgpr10_vgpr11_vgpr12_vgpr13_vgpr14_vgpr15
	s_and_not1_b32 vcc_lo, exec_lo, s9
	s_cbranch_vccz .LBB301_5
	s_branch .LBB301_6
.LBB301_24:
	v_mov_b32_e32 v19, 0
.LBB301_25:
	v_cmp_eq_u32_e64 s0, 0, v17
	s_delay_alu instid0(VALU_DEP_1) | instskip(NEXT) | instid1(SALU_CYCLE_1)
	s_and_b32 s0, s0, vcc_lo
	s_and_b32 exec_lo, exec_lo, s0
	s_cbranch_execz .LBB301_29
; %bb.26:
	s_and_not1_b32 vcc_lo, exec_lo, s5
	s_cbranch_vccnz .LBB301_29
; %bb.27:
	v_mul_lo_u32 v0, v16, s8
	v_cmp_lt_f32_e32 vcc_lo, 0, v19
	v_cndmask_b32_e32 v2, 1.0, v19, vcc_lo
	s_delay_alu instid0(VALU_DEP_3) | instskip(NEXT) | instid1(VALU_DEP_1)
	v_ashrrev_i32_e32 v1, 31, v0
	v_lshlrev_b64 v[0:1], 2, v[0:1]
	s_delay_alu instid0(VALU_DEP_1) | instskip(NEXT) | instid1(VALU_DEP_2)
	v_add_co_u32 v0, vcc_lo, s16, v0
	v_add_co_ci_u32_e32 v1, vcc_lo, s17, v1, vcc_lo
	.p2align	6
.LBB301_28:                             ; =>This Inner Loop Header: Depth=1
	global_load_b32 v3, v[0:1], off
	s_add_i32 s8, s8, -1
	s_delay_alu instid0(SALU_CYCLE_1) | instskip(SKIP_3) | instid1(VALU_DEP_2)
	s_cmp_lg_u32 s8, 0
	s_waitcnt vmcnt(0)
	v_div_scale_f32 v4, null, v2, v2, v3
	v_div_scale_f32 v7, vcc_lo, v3, v2, v3
	v_rcp_f32_e32 v5, v4
	s_waitcnt_depctr 0xfff
	v_fma_f32 v6, -v4, v5, 1.0
	s_delay_alu instid0(VALU_DEP_1) | instskip(NEXT) | instid1(VALU_DEP_1)
	v_fmac_f32_e32 v5, v6, v5
	v_mul_f32_e32 v6, v7, v5
	s_delay_alu instid0(VALU_DEP_1) | instskip(NEXT) | instid1(VALU_DEP_1)
	v_fma_f32 v8, -v4, v6, v7
	v_fmac_f32_e32 v6, v8, v5
	s_delay_alu instid0(VALU_DEP_1) | instskip(NEXT) | instid1(VALU_DEP_1)
	v_fma_f32 v4, -v4, v6, v7
	v_div_fmas_f32 v4, v4, v5, v6
	s_delay_alu instid0(VALU_DEP_1)
	v_div_fixup_f32 v3, v4, v2, v3
	global_store_b32 v[0:1], v3, off
	v_add_co_u32 v0, vcc_lo, v0, 4
	v_add_co_ci_u32_e32 v1, vcc_lo, 0, v1, vcc_lo
	s_cbranch_scc1 .LBB301_28
.LBB301_29:
	s_nop 0
	s_sendmsg sendmsg(MSG_DEALLOC_VGPRS)
	s_endpgm
	.section	.rodata,"a",@progbits
	.p2align	6, 0x0
	.amdhsa_kernel _ZN4vllm3moe10topkGatingILi8ELi32ELi4ELi16ELi32El6__halfLNS0_11ScoringFuncE1EEEvPKT5_PKbPfiPT4_PiiiibPKf
		.amdhsa_group_segment_fixed_size 0
		.amdhsa_private_segment_fixed_size 0
		.amdhsa_kernarg_size 72
		.amdhsa_user_sgpr_count 15
		.amdhsa_user_sgpr_dispatch_ptr 0
		.amdhsa_user_sgpr_queue_ptr 0
		.amdhsa_user_sgpr_kernarg_segment_ptr 1
		.amdhsa_user_sgpr_dispatch_id 0
		.amdhsa_user_sgpr_private_segment_size 0
		.amdhsa_wavefront_size32 1
		.amdhsa_uses_dynamic_stack 0
		.amdhsa_enable_private_segment 0
		.amdhsa_system_sgpr_workgroup_id_x 1
		.amdhsa_system_sgpr_workgroup_id_y 0
		.amdhsa_system_sgpr_workgroup_id_z 0
		.amdhsa_system_sgpr_workgroup_info 0
		.amdhsa_system_vgpr_workitem_id 1
		.amdhsa_next_free_vgpr 47
		.amdhsa_next_free_sgpr 20
		.amdhsa_reserve_vcc 1
		.amdhsa_float_round_mode_32 0
		.amdhsa_float_round_mode_16_64 0
		.amdhsa_float_denorm_mode_32 3
		.amdhsa_float_denorm_mode_16_64 3
		.amdhsa_dx10_clamp 1
		.amdhsa_ieee_mode 1
		.amdhsa_fp16_overflow 0
		.amdhsa_workgroup_processor_mode 1
		.amdhsa_memory_ordered 1
		.amdhsa_forward_progress 0
		.amdhsa_shared_vgpr_count 0
		.amdhsa_exception_fp_ieee_invalid_op 0
		.amdhsa_exception_fp_denorm_src 0
		.amdhsa_exception_fp_ieee_div_zero 0
		.amdhsa_exception_fp_ieee_overflow 0
		.amdhsa_exception_fp_ieee_underflow 0
		.amdhsa_exception_fp_ieee_inexact 0
		.amdhsa_exception_int_div_zero 0
	.end_amdhsa_kernel
	.section	.text._ZN4vllm3moe10topkGatingILi8ELi32ELi4ELi16ELi32El6__halfLNS0_11ScoringFuncE1EEEvPKT5_PKbPfiPT4_PiiiibPKf,"axG",@progbits,_ZN4vllm3moe10topkGatingILi8ELi32ELi4ELi16ELi32El6__halfLNS0_11ScoringFuncE1EEEvPKT5_PKbPfiPT4_PiiiibPKf,comdat
.Lfunc_end301:
	.size	_ZN4vllm3moe10topkGatingILi8ELi32ELi4ELi16ELi32El6__halfLNS0_11ScoringFuncE1EEEvPKT5_PKbPfiPT4_PiiiibPKf, .Lfunc_end301-_ZN4vllm3moe10topkGatingILi8ELi32ELi4ELi16ELi32El6__halfLNS0_11ScoringFuncE1EEEvPKT5_PKbPfiPT4_PiiiibPKf
                                        ; -- End function
	.section	.AMDGPU.csdata,"",@progbits
; Kernel info:
; codeLenInByte = 2752
; NumSgprs: 22
; NumVgprs: 47
; ScratchSize: 0
; MemoryBound: 0
; FloatMode: 240
; IeeeMode: 1
; LDSByteSize: 0 bytes/workgroup (compile time only)
; SGPRBlocks: 2
; VGPRBlocks: 5
; NumSGPRsForWavesPerEU: 22
; NumVGPRsForWavesPerEU: 47
; Occupancy: 16
; WaveLimiterHint : 0
; COMPUTE_PGM_RSRC2:SCRATCH_EN: 0
; COMPUTE_PGM_RSRC2:USER_SGPR: 15
; COMPUTE_PGM_RSRC2:TRAP_HANDLER: 0
; COMPUTE_PGM_RSRC2:TGID_X_EN: 1
; COMPUTE_PGM_RSRC2:TGID_Y_EN: 0
; COMPUTE_PGM_RSRC2:TGID_Z_EN: 0
; COMPUTE_PGM_RSRC2:TIDIG_COMP_CNT: 1
	.section	.text._ZN4vllm3moe10topkGatingILi8ELi64ELi4ELi16ELi64El6__halfLNS0_11ScoringFuncE1EEEvPKT5_PKbPfiPT4_PiiiibPKf,"axG",@progbits,_ZN4vllm3moe10topkGatingILi8ELi64ELi4ELi16ELi64El6__halfLNS0_11ScoringFuncE1EEEvPKT5_PKbPfiPT4_PiiiibPKf,comdat
	.protected	_ZN4vllm3moe10topkGatingILi8ELi64ELi4ELi16ELi64El6__halfLNS0_11ScoringFuncE1EEEvPKT5_PKbPfiPT4_PiiiibPKf ; -- Begin function _ZN4vllm3moe10topkGatingILi8ELi64ELi4ELi16ELi64El6__halfLNS0_11ScoringFuncE1EEEvPKT5_PKbPfiPT4_PiiiibPKf
	.globl	_ZN4vllm3moe10topkGatingILi8ELi64ELi4ELi16ELi64El6__halfLNS0_11ScoringFuncE1EEEvPKT5_PKbPfiPT4_PiiiibPKf
	.p2align	8
	.type	_ZN4vllm3moe10topkGatingILi8ELi64ELi4ELi16ELi64El6__halfLNS0_11ScoringFuncE1EEEvPKT5_PKbPfiPT4_PiiiibPKf,@function
_ZN4vllm3moe10topkGatingILi8ELi64ELi4ELi16ELi64El6__halfLNS0_11ScoringFuncE1EEEvPKT5_PKbPfiPT4_PiiiibPKf: ; @_ZN4vllm3moe10topkGatingILi8ELi64ELi4ELi16ELi64El6__halfLNS0_11ScoringFuncE1EEEvPKT5_PKbPfiPT4_PiiiibPKf
; %bb.0:
	s_load_b32 s18, s[0:1], 0x18
	v_bfe_u32 v1, v0, 10, 10
	v_and_b32_e32 v0, 0x3ff, v0
	s_lshl_b32 s2, s15, 5
	s_delay_alu instid0(VALU_DEP_2) | instskip(NEXT) | instid1(VALU_DEP_2)
	v_lshlrev_b32_e32 v1, 3, v1
	v_lshrrev_b32_e32 v2, 3, v0
	s_delay_alu instid0(VALU_DEP_1) | instskip(SKIP_2) | instid1(VALU_DEP_1)
	v_add3_u32 v16, s2, v1, v2
	s_mov_b32 s2, exec_lo
	s_waitcnt lgkmcnt(0)
	v_cmpx_gt_i32_e64 s18, v16
	s_cbranch_execz .LBB302_33
; %bb.1:
	s_clause 0x1
	s_load_b128 s[4:7], s[0:1], 0x0
	s_load_b64 s[16:17], s[0:1], 0x10
	s_mov_b32 s9, -1
	s_mov_b32 s19, -1
	s_waitcnt lgkmcnt(0)
	s_cmp_eq_u64 s[6:7], 0
	s_cbranch_scc1 .LBB302_3
; %bb.2:
	v_ashrrev_i32_e32 v2, 31, v16
	v_add_co_u32 v1, vcc_lo, s6, v16
	s_delay_alu instid0(VALU_DEP_2) | instskip(SKIP_3) | instid1(VALU_DEP_1)
	v_add_co_ci_u32_e32 v2, vcc_lo, s7, v2, vcc_lo
	global_load_u8 v1, v[1:2], off
	s_waitcnt vmcnt(0)
	v_and_b32_e32 v1, 1, v1
	v_cmp_eq_u32_e32 vcc_lo, 1, v1
	s_xor_b32 s2, vcc_lo, -1
	s_delay_alu instid0(SALU_CYCLE_1)
	s_or_not1_b32 s19, s2, exec_lo
.LBB302_3:
	v_lshlrev_b32_e32 v1, 6, v16
	v_and_b32_e32 v17, 7, v0
	s_load_b64 s[10:11], s[0:1], 0x40
	s_delay_alu instid0(VALU_DEP_2) | instskip(NEXT) | instid1(VALU_DEP_1)
	v_ashrrev_i32_e32 v2, 31, v1
	v_lshlrev_b64 v[0:1], 1, v[1:2]
	s_delay_alu instid0(VALU_DEP_3) | instskip(NEXT) | instid1(VALU_DEP_2)
	v_lshlrev_b32_e32 v2, 4, v17
	v_add_co_u32 v0, vcc_lo, s4, v0
	s_delay_alu instid0(VALU_DEP_3) | instskip(NEXT) | instid1(VALU_DEP_2)
	v_add_co_ci_u32_e32 v1, vcc_lo, s5, v1, vcc_lo
	v_add_co_u32 v0, vcc_lo, v0, v2
	s_delay_alu instid0(VALU_DEP_2)
	v_add_co_ci_u32_e32 v1, vcc_lo, 0, v1, vcc_lo
	s_waitcnt lgkmcnt(0)
	s_cmp_eq_u64 s[10:11], 0
	global_load_b128 v[0:3], v[0:1], off
	s_waitcnt vmcnt(0)
	v_cvt_f32_f16_e32 v4, v0
	v_lshrrev_b32_e32 v0, 16, v0
	v_cvt_f32_f16_e32 v5, v1
	v_lshrrev_b32_e32 v1, 16, v1
	v_cvt_f32_f16_e32 v6, v2
	v_lshrrev_b32_e32 v2, 16, v2
	v_cvt_f32_f16_e32 v7, v3
	v_lshrrev_b32_e32 v3, 16, v3
	v_dual_mul_f32 v4, 0xbfb8aa3b, v4 :: v_dual_mul_f32 v5, 0xbfb8aa3b, v5
	v_cvt_f32_f16_e32 v0, v0
	v_cvt_f32_f16_e32 v1, v1
	;; [unrolled: 1-line block ×4, first 2 shown]
	v_dual_mul_f32 v6, 0xbfb8aa3b, v6 :: v_dual_mul_f32 v7, 0xbfb8aa3b, v7
	v_exp_f32_e32 v4, v4
	v_dual_mul_f32 v0, 0xbfb8aa3b, v0 :: v_dual_mul_f32 v1, 0xbfb8aa3b, v1
	v_exp_f32_e32 v5, v5
	s_delay_alu instid0(VALU_DEP_2)
	v_exp_f32_e32 v6, v6
	v_mul_f32_e32 v2, 0xbfb8aa3b, v2
	v_exp_f32_e32 v7, v7
	v_dual_mul_f32 v3, 0xbfb8aa3b, v3 :: v_dual_lshlrev_b32 v18, 3, v17
	v_exp_f32_e32 v0, v0
	v_exp_f32_e32 v1, v1
	;; [unrolled: 1-line block ×3, first 2 shown]
	s_delay_alu instid0(VALU_DEP_1) | instskip(SKIP_2) | instid1(VALU_DEP_2)
	v_exp_f32_e32 v3, v3
	v_dual_add_f32 v4, 1.0, v4 :: v_dual_add_f32 v5, 1.0, v5
	v_dual_add_f32 v6, 1.0, v6 :: v_dual_add_f32 v7, 1.0, v7
	v_div_scale_f32 v8, null, v4, v4, 1.0
	s_delay_alu instid0(TRANS32_DEP_3) | instskip(NEXT) | instid1(VALU_DEP_4)
	v_dual_add_f32 v0, 1.0, v0 :: v_dual_add_f32 v1, 1.0, v1
	v_div_scale_f32 v10, null, v5, v5, 1.0
	s_delay_alu instid0(VALU_DEP_4) | instskip(NEXT) | instid1(TRANS32_DEP_1)
	v_div_scale_f32 v12, null, v6, v6, 1.0
	v_dual_add_f32 v14, 1.0, v2 :: v_dual_add_f32 v19, 1.0, v3
	v_div_scale_f32 v2, null, v7, v7, 1.0
	v_rcp_f32_e32 v3, v8
	v_div_scale_f32 v20, null, v0, v0, 1.0
	v_rcp_f32_e32 v22, v10
	;; [unrolled: 2-line block ×3, first 2 shown]
	v_rcp_f32_e32 v28, v2
	v_div_scale_f32 v29, null, v19, v19, 1.0
	v_rcp_f32_e32 v30, v20
	v_div_scale_f32 v26, null, v14, v14, 1.0
	v_rcp_f32_e32 v32, v23
	v_fma_f32 v34, -v8, v3, 1.0
	v_rcp_f32_e32 v35, v29
	v_div_scale_f32 v9, vcc_lo, 1.0, v4, 1.0
	v_rcp_f32_e32 v33, v26
	v_fma_f32 v36, -v10, v22, 1.0
	v_fma_f32 v37, -v12, v25, 1.0
	v_fma_f32 v38, -v2, v28, 1.0
	v_fmac_f32_e32 v3, v34, v3
	v_fma_f32 v34, -v20, v30, 1.0
	v_fmac_f32_e32 v22, v36, v22
	v_div_scale_f32 v11, s2, 1.0, v5, 1.0
	v_fma_f32 v36, -v23, v32, 1.0
	v_dual_fmac_f32 v25, v37, v25 :: v_dual_fmac_f32 v28, v38, v28
	v_fma_f32 v38, -v29, v35, 1.0
	v_dual_mul_f32 v39, v9, v3 :: v_dual_fmac_f32 v30, v34, v30
	v_div_scale_f32 v21, s5, 1.0, v0, 1.0
	v_div_scale_f32 v24, s6, 1.0, v1, 1.0
	v_fma_f32 v37, -v26, v33, 1.0
	v_mul_f32_e32 v34, v11, v22
	v_dual_fmac_f32 v32, v36, v32 :: v_dual_fmac_f32 v35, v38, v35
	v_fma_f32 v38, -v8, v39, v9
	v_mul_f32_e32 v40, v21, v30
	v_div_scale_f32 v13, s3, 1.0, v6, 1.0
	v_div_scale_f32 v15, s4, 1.0, v7, 1.0
	s_delay_alu instid0(VALU_DEP_4)
	v_fmac_f32_e32 v39, v38, v3
	v_fmac_f32_e32 v33, v37, v33
	v_fma_f32 v41, -v10, v34, v11
	v_mul_f32_e32 v42, v24, v32
	v_fma_f32 v38, -v20, v40, v21
	v_div_scale_f32 v27, s7, 1.0, v14, 1.0
	v_dual_mul_f32 v36, v13, v25 :: v_dual_mul_f32 v37, v15, v28
	v_fmac_f32_e32 v34, v41, v22
	v_fma_f32 v41, -v23, v42, v24
	v_fma_f32 v8, -v8, v39, v9
	v_fmac_f32_e32 v40, v38, v30
	v_fma_f32 v43, -v12, v36, v13
	v_fma_f32 v45, -v2, v37, v15
	v_mul_f32_e32 v44, v27, v33
	v_fmac_f32_e32 v42, v41, v32
	v_div_fmas_f32 v3, v8, v3, v39
	v_fma_f32 v8, -v20, v40, v21
	v_fmac_f32_e32 v37, v45, v28
	v_fma_f32 v9, -v10, v34, v11
	v_fmac_f32_e32 v36, v43, v25
	v_fma_f32 v43, -v26, v44, v27
	s_mov_b32 vcc_lo, s5
	v_fma_f32 v11, -v23, v42, v24
	v_div_fixup_f32 v3, v3, v4, 1.0
	v_div_fmas_f32 v4, v8, v30, v40
	s_mov_b32 vcc_lo, s2
	v_fmac_f32_e32 v44, v43, v33
	v_div_fmas_f32 v8, v9, v22, v34
	s_mov_b32 vcc_lo, s6
	v_fma_f32 v10, -v12, v36, v13
	v_div_fmas_f32 v9, v11, v32, v42
	v_cmp_class_f32_e64 vcc_lo, v3, 0x1f8
	v_fma_f32 v12, -v26, v44, v27
	v_div_fixup_f32 v4, v4, v0, 1.0
	v_div_scale_f32 v31, s8, 1.0, v19, 1.0
	v_cndmask_b32_e32 v0, 0, v3, vcc_lo
	s_mov_b32 vcc_lo, s3
	v_fma_f32 v2, -v2, v37, v15
	v_div_fmas_f32 v3, v10, v25, v36
	s_mov_b32 vcc_lo, s7
	v_div_fixup_f32 v5, v8, v5, 1.0
	v_div_fmas_f32 v8, v12, v33, v44
	s_mov_b32 vcc_lo, s4
	v_div_fixup_f32 v9, v9, v1, 1.0
	v_div_fmas_f32 v10, v2, v28, v37
	v_cmp_class_f32_e64 vcc_lo, v4, 0x1f8
	v_mul_f32_e32 v46, v31, v35
	s_delay_alu instid0(VALU_DEP_3) | instskip(SKIP_1) | instid1(VALU_DEP_3)
	v_div_fixup_f32 v7, v10, v7, 1.0
	v_cndmask_b32_e32 v1, 0, v4, vcc_lo
	v_fma_f32 v45, -v29, v46, v31
	s_mov_b32 vcc_lo, s8
	v_div_fixup_f32 v4, v3, v6, 1.0
	s_delay_alu instid0(VALU_DEP_2) | instskip(NEXT) | instid1(VALU_DEP_1)
	v_fmac_f32_e32 v46, v45, v35
	v_fma_f32 v13, -v29, v46, v31
	s_delay_alu instid0(VALU_DEP_1)
	v_div_fmas_f32 v6, v13, v35, v46
	v_cmp_class_f32_e64 vcc_lo, v5, 0x1f8
	v_cndmask_b32_e32 v2, 0, v5, vcc_lo
	v_cmp_class_f32_e64 vcc_lo, v9, 0x1f8
	v_div_fixup_f32 v5, v8, v14, 1.0
	v_div_fixup_f32 v8, v6, v19, 1.0
	v_cndmask_b32_e32 v3, 0, v9, vcc_lo
	v_cmp_class_f32_e64 vcc_lo, v4, 0x1f8
	v_cndmask_b32_e32 v4, 0, v4, vcc_lo
	v_cmp_class_f32_e64 vcc_lo, v5, 0x1f8
	;; [unrolled: 2-line block ×4, first 2 shown]
	v_cndmask_b32_e32 v7, 0, v8, vcc_lo
	s_cbranch_scc1 .LBB302_27
; %bb.4:
	v_lshlrev_b32_e32 v12, 2, v18
	s_clause 0x1
	global_load_b128 v[8:11], v12, s[10:11]
	global_load_b128 v[12:15], v12, s[10:11] offset:16
	s_waitcnt vmcnt(1)
	v_dual_add_f32 v9, v9, v1 :: v_dual_add_f32 v8, v8, v0
	v_dual_add_f32 v11, v11, v3 :: v_dual_add_f32 v10, v10, v2
	s_waitcnt vmcnt(0)
	v_dual_add_f32 v13, v13, v5 :: v_dual_add_f32 v12, v12, v4
	v_dual_add_f32 v15, v15, v7 :: v_dual_add_f32 v14, v14, v6
	s_cbranch_execnz .LBB302_6
.LBB302_5:
	v_dual_mov_b32 v15, v7 :: v_dual_mov_b32 v14, v6
	v_dual_mov_b32 v13, v5 :: v_dual_mov_b32 v12, v4
	;; [unrolled: 1-line block ×4, first 2 shown]
.LBB302_6:
	s_load_b128 s[8:11], s[0:1], 0x30
	v_cmp_eq_u32_e64 s2, 0, v17
	s_mov_b32 s6, 0
	s_waitcnt lgkmcnt(0)
	s_bitcmp1_b32 s11, 0
	s_cselect_b32 vcc_lo, -1, 0
	s_cmp_gt_i32 s8, 0
	s_cselect_b32 s5, -1, 0
	s_cmp_lt_i32 s8, 1
	s_cbranch_scc1 .LBB302_28
; %bb.7:
	v_mbcnt_lo_u32_b32 v19, -1, 0
	s_load_b128 s[12:15], s[0:1], 0x20
	v_mov_b32_e32 v24, v16
	s_delay_alu instid0(VALU_DEP_2) | instskip(SKIP_3) | instid1(VALU_DEP_4)
	v_and_b32_e32 v20, 24, v19
	v_xor_b32_e32 v21, 4, v19
	v_xor_b32_e32 v22, 2, v19
	;; [unrolled: 1-line block ×3, first 2 shown]
	v_add_nc_u32_e32 v20, 8, v20
	s_delay_alu instid0(VALU_DEP_1) | instskip(NEXT) | instid1(VALU_DEP_1)
	v_cmp_lt_i32_e64 s0, v21, v20
	v_cndmask_b32_e64 v21, v19, v21, s0
	v_cmp_lt_i32_e64 s0, v22, v20
	s_delay_alu instid0(VALU_DEP_2) | instskip(NEXT) | instid1(VALU_DEP_2)
	v_lshlrev_b32_e32 v21, 2, v21
	v_cndmask_b32_e64 v22, v19, v22, s0
	v_cmp_lt_i32_e64 s0, v23, v20
	v_mul_lo_u32 v20, v16, s8
	s_delay_alu instid0(VALU_DEP_3) | instskip(NEXT) | instid1(VALU_DEP_3)
	v_lshlrev_b32_e32 v22, 2, v22
	v_cndmask_b32_e64 v23, v19, v23, s0
	v_mov_b32_e32 v19, 0
	s_delay_alu instid0(VALU_DEP_2)
	v_lshlrev_b32_e32 v23, 2, v23
	s_branch .LBB302_10
.LBB302_8:                              ;   in Loop: Header=BB302_10 Depth=1
	s_or_b32 exec_lo, exec_lo, s1
.LBB302_9:                              ;   in Loop: Header=BB302_10 Depth=1
	v_add_nc_u32_e32 v24, s18, v24
	s_cmp_eq_u32 s8, s6
	s_cbranch_scc1 .LBB302_29
.LBB302_10:                             ; =>This Inner Loop Header: Depth=1
	v_cmp_gt_f32_e64 s0, v9, v8
	s_delay_alu instid0(VALU_DEP_1) | instskip(SKIP_2) | instid1(VALU_DEP_3)
	v_cndmask_b32_e64 v26, v8, v9, s0
	v_cndmask_b32_e64 v25, 0, 1, s0
	;; [unrolled: 1-line block ×3, first 2 shown]
	v_cmp_gt_f32_e64 s1, v10, v26
	s_delay_alu instid0(VALU_DEP_1) | instskip(NEXT) | instid1(VALU_DEP_4)
	v_cndmask_b32_e64 v26, v26, v10, s1
	v_cndmask_b32_e64 v25, v25, 2, s1
	s_delay_alu instid0(VALU_DEP_4) | instskip(NEXT) | instid1(VALU_DEP_3)
	v_cndmask_b32_e64 v27, v27, v2, s1
	v_cmp_gt_f32_e64 s3, v11, v26
	s_delay_alu instid0(VALU_DEP_1) | instskip(NEXT) | instid1(VALU_DEP_4)
	v_cndmask_b32_e64 v26, v26, v11, s3
	v_cndmask_b32_e64 v25, v25, 3, s3
	s_delay_alu instid0(VALU_DEP_4) | instskip(NEXT) | instid1(VALU_DEP_3)
	v_cndmask_b32_e64 v27, v27, v3, s3
	v_cmp_gt_f32_e64 s4, v12, v26
	s_delay_alu instid0(VALU_DEP_1) | instskip(NEXT) | instid1(VALU_DEP_4)
	v_cndmask_b32_e64 v26, v26, v12, s4
	v_cndmask_b32_e64 v25, v25, 4, s4
	s_delay_alu instid0(VALU_DEP_4) | instskip(SKIP_1) | instid1(VALU_DEP_3)
	v_cndmask_b32_e64 v27, v27, v4, s4
	s_mov_b32 s4, exec_lo
	v_cmp_gt_f32_e64 s0, v13, v26
	s_delay_alu instid0(VALU_DEP_1) | instskip(SKIP_2) | instid1(VALU_DEP_3)
	v_cndmask_b32_e64 v26, v26, v13, s0
	v_cndmask_b32_e64 v25, v25, 5, s0
	;; [unrolled: 1-line block ×3, first 2 shown]
	v_cmp_gt_f32_e64 s1, v14, v26
	s_delay_alu instid0(VALU_DEP_1) | instskip(NEXT) | instid1(VALU_DEP_4)
	v_cndmask_b32_e64 v26, v26, v14, s1
	v_cndmask_b32_e64 v25, v25, 6, s1
	s_waitcnt lgkmcnt(0)
	v_cndmask_b32_e64 v28, v27, v6, s1
	s_delay_alu instid0(VALU_DEP_3) | instskip(NEXT) | instid1(VALU_DEP_1)
	v_cmp_gt_f32_e64 s0, v15, v26
	v_cndmask_b32_e64 v25, v25, 7, s0
	v_cndmask_b32_e64 v27, v26, v15, s0
	s_delay_alu instid0(VALU_DEP_4) | instskip(NEXT) | instid1(VALU_DEP_3)
	v_cndmask_b32_e64 v26, v28, v7, s0
	v_or_b32_e32 v25, v18, v25
	ds_bpermute_b32 v28, v21, v27
	ds_bpermute_b32 v30, v21, v26
	ds_bpermute_b32 v29, v21, v25
	s_waitcnt lgkmcnt(0)
	v_cmp_lt_f32_e64 s3, v27, v28
	v_cmpx_nlt_f32_e32 v27, v28
; %bb.11:                               ;   in Loop: Header=BB302_10 Depth=1
	v_cmp_eq_f32_e64 s0, v27, v28
	v_cmp_lt_i32_e64 s1, v29, v25
	s_delay_alu instid0(VALU_DEP_1) | instskip(SKIP_2) | instid1(SALU_CYCLE_1)
	s_and_b32 s0, s0, s1
	s_and_not1_b32 s1, s3, exec_lo
	s_and_b32 s0, s0, exec_lo
	s_or_b32 s3, s1, s0
; %bb.12:                               ;   in Loop: Header=BB302_10 Depth=1
	s_or_b32 exec_lo, exec_lo, s4
	s_and_saveexec_b32 s0, s3
; %bb.13:                               ;   in Loop: Header=BB302_10 Depth=1
	v_dual_mov_b32 v26, v30 :: v_dual_mov_b32 v27, v28
	v_mov_b32_e32 v25, v29
; %bb.14:                               ;   in Loop: Header=BB302_10 Depth=1
	s_or_b32 exec_lo, exec_lo, s0
	ds_bpermute_b32 v28, v22, v27
	ds_bpermute_b32 v30, v22, v26
	;; [unrolled: 1-line block ×3, first 2 shown]
	s_mov_b32 s4, exec_lo
	s_waitcnt lgkmcnt(2)
	v_cmp_lt_f32_e64 s3, v27, v28
	v_cmpx_nlt_f32_e32 v27, v28
	s_cbranch_execz .LBB302_16
; %bb.15:                               ;   in Loop: Header=BB302_10 Depth=1
	v_cmp_eq_f32_e64 s0, v27, v28
	s_waitcnt lgkmcnt(0)
	v_cmp_lt_i32_e64 s1, v29, v25
	s_delay_alu instid0(VALU_DEP_1) | instskip(SKIP_2) | instid1(SALU_CYCLE_1)
	s_and_b32 s0, s0, s1
	s_and_not1_b32 s1, s3, exec_lo
	s_and_b32 s0, s0, exec_lo
	s_or_b32 s3, s1, s0
.LBB302_16:                             ;   in Loop: Header=BB302_10 Depth=1
	s_or_b32 exec_lo, exec_lo, s4
	s_delay_alu instid0(VALU_DEP_2)
	s_and_saveexec_b32 s0, s3
	s_cbranch_execz .LBB302_18
; %bb.17:                               ;   in Loop: Header=BB302_10 Depth=1
	s_waitcnt lgkmcnt(1)
	v_dual_mov_b32 v26, v30 :: v_dual_mov_b32 v27, v28
	s_waitcnt lgkmcnt(0)
	v_mov_b32_e32 v25, v29
.LBB302_18:                             ;   in Loop: Header=BB302_10 Depth=1
	s_or_b32 exec_lo, exec_lo, s0
	s_waitcnt lgkmcnt(1)
	ds_bpermute_b32 v30, v23, v27
	ds_bpermute_b32 v28, v23, v26
	s_waitcnt lgkmcnt(2)
	ds_bpermute_b32 v29, v23, v25
	s_mov_b32 s4, exec_lo
	s_waitcnt lgkmcnt(2)
	v_cmp_lt_f32_e64 s3, v27, v30
	v_cmpx_nlt_f32_e32 v27, v30
	s_cbranch_execnz .LBB302_22
; %bb.19:                               ;   in Loop: Header=BB302_10 Depth=1
	s_or_b32 exec_lo, exec_lo, s4
	s_delay_alu instid0(VALU_DEP_2)
	s_and_saveexec_b32 s0, s3
	s_cbranch_execnz .LBB302_23
.LBB302_20:                             ;   in Loop: Header=BB302_10 Depth=1
	s_or_b32 exec_lo, exec_lo, s0
	s_and_saveexec_b32 s3, s2
	s_cbranch_execnz .LBB302_24
.LBB302_21:                             ;   in Loop: Header=BB302_10 Depth=1
	s_or_b32 exec_lo, exec_lo, s3
	s_add_i32 s6, s6, 1
	s_delay_alu instid0(SALU_CYCLE_1)
	s_cmp_ge_i32 s6, s8
	s_cbranch_scc1 .LBB302_9
	s_branch .LBB302_25
.LBB302_22:                             ;   in Loop: Header=BB302_10 Depth=1
	v_cmp_eq_f32_e64 s0, v27, v30
	s_waitcnt lgkmcnt(0)
	v_cmp_lt_i32_e64 s1, v29, v25
	s_delay_alu instid0(VALU_DEP_1) | instskip(SKIP_2) | instid1(SALU_CYCLE_1)
	s_and_b32 s0, s0, s1
	s_and_not1_b32 s1, s3, exec_lo
	s_and_b32 s0, s0, exec_lo
	s_or_b32 s3, s1, s0
	s_or_b32 exec_lo, exec_lo, s4
	s_and_saveexec_b32 s0, s3
	s_cbranch_execz .LBB302_20
.LBB302_23:                             ;   in Loop: Header=BB302_10 Depth=1
	s_waitcnt lgkmcnt(0)
	v_dual_mov_b32 v25, v29 :: v_dual_mov_b32 v26, v28
	s_or_b32 exec_lo, exec_lo, s0
	s_and_saveexec_b32 s3, s2
	s_cbranch_execz .LBB302_21
.LBB302_24:                             ;   in Loop: Header=BB302_10 Depth=1
	v_add_nc_u32_e32 v27, s6, v20
	v_subrev_nc_u32_e32 v31, s9, v25
	v_cmp_le_i32_e64 s0, s9, v25
	v_cmp_gt_i32_e64 s1, s10, v25
	v_add_f32_e32 v35, v19, v26
	s_waitcnt lgkmcnt(1)
	v_ashrrev_i32_e32 v28, 31, v27
	v_ashrrev_i32_e32 v32, 31, v31
	s_and_b32 s0, s0, s1
	v_cndmask_b32_e32 v19, v19, v35, vcc_lo
	s_waitcnt lgkmcnt(0)
	v_lshlrev_b64 v[29:30], 2, v[27:28]
	v_lshlrev_b64 v[27:28], 3, v[27:28]
	s_and_b32 s0, s19, s0
	s_delay_alu instid0(SALU_CYCLE_1) | instskip(SKIP_1) | instid1(VALU_DEP_4)
	v_cndmask_b32_e64 v32, 0, v32, s0
	v_cndmask_b32_e64 v31, 64, v31, s0
	v_add_co_u32 v33, s0, s16, v29
	s_delay_alu instid0(VALU_DEP_1) | instskip(SKIP_1) | instid1(VALU_DEP_1)
	v_add_co_ci_u32_e64 v34, s0, s17, v30, s0
	v_add_co_u32 v27, s0, s12, v27
	v_add_co_ci_u32_e64 v28, s0, s13, v28, s0
	v_add_co_u32 v29, s0, s14, v29
	s_delay_alu instid0(VALU_DEP_1)
	v_add_co_ci_u32_e64 v30, s0, s15, v30, s0
	global_store_b32 v[33:34], v26, off
	global_store_b64 v[27:28], v[31:32], off
	global_store_b32 v[29:30], v24, off
	s_or_b32 exec_lo, exec_lo, s3
	s_add_i32 s6, s6, 1
	s_delay_alu instid0(SALU_CYCLE_1)
	s_cmp_ge_i32 s6, s8
	s_cbranch_scc1 .LBB302_9
.LBB302_25:                             ;   in Loop: Header=BB302_10 Depth=1
	v_ashrrev_i32_e32 v27, 31, v25
	s_mov_b32 s1, exec_lo
	s_delay_alu instid0(VALU_DEP_1) | instskip(NEXT) | instid1(VALU_DEP_1)
	v_lshrrev_b32_e32 v26, 29, v27
	v_add_nc_u32_e32 v26, v25, v26
	s_delay_alu instid0(VALU_DEP_1) | instskip(SKIP_1) | instid1(VALU_DEP_1)
	v_ashrrev_i32_e32 v26, 3, v26
	s_waitcnt lgkmcnt(1)
	v_lshrrev_b32_e32 v28, 29, v26
	s_delay_alu instid0(VALU_DEP_1) | instskip(NEXT) | instid1(VALU_DEP_1)
	v_add_nc_u32_e32 v28, v26, v28
	v_and_b32_e32 v28, -8, v28
	s_delay_alu instid0(VALU_DEP_1) | instskip(NEXT) | instid1(VALU_DEP_1)
	v_sub_nc_u32_e32 v28, v26, v28
	v_cmpx_eq_u32_e64 v17, v28
	s_cbranch_execz .LBB302_8
; %bb.26:                               ;   in Loop: Header=BB302_10 Depth=1
	v_lshrrev_b32_e32 v27, 26, v27
	v_lshlrev_b32_e32 v26, 3, v26
	s_delay_alu instid0(VALU_DEP_2) | instskip(NEXT) | instid1(VALU_DEP_2)
	v_add_nc_u32_e32 v27, v25, v27
	v_sub_nc_u32_e32 v25, v25, v26
	s_delay_alu instid0(VALU_DEP_2) | instskip(NEXT) | instid1(VALU_DEP_1)
	v_ashrrev_i32_e32 v26, 6, v27
	v_lshl_add_u32 v25, v26, 3, v25
	s_delay_alu instid0(VALU_DEP_1) | instskip(NEXT) | instid1(VALU_DEP_1)
	v_cmp_ne_u32_e64 s0, 7, v25
	v_cndmask_b32_e64 v15, 0xc61c4000, v15, s0
	v_cmp_ne_u32_e64 s0, 6, v25
	s_delay_alu instid0(VALU_DEP_1) | instskip(SKIP_1) | instid1(VALU_DEP_1)
	v_cndmask_b32_e64 v14, 0xc61c4000, v14, s0
	v_cmp_ne_u32_e64 s0, 5, v25
	v_cndmask_b32_e64 v13, 0xc61c4000, v13, s0
	v_cmp_ne_u32_e64 s0, 4, v25
	s_delay_alu instid0(VALU_DEP_1) | instskip(SKIP_1) | instid1(VALU_DEP_1)
	v_cndmask_b32_e64 v12, 0xc61c4000, v12, s0
	;; [unrolled: 5-line block ×3, first 2 shown]
	v_cmp_ne_u32_e64 s0, 1, v25
	v_cndmask_b32_e64 v9, 0xc61c4000, v9, s0
	v_cmp_ne_u32_e64 s0, 0, v25
	s_delay_alu instid0(VALU_DEP_1)
	v_cndmask_b32_e64 v8, 0xc61c4000, v8, s0
	s_branch .LBB302_8
.LBB302_27:
                                        ; implicit-def: $vgpr8_vgpr9_vgpr10_vgpr11_vgpr12_vgpr13_vgpr14_vgpr15
	s_and_not1_b32 vcc_lo, exec_lo, s9
	s_cbranch_vccz .LBB302_5
	s_branch .LBB302_6
.LBB302_28:
	v_mov_b32_e32 v19, 0
.LBB302_29:
	v_cmp_eq_u32_e64 s0, 0, v17
	s_delay_alu instid0(VALU_DEP_1) | instskip(NEXT) | instid1(SALU_CYCLE_1)
	s_and_b32 s0, s0, vcc_lo
	s_and_b32 exec_lo, exec_lo, s0
	s_cbranch_execz .LBB302_33
; %bb.30:
	s_and_not1_b32 vcc_lo, exec_lo, s5
	s_cbranch_vccnz .LBB302_33
; %bb.31:
	v_mul_lo_u32 v0, v16, s8
	v_cmp_lt_f32_e32 vcc_lo, 0, v19
	v_cndmask_b32_e32 v2, 1.0, v19, vcc_lo
	s_delay_alu instid0(VALU_DEP_3) | instskip(NEXT) | instid1(VALU_DEP_1)
	v_ashrrev_i32_e32 v1, 31, v0
	v_lshlrev_b64 v[0:1], 2, v[0:1]
	s_delay_alu instid0(VALU_DEP_1) | instskip(NEXT) | instid1(VALU_DEP_2)
	v_add_co_u32 v0, vcc_lo, s16, v0
	v_add_co_ci_u32_e32 v1, vcc_lo, s17, v1, vcc_lo
	.p2align	6
.LBB302_32:                             ; =>This Inner Loop Header: Depth=1
	global_load_b32 v3, v[0:1], off
	s_add_i32 s8, s8, -1
	s_delay_alu instid0(SALU_CYCLE_1) | instskip(SKIP_3) | instid1(VALU_DEP_2)
	s_cmp_lg_u32 s8, 0
	s_waitcnt vmcnt(0)
	v_div_scale_f32 v4, null, v2, v2, v3
	v_div_scale_f32 v7, vcc_lo, v3, v2, v3
	v_rcp_f32_e32 v5, v4
	s_waitcnt_depctr 0xfff
	v_fma_f32 v6, -v4, v5, 1.0
	s_delay_alu instid0(VALU_DEP_1) | instskip(NEXT) | instid1(VALU_DEP_1)
	v_fmac_f32_e32 v5, v6, v5
	v_mul_f32_e32 v6, v7, v5
	s_delay_alu instid0(VALU_DEP_1) | instskip(NEXT) | instid1(VALU_DEP_1)
	v_fma_f32 v8, -v4, v6, v7
	v_fmac_f32_e32 v6, v8, v5
	s_delay_alu instid0(VALU_DEP_1) | instskip(NEXT) | instid1(VALU_DEP_1)
	v_fma_f32 v4, -v4, v6, v7
	v_div_fmas_f32 v4, v4, v5, v6
	s_delay_alu instid0(VALU_DEP_1)
	v_div_fixup_f32 v3, v4, v2, v3
	global_store_b32 v[0:1], v3, off
	v_add_co_u32 v0, vcc_lo, v0, 4
	v_add_co_ci_u32_e32 v1, vcc_lo, 0, v1, vcc_lo
	s_cbranch_scc1 .LBB302_32
.LBB302_33:
	s_nop 0
	s_sendmsg sendmsg(MSG_DEALLOC_VGPRS)
	s_endpgm
	.section	.rodata,"a",@progbits
	.p2align	6, 0x0
	.amdhsa_kernel _ZN4vllm3moe10topkGatingILi8ELi64ELi4ELi16ELi64El6__halfLNS0_11ScoringFuncE1EEEvPKT5_PKbPfiPT4_PiiiibPKf
		.amdhsa_group_segment_fixed_size 0
		.amdhsa_private_segment_fixed_size 0
		.amdhsa_kernarg_size 72
		.amdhsa_user_sgpr_count 15
		.amdhsa_user_sgpr_dispatch_ptr 0
		.amdhsa_user_sgpr_queue_ptr 0
		.amdhsa_user_sgpr_kernarg_segment_ptr 1
		.amdhsa_user_sgpr_dispatch_id 0
		.amdhsa_user_sgpr_private_segment_size 0
		.amdhsa_wavefront_size32 1
		.amdhsa_uses_dynamic_stack 0
		.amdhsa_enable_private_segment 0
		.amdhsa_system_sgpr_workgroup_id_x 1
		.amdhsa_system_sgpr_workgroup_id_y 0
		.amdhsa_system_sgpr_workgroup_id_z 0
		.amdhsa_system_sgpr_workgroup_info 0
		.amdhsa_system_vgpr_workitem_id 1
		.amdhsa_next_free_vgpr 47
		.amdhsa_next_free_sgpr 20
		.amdhsa_reserve_vcc 1
		.amdhsa_float_round_mode_32 0
		.amdhsa_float_round_mode_16_64 0
		.amdhsa_float_denorm_mode_32 3
		.amdhsa_float_denorm_mode_16_64 3
		.amdhsa_dx10_clamp 1
		.amdhsa_ieee_mode 1
		.amdhsa_fp16_overflow 0
		.amdhsa_workgroup_processor_mode 1
		.amdhsa_memory_ordered 1
		.amdhsa_forward_progress 0
		.amdhsa_shared_vgpr_count 0
		.amdhsa_exception_fp_ieee_invalid_op 0
		.amdhsa_exception_fp_denorm_src 0
		.amdhsa_exception_fp_ieee_div_zero 0
		.amdhsa_exception_fp_ieee_overflow 0
		.amdhsa_exception_fp_ieee_underflow 0
		.amdhsa_exception_fp_ieee_inexact 0
		.amdhsa_exception_int_div_zero 0
	.end_amdhsa_kernel
	.section	.text._ZN4vllm3moe10topkGatingILi8ELi64ELi4ELi16ELi64El6__halfLNS0_11ScoringFuncE1EEEvPKT5_PKbPfiPT4_PiiiibPKf,"axG",@progbits,_ZN4vllm3moe10topkGatingILi8ELi64ELi4ELi16ELi64El6__halfLNS0_11ScoringFuncE1EEEvPKT5_PKbPfiPT4_PiiiibPKf,comdat
.Lfunc_end302:
	.size	_ZN4vllm3moe10topkGatingILi8ELi64ELi4ELi16ELi64El6__halfLNS0_11ScoringFuncE1EEEvPKT5_PKbPfiPT4_PiiiibPKf, .Lfunc_end302-_ZN4vllm3moe10topkGatingILi8ELi64ELi4ELi16ELi64El6__halfLNS0_11ScoringFuncE1EEEvPKT5_PKbPfiPT4_PiiiibPKf
                                        ; -- End function
	.section	.AMDGPU.csdata,"",@progbits
; Kernel info:
; codeLenInByte = 2912
; NumSgprs: 22
; NumVgprs: 47
; ScratchSize: 0
; MemoryBound: 0
; FloatMode: 240
; IeeeMode: 1
; LDSByteSize: 0 bytes/workgroup (compile time only)
; SGPRBlocks: 2
; VGPRBlocks: 5
; NumSGPRsForWavesPerEU: 22
; NumVGPRsForWavesPerEU: 47
; Occupancy: 16
; WaveLimiterHint : 0
; COMPUTE_PGM_RSRC2:SCRATCH_EN: 0
; COMPUTE_PGM_RSRC2:USER_SGPR: 15
; COMPUTE_PGM_RSRC2:TRAP_HANDLER: 0
; COMPUTE_PGM_RSRC2:TGID_X_EN: 1
; COMPUTE_PGM_RSRC2:TGID_Y_EN: 0
; COMPUTE_PGM_RSRC2:TGID_Z_EN: 0
; COMPUTE_PGM_RSRC2:TIDIG_COMP_CNT: 1
	.section	.text._ZN4vllm3moe10topkGatingILi8ELi64ELi4ELi16ELi32El6__halfLNS0_11ScoringFuncE1EEEvPKT5_PKbPfiPT4_PiiiibPKf,"axG",@progbits,_ZN4vllm3moe10topkGatingILi8ELi64ELi4ELi16ELi32El6__halfLNS0_11ScoringFuncE1EEEvPKT5_PKbPfiPT4_PiiiibPKf,comdat
	.protected	_ZN4vllm3moe10topkGatingILi8ELi64ELi4ELi16ELi32El6__halfLNS0_11ScoringFuncE1EEEvPKT5_PKbPfiPT4_PiiiibPKf ; -- Begin function _ZN4vllm3moe10topkGatingILi8ELi64ELi4ELi16ELi32El6__halfLNS0_11ScoringFuncE1EEEvPKT5_PKbPfiPT4_PiiiibPKf
	.globl	_ZN4vllm3moe10topkGatingILi8ELi64ELi4ELi16ELi32El6__halfLNS0_11ScoringFuncE1EEEvPKT5_PKbPfiPT4_PiiiibPKf
	.p2align	8
	.type	_ZN4vllm3moe10topkGatingILi8ELi64ELi4ELi16ELi32El6__halfLNS0_11ScoringFuncE1EEEvPKT5_PKbPfiPT4_PiiiibPKf,@function
_ZN4vllm3moe10topkGatingILi8ELi64ELi4ELi16ELi32El6__halfLNS0_11ScoringFuncE1EEEvPKT5_PKbPfiPT4_PiiiibPKf: ; @_ZN4vllm3moe10topkGatingILi8ELi64ELi4ELi16ELi32El6__halfLNS0_11ScoringFuncE1EEEvPKT5_PKbPfiPT4_PiiiibPKf
; %bb.0:
	s_load_b32 s18, s[0:1], 0x18
	v_bfe_u32 v1, v0, 10, 10
	v_and_b32_e32 v0, 0x3ff, v0
	s_lshl_b32 s2, s15, 4
	s_delay_alu instid0(VALU_DEP_2) | instskip(NEXT) | instid1(VALU_DEP_2)
	v_lshlrev_b32_e32 v1, 2, v1
	v_lshrrev_b32_e32 v2, 3, v0
	s_delay_alu instid0(VALU_DEP_1) | instskip(SKIP_2) | instid1(VALU_DEP_1)
	v_add3_u32 v16, s2, v1, v2
	s_mov_b32 s2, exec_lo
	s_waitcnt lgkmcnt(0)
	v_cmpx_gt_i32_e64 s18, v16
	s_cbranch_execz .LBB303_33
; %bb.1:
	s_clause 0x1
	s_load_b128 s[4:7], s[0:1], 0x0
	s_load_b64 s[16:17], s[0:1], 0x10
	s_mov_b32 s9, -1
	s_mov_b32 s19, -1
	s_waitcnt lgkmcnt(0)
	s_cmp_eq_u64 s[6:7], 0
	s_cbranch_scc1 .LBB303_3
; %bb.2:
	v_ashrrev_i32_e32 v2, 31, v16
	v_add_co_u32 v1, vcc_lo, s6, v16
	s_delay_alu instid0(VALU_DEP_2) | instskip(SKIP_3) | instid1(VALU_DEP_1)
	v_add_co_ci_u32_e32 v2, vcc_lo, s7, v2, vcc_lo
	global_load_u8 v1, v[1:2], off
	s_waitcnt vmcnt(0)
	v_and_b32_e32 v1, 1, v1
	v_cmp_eq_u32_e32 vcc_lo, 1, v1
	s_xor_b32 s2, vcc_lo, -1
	s_delay_alu instid0(SALU_CYCLE_1)
	s_or_not1_b32 s19, s2, exec_lo
.LBB303_3:
	v_lshlrev_b32_e32 v1, 6, v16
	v_and_b32_e32 v17, 7, v0
	s_load_b64 s[10:11], s[0:1], 0x40
	s_delay_alu instid0(VALU_DEP_2) | instskip(NEXT) | instid1(VALU_DEP_1)
	v_ashrrev_i32_e32 v2, 31, v1
	v_lshlrev_b64 v[0:1], 1, v[1:2]
	s_delay_alu instid0(VALU_DEP_3) | instskip(NEXT) | instid1(VALU_DEP_2)
	v_lshlrev_b32_e32 v2, 4, v17
	v_add_co_u32 v0, vcc_lo, s4, v0
	s_delay_alu instid0(VALU_DEP_3) | instskip(NEXT) | instid1(VALU_DEP_2)
	v_add_co_ci_u32_e32 v1, vcc_lo, s5, v1, vcc_lo
	v_add_co_u32 v0, vcc_lo, v0, v2
	s_delay_alu instid0(VALU_DEP_2)
	v_add_co_ci_u32_e32 v1, vcc_lo, 0, v1, vcc_lo
	s_waitcnt lgkmcnt(0)
	s_cmp_eq_u64 s[10:11], 0
	global_load_b128 v[0:3], v[0:1], off
	s_waitcnt vmcnt(0)
	v_cvt_f32_f16_e32 v4, v0
	v_lshrrev_b32_e32 v0, 16, v0
	v_cvt_f32_f16_e32 v5, v1
	v_lshrrev_b32_e32 v1, 16, v1
	;; [unrolled: 2-line block ×4, first 2 shown]
	v_dual_mul_f32 v4, 0xbfb8aa3b, v4 :: v_dual_mul_f32 v5, 0xbfb8aa3b, v5
	v_cvt_f32_f16_e32 v0, v0
	v_cvt_f32_f16_e32 v1, v1
	v_cvt_f32_f16_e32 v2, v2
	v_cvt_f32_f16_e32 v3, v3
	v_dual_mul_f32 v6, 0xbfb8aa3b, v6 :: v_dual_mul_f32 v7, 0xbfb8aa3b, v7
	v_exp_f32_e32 v4, v4
	v_dual_mul_f32 v0, 0xbfb8aa3b, v0 :: v_dual_mul_f32 v1, 0xbfb8aa3b, v1
	v_exp_f32_e32 v5, v5
	s_delay_alu instid0(VALU_DEP_2)
	v_exp_f32_e32 v6, v6
	v_mul_f32_e32 v2, 0xbfb8aa3b, v2
	v_exp_f32_e32 v7, v7
	v_dual_mul_f32 v3, 0xbfb8aa3b, v3 :: v_dual_lshlrev_b32 v18, 3, v17
	v_exp_f32_e32 v0, v0
	v_exp_f32_e32 v1, v1
	;; [unrolled: 1-line block ×3, first 2 shown]
	s_delay_alu instid0(VALU_DEP_1) | instskip(SKIP_2) | instid1(VALU_DEP_2)
	v_exp_f32_e32 v3, v3
	v_dual_add_f32 v4, 1.0, v4 :: v_dual_add_f32 v5, 1.0, v5
	v_dual_add_f32 v6, 1.0, v6 :: v_dual_add_f32 v7, 1.0, v7
	v_div_scale_f32 v8, null, v4, v4, 1.0
	s_delay_alu instid0(TRANS32_DEP_3) | instskip(NEXT) | instid1(VALU_DEP_4)
	v_dual_add_f32 v0, 1.0, v0 :: v_dual_add_f32 v1, 1.0, v1
	v_div_scale_f32 v10, null, v5, v5, 1.0
	s_delay_alu instid0(VALU_DEP_4) | instskip(NEXT) | instid1(TRANS32_DEP_1)
	v_div_scale_f32 v12, null, v6, v6, 1.0
	v_dual_add_f32 v14, 1.0, v2 :: v_dual_add_f32 v19, 1.0, v3
	v_div_scale_f32 v2, null, v7, v7, 1.0
	v_rcp_f32_e32 v3, v8
	v_div_scale_f32 v20, null, v0, v0, 1.0
	v_rcp_f32_e32 v22, v10
	;; [unrolled: 2-line block ×3, first 2 shown]
	v_rcp_f32_e32 v28, v2
	v_div_scale_f32 v29, null, v19, v19, 1.0
	v_rcp_f32_e32 v30, v20
	v_div_scale_f32 v26, null, v14, v14, 1.0
	v_rcp_f32_e32 v32, v23
	v_fma_f32 v34, -v8, v3, 1.0
	v_rcp_f32_e32 v35, v29
	v_div_scale_f32 v9, vcc_lo, 1.0, v4, 1.0
	v_rcp_f32_e32 v33, v26
	v_fma_f32 v36, -v10, v22, 1.0
	v_fma_f32 v37, -v12, v25, 1.0
	;; [unrolled: 1-line block ×3, first 2 shown]
	v_fmac_f32_e32 v3, v34, v3
	v_fma_f32 v34, -v20, v30, 1.0
	v_fmac_f32_e32 v22, v36, v22
	v_div_scale_f32 v11, s2, 1.0, v5, 1.0
	v_fma_f32 v36, -v23, v32, 1.0
	v_dual_fmac_f32 v25, v37, v25 :: v_dual_fmac_f32 v28, v38, v28
	v_fma_f32 v38, -v29, v35, 1.0
	v_dual_mul_f32 v39, v9, v3 :: v_dual_fmac_f32 v30, v34, v30
	v_div_scale_f32 v21, s5, 1.0, v0, 1.0
	v_div_scale_f32 v24, s6, 1.0, v1, 1.0
	v_fma_f32 v37, -v26, v33, 1.0
	v_mul_f32_e32 v34, v11, v22
	v_dual_fmac_f32 v32, v36, v32 :: v_dual_fmac_f32 v35, v38, v35
	v_fma_f32 v38, -v8, v39, v9
	v_mul_f32_e32 v40, v21, v30
	v_div_scale_f32 v13, s3, 1.0, v6, 1.0
	v_div_scale_f32 v15, s4, 1.0, v7, 1.0
	s_delay_alu instid0(VALU_DEP_4)
	v_fmac_f32_e32 v39, v38, v3
	v_fmac_f32_e32 v33, v37, v33
	v_fma_f32 v41, -v10, v34, v11
	v_mul_f32_e32 v42, v24, v32
	v_fma_f32 v38, -v20, v40, v21
	v_div_scale_f32 v27, s7, 1.0, v14, 1.0
	v_dual_mul_f32 v36, v13, v25 :: v_dual_mul_f32 v37, v15, v28
	v_fmac_f32_e32 v34, v41, v22
	v_fma_f32 v41, -v23, v42, v24
	v_fma_f32 v8, -v8, v39, v9
	v_fmac_f32_e32 v40, v38, v30
	v_fma_f32 v43, -v12, v36, v13
	v_fma_f32 v45, -v2, v37, v15
	v_mul_f32_e32 v44, v27, v33
	v_fmac_f32_e32 v42, v41, v32
	v_div_fmas_f32 v3, v8, v3, v39
	v_fma_f32 v8, -v20, v40, v21
	v_fmac_f32_e32 v37, v45, v28
	v_fma_f32 v9, -v10, v34, v11
	v_fmac_f32_e32 v36, v43, v25
	v_fma_f32 v43, -v26, v44, v27
	s_mov_b32 vcc_lo, s5
	v_fma_f32 v11, -v23, v42, v24
	v_div_fixup_f32 v3, v3, v4, 1.0
	v_div_fmas_f32 v4, v8, v30, v40
	s_mov_b32 vcc_lo, s2
	v_fmac_f32_e32 v44, v43, v33
	v_div_fmas_f32 v8, v9, v22, v34
	s_mov_b32 vcc_lo, s6
	v_fma_f32 v10, -v12, v36, v13
	v_div_fmas_f32 v9, v11, v32, v42
	v_cmp_class_f32_e64 vcc_lo, v3, 0x1f8
	v_fma_f32 v12, -v26, v44, v27
	v_div_fixup_f32 v4, v4, v0, 1.0
	v_div_scale_f32 v31, s8, 1.0, v19, 1.0
	v_cndmask_b32_e32 v0, 0, v3, vcc_lo
	s_mov_b32 vcc_lo, s3
	v_fma_f32 v2, -v2, v37, v15
	v_div_fmas_f32 v3, v10, v25, v36
	s_mov_b32 vcc_lo, s7
	v_div_fixup_f32 v5, v8, v5, 1.0
	v_div_fmas_f32 v8, v12, v33, v44
	s_mov_b32 vcc_lo, s4
	v_div_fixup_f32 v9, v9, v1, 1.0
	v_div_fmas_f32 v10, v2, v28, v37
	v_cmp_class_f32_e64 vcc_lo, v4, 0x1f8
	v_mul_f32_e32 v46, v31, v35
	s_delay_alu instid0(VALU_DEP_3) | instskip(SKIP_1) | instid1(VALU_DEP_3)
	v_div_fixup_f32 v7, v10, v7, 1.0
	v_cndmask_b32_e32 v1, 0, v4, vcc_lo
	v_fma_f32 v45, -v29, v46, v31
	s_mov_b32 vcc_lo, s8
	v_div_fixup_f32 v4, v3, v6, 1.0
	s_delay_alu instid0(VALU_DEP_2) | instskip(NEXT) | instid1(VALU_DEP_1)
	v_fmac_f32_e32 v46, v45, v35
	v_fma_f32 v13, -v29, v46, v31
	s_delay_alu instid0(VALU_DEP_1)
	v_div_fmas_f32 v6, v13, v35, v46
	v_cmp_class_f32_e64 vcc_lo, v5, 0x1f8
	v_cndmask_b32_e32 v2, 0, v5, vcc_lo
	v_cmp_class_f32_e64 vcc_lo, v9, 0x1f8
	v_div_fixup_f32 v5, v8, v14, 1.0
	v_div_fixup_f32 v8, v6, v19, 1.0
	v_cndmask_b32_e32 v3, 0, v9, vcc_lo
	v_cmp_class_f32_e64 vcc_lo, v4, 0x1f8
	v_cndmask_b32_e32 v4, 0, v4, vcc_lo
	v_cmp_class_f32_e64 vcc_lo, v5, 0x1f8
	;; [unrolled: 2-line block ×4, first 2 shown]
	v_cndmask_b32_e32 v7, 0, v8, vcc_lo
	s_cbranch_scc1 .LBB303_27
; %bb.4:
	v_lshlrev_b32_e32 v12, 2, v18
	s_clause 0x1
	global_load_b128 v[8:11], v12, s[10:11]
	global_load_b128 v[12:15], v12, s[10:11] offset:16
	s_waitcnt vmcnt(1)
	v_dual_add_f32 v9, v9, v1 :: v_dual_add_f32 v8, v8, v0
	v_dual_add_f32 v11, v11, v3 :: v_dual_add_f32 v10, v10, v2
	s_waitcnt vmcnt(0)
	v_dual_add_f32 v13, v13, v5 :: v_dual_add_f32 v12, v12, v4
	v_dual_add_f32 v15, v15, v7 :: v_dual_add_f32 v14, v14, v6
	s_cbranch_execnz .LBB303_6
.LBB303_5:
	v_dual_mov_b32 v15, v7 :: v_dual_mov_b32 v14, v6
	v_dual_mov_b32 v13, v5 :: v_dual_mov_b32 v12, v4
	v_dual_mov_b32 v11, v3 :: v_dual_mov_b32 v10, v2
	v_dual_mov_b32 v9, v1 :: v_dual_mov_b32 v8, v0
.LBB303_6:
	s_load_b128 s[8:11], s[0:1], 0x30
	v_cmp_eq_u32_e64 s2, 0, v17
	s_mov_b32 s6, 0
	s_waitcnt lgkmcnt(0)
	s_bitcmp1_b32 s11, 0
	s_cselect_b32 vcc_lo, -1, 0
	s_cmp_gt_i32 s8, 0
	s_cselect_b32 s5, -1, 0
	s_cmp_lt_i32 s8, 1
	s_cbranch_scc1 .LBB303_28
; %bb.7:
	v_mbcnt_lo_u32_b32 v19, -1, 0
	s_load_b128 s[12:15], s[0:1], 0x20
	v_mov_b32_e32 v24, v16
	s_delay_alu instid0(VALU_DEP_2) | instskip(SKIP_3) | instid1(VALU_DEP_4)
	v_and_b32_e32 v20, 24, v19
	v_xor_b32_e32 v21, 4, v19
	v_xor_b32_e32 v22, 2, v19
	;; [unrolled: 1-line block ×3, first 2 shown]
	v_add_nc_u32_e32 v20, 8, v20
	s_delay_alu instid0(VALU_DEP_1) | instskip(NEXT) | instid1(VALU_DEP_1)
	v_cmp_lt_i32_e64 s0, v21, v20
	v_cndmask_b32_e64 v21, v19, v21, s0
	v_cmp_lt_i32_e64 s0, v22, v20
	s_delay_alu instid0(VALU_DEP_2) | instskip(NEXT) | instid1(VALU_DEP_2)
	v_lshlrev_b32_e32 v21, 2, v21
	v_cndmask_b32_e64 v22, v19, v22, s0
	v_cmp_lt_i32_e64 s0, v23, v20
	v_mul_lo_u32 v20, v16, s8
	s_delay_alu instid0(VALU_DEP_3) | instskip(NEXT) | instid1(VALU_DEP_3)
	v_lshlrev_b32_e32 v22, 2, v22
	v_cndmask_b32_e64 v23, v19, v23, s0
	v_mov_b32_e32 v19, 0
	s_delay_alu instid0(VALU_DEP_2)
	v_lshlrev_b32_e32 v23, 2, v23
	s_branch .LBB303_10
.LBB303_8:                              ;   in Loop: Header=BB303_10 Depth=1
	s_or_b32 exec_lo, exec_lo, s1
.LBB303_9:                              ;   in Loop: Header=BB303_10 Depth=1
	v_add_nc_u32_e32 v24, s18, v24
	s_cmp_eq_u32 s8, s6
	s_cbranch_scc1 .LBB303_29
.LBB303_10:                             ; =>This Inner Loop Header: Depth=1
	v_cmp_gt_f32_e64 s0, v9, v8
	s_delay_alu instid0(VALU_DEP_1) | instskip(SKIP_2) | instid1(VALU_DEP_3)
	v_cndmask_b32_e64 v26, v8, v9, s0
	v_cndmask_b32_e64 v25, 0, 1, s0
	;; [unrolled: 1-line block ×3, first 2 shown]
	v_cmp_gt_f32_e64 s1, v10, v26
	s_delay_alu instid0(VALU_DEP_1) | instskip(NEXT) | instid1(VALU_DEP_4)
	v_cndmask_b32_e64 v26, v26, v10, s1
	v_cndmask_b32_e64 v25, v25, 2, s1
	s_delay_alu instid0(VALU_DEP_4) | instskip(NEXT) | instid1(VALU_DEP_3)
	v_cndmask_b32_e64 v27, v27, v2, s1
	v_cmp_gt_f32_e64 s3, v11, v26
	s_delay_alu instid0(VALU_DEP_1) | instskip(NEXT) | instid1(VALU_DEP_4)
	v_cndmask_b32_e64 v26, v26, v11, s3
	v_cndmask_b32_e64 v25, v25, 3, s3
	s_delay_alu instid0(VALU_DEP_4) | instskip(NEXT) | instid1(VALU_DEP_3)
	v_cndmask_b32_e64 v27, v27, v3, s3
	v_cmp_gt_f32_e64 s4, v12, v26
	s_delay_alu instid0(VALU_DEP_1) | instskip(NEXT) | instid1(VALU_DEP_4)
	v_cndmask_b32_e64 v26, v26, v12, s4
	v_cndmask_b32_e64 v25, v25, 4, s4
	s_delay_alu instid0(VALU_DEP_4) | instskip(SKIP_1) | instid1(VALU_DEP_3)
	v_cndmask_b32_e64 v27, v27, v4, s4
	s_mov_b32 s4, exec_lo
	v_cmp_gt_f32_e64 s0, v13, v26
	s_delay_alu instid0(VALU_DEP_1) | instskip(SKIP_2) | instid1(VALU_DEP_3)
	v_cndmask_b32_e64 v26, v26, v13, s0
	v_cndmask_b32_e64 v25, v25, 5, s0
	;; [unrolled: 1-line block ×3, first 2 shown]
	v_cmp_gt_f32_e64 s1, v14, v26
	s_delay_alu instid0(VALU_DEP_1) | instskip(NEXT) | instid1(VALU_DEP_4)
	v_cndmask_b32_e64 v26, v26, v14, s1
	v_cndmask_b32_e64 v25, v25, 6, s1
	s_waitcnt lgkmcnt(0)
	v_cndmask_b32_e64 v28, v27, v6, s1
	s_delay_alu instid0(VALU_DEP_3) | instskip(NEXT) | instid1(VALU_DEP_1)
	v_cmp_gt_f32_e64 s0, v15, v26
	v_cndmask_b32_e64 v25, v25, 7, s0
	v_cndmask_b32_e64 v27, v26, v15, s0
	s_delay_alu instid0(VALU_DEP_4) | instskip(NEXT) | instid1(VALU_DEP_3)
	v_cndmask_b32_e64 v26, v28, v7, s0
	v_or_b32_e32 v25, v18, v25
	ds_bpermute_b32 v28, v21, v27
	ds_bpermute_b32 v30, v21, v26
	;; [unrolled: 1-line block ×3, first 2 shown]
	s_waitcnt lgkmcnt(0)
	v_cmp_lt_f32_e64 s3, v27, v28
	v_cmpx_nlt_f32_e32 v27, v28
; %bb.11:                               ;   in Loop: Header=BB303_10 Depth=1
	v_cmp_eq_f32_e64 s0, v27, v28
	v_cmp_lt_i32_e64 s1, v29, v25
	s_delay_alu instid0(VALU_DEP_1) | instskip(SKIP_2) | instid1(SALU_CYCLE_1)
	s_and_b32 s0, s0, s1
	s_and_not1_b32 s1, s3, exec_lo
	s_and_b32 s0, s0, exec_lo
	s_or_b32 s3, s1, s0
; %bb.12:                               ;   in Loop: Header=BB303_10 Depth=1
	s_or_b32 exec_lo, exec_lo, s4
	s_and_saveexec_b32 s0, s3
; %bb.13:                               ;   in Loop: Header=BB303_10 Depth=1
	v_dual_mov_b32 v26, v30 :: v_dual_mov_b32 v27, v28
	v_mov_b32_e32 v25, v29
; %bb.14:                               ;   in Loop: Header=BB303_10 Depth=1
	s_or_b32 exec_lo, exec_lo, s0
	ds_bpermute_b32 v28, v22, v27
	ds_bpermute_b32 v30, v22, v26
	;; [unrolled: 1-line block ×3, first 2 shown]
	s_mov_b32 s4, exec_lo
	s_waitcnt lgkmcnt(2)
	v_cmp_lt_f32_e64 s3, v27, v28
	v_cmpx_nlt_f32_e32 v27, v28
	s_cbranch_execz .LBB303_16
; %bb.15:                               ;   in Loop: Header=BB303_10 Depth=1
	v_cmp_eq_f32_e64 s0, v27, v28
	s_waitcnt lgkmcnt(0)
	v_cmp_lt_i32_e64 s1, v29, v25
	s_delay_alu instid0(VALU_DEP_1) | instskip(SKIP_2) | instid1(SALU_CYCLE_1)
	s_and_b32 s0, s0, s1
	s_and_not1_b32 s1, s3, exec_lo
	s_and_b32 s0, s0, exec_lo
	s_or_b32 s3, s1, s0
.LBB303_16:                             ;   in Loop: Header=BB303_10 Depth=1
	s_or_b32 exec_lo, exec_lo, s4
	s_delay_alu instid0(VALU_DEP_2)
	s_and_saveexec_b32 s0, s3
	s_cbranch_execz .LBB303_18
; %bb.17:                               ;   in Loop: Header=BB303_10 Depth=1
	s_waitcnt lgkmcnt(1)
	v_dual_mov_b32 v26, v30 :: v_dual_mov_b32 v27, v28
	s_waitcnt lgkmcnt(0)
	v_mov_b32_e32 v25, v29
.LBB303_18:                             ;   in Loop: Header=BB303_10 Depth=1
	s_or_b32 exec_lo, exec_lo, s0
	s_waitcnt lgkmcnt(1)
	ds_bpermute_b32 v30, v23, v27
	ds_bpermute_b32 v28, v23, v26
	s_waitcnt lgkmcnt(2)
	ds_bpermute_b32 v29, v23, v25
	s_mov_b32 s4, exec_lo
	s_waitcnt lgkmcnt(2)
	v_cmp_lt_f32_e64 s3, v27, v30
	v_cmpx_nlt_f32_e32 v27, v30
	s_cbranch_execnz .LBB303_22
; %bb.19:                               ;   in Loop: Header=BB303_10 Depth=1
	s_or_b32 exec_lo, exec_lo, s4
	s_delay_alu instid0(VALU_DEP_2)
	s_and_saveexec_b32 s0, s3
	s_cbranch_execnz .LBB303_23
.LBB303_20:                             ;   in Loop: Header=BB303_10 Depth=1
	s_or_b32 exec_lo, exec_lo, s0
	s_and_saveexec_b32 s3, s2
	s_cbranch_execnz .LBB303_24
.LBB303_21:                             ;   in Loop: Header=BB303_10 Depth=1
	s_or_b32 exec_lo, exec_lo, s3
	s_add_i32 s6, s6, 1
	s_delay_alu instid0(SALU_CYCLE_1)
	s_cmp_ge_i32 s6, s8
	s_cbranch_scc1 .LBB303_9
	s_branch .LBB303_25
.LBB303_22:                             ;   in Loop: Header=BB303_10 Depth=1
	v_cmp_eq_f32_e64 s0, v27, v30
	s_waitcnt lgkmcnt(0)
	v_cmp_lt_i32_e64 s1, v29, v25
	s_delay_alu instid0(VALU_DEP_1) | instskip(SKIP_2) | instid1(SALU_CYCLE_1)
	s_and_b32 s0, s0, s1
	s_and_not1_b32 s1, s3, exec_lo
	s_and_b32 s0, s0, exec_lo
	s_or_b32 s3, s1, s0
	s_or_b32 exec_lo, exec_lo, s4
	s_and_saveexec_b32 s0, s3
	s_cbranch_execz .LBB303_20
.LBB303_23:                             ;   in Loop: Header=BB303_10 Depth=1
	s_waitcnt lgkmcnt(0)
	v_dual_mov_b32 v25, v29 :: v_dual_mov_b32 v26, v28
	s_or_b32 exec_lo, exec_lo, s0
	s_and_saveexec_b32 s3, s2
	s_cbranch_execz .LBB303_21
.LBB303_24:                             ;   in Loop: Header=BB303_10 Depth=1
	v_add_nc_u32_e32 v27, s6, v20
	v_subrev_nc_u32_e32 v31, s9, v25
	v_cmp_le_i32_e64 s0, s9, v25
	v_cmp_gt_i32_e64 s1, s10, v25
	v_add_f32_e32 v35, v19, v26
	s_waitcnt lgkmcnt(1)
	v_ashrrev_i32_e32 v28, 31, v27
	v_ashrrev_i32_e32 v32, 31, v31
	s_and_b32 s0, s0, s1
	v_cndmask_b32_e32 v19, v19, v35, vcc_lo
	s_waitcnt lgkmcnt(0)
	v_lshlrev_b64 v[29:30], 2, v[27:28]
	v_lshlrev_b64 v[27:28], 3, v[27:28]
	s_and_b32 s0, s19, s0
	s_delay_alu instid0(SALU_CYCLE_1) | instskip(SKIP_1) | instid1(VALU_DEP_4)
	v_cndmask_b32_e64 v32, 0, v32, s0
	v_cndmask_b32_e64 v31, 64, v31, s0
	v_add_co_u32 v33, s0, s16, v29
	s_delay_alu instid0(VALU_DEP_1) | instskip(SKIP_1) | instid1(VALU_DEP_1)
	v_add_co_ci_u32_e64 v34, s0, s17, v30, s0
	v_add_co_u32 v27, s0, s12, v27
	v_add_co_ci_u32_e64 v28, s0, s13, v28, s0
	v_add_co_u32 v29, s0, s14, v29
	s_delay_alu instid0(VALU_DEP_1)
	v_add_co_ci_u32_e64 v30, s0, s15, v30, s0
	global_store_b32 v[33:34], v26, off
	global_store_b64 v[27:28], v[31:32], off
	global_store_b32 v[29:30], v24, off
	s_or_b32 exec_lo, exec_lo, s3
	s_add_i32 s6, s6, 1
	s_delay_alu instid0(SALU_CYCLE_1)
	s_cmp_ge_i32 s6, s8
	s_cbranch_scc1 .LBB303_9
.LBB303_25:                             ;   in Loop: Header=BB303_10 Depth=1
	v_ashrrev_i32_e32 v27, 31, v25
	s_mov_b32 s1, exec_lo
	s_delay_alu instid0(VALU_DEP_1) | instskip(NEXT) | instid1(VALU_DEP_1)
	v_lshrrev_b32_e32 v26, 29, v27
	v_add_nc_u32_e32 v26, v25, v26
	s_delay_alu instid0(VALU_DEP_1) | instskip(SKIP_1) | instid1(VALU_DEP_1)
	v_ashrrev_i32_e32 v26, 3, v26
	s_waitcnt lgkmcnt(1)
	v_lshrrev_b32_e32 v28, 29, v26
	s_delay_alu instid0(VALU_DEP_1) | instskip(NEXT) | instid1(VALU_DEP_1)
	v_add_nc_u32_e32 v28, v26, v28
	v_and_b32_e32 v28, -8, v28
	s_delay_alu instid0(VALU_DEP_1) | instskip(NEXT) | instid1(VALU_DEP_1)
	v_sub_nc_u32_e32 v28, v26, v28
	v_cmpx_eq_u32_e64 v17, v28
	s_cbranch_execz .LBB303_8
; %bb.26:                               ;   in Loop: Header=BB303_10 Depth=1
	v_lshrrev_b32_e32 v27, 26, v27
	v_lshlrev_b32_e32 v26, 3, v26
	s_delay_alu instid0(VALU_DEP_2) | instskip(NEXT) | instid1(VALU_DEP_2)
	v_add_nc_u32_e32 v27, v25, v27
	v_sub_nc_u32_e32 v25, v25, v26
	s_delay_alu instid0(VALU_DEP_2) | instskip(NEXT) | instid1(VALU_DEP_1)
	v_ashrrev_i32_e32 v26, 6, v27
	v_lshl_add_u32 v25, v26, 3, v25
	s_delay_alu instid0(VALU_DEP_1) | instskip(NEXT) | instid1(VALU_DEP_1)
	v_cmp_ne_u32_e64 s0, 7, v25
	v_cndmask_b32_e64 v15, 0xc61c4000, v15, s0
	v_cmp_ne_u32_e64 s0, 6, v25
	s_delay_alu instid0(VALU_DEP_1) | instskip(SKIP_1) | instid1(VALU_DEP_1)
	v_cndmask_b32_e64 v14, 0xc61c4000, v14, s0
	v_cmp_ne_u32_e64 s0, 5, v25
	v_cndmask_b32_e64 v13, 0xc61c4000, v13, s0
	v_cmp_ne_u32_e64 s0, 4, v25
	s_delay_alu instid0(VALU_DEP_1) | instskip(SKIP_1) | instid1(VALU_DEP_1)
	v_cndmask_b32_e64 v12, 0xc61c4000, v12, s0
	;; [unrolled: 5-line block ×3, first 2 shown]
	v_cmp_ne_u32_e64 s0, 1, v25
	v_cndmask_b32_e64 v9, 0xc61c4000, v9, s0
	v_cmp_ne_u32_e64 s0, 0, v25
	s_delay_alu instid0(VALU_DEP_1)
	v_cndmask_b32_e64 v8, 0xc61c4000, v8, s0
	s_branch .LBB303_8
.LBB303_27:
                                        ; implicit-def: $vgpr8_vgpr9_vgpr10_vgpr11_vgpr12_vgpr13_vgpr14_vgpr15
	s_and_not1_b32 vcc_lo, exec_lo, s9
	s_cbranch_vccz .LBB303_5
	s_branch .LBB303_6
.LBB303_28:
	v_mov_b32_e32 v19, 0
.LBB303_29:
	v_cmp_eq_u32_e64 s0, 0, v17
	s_delay_alu instid0(VALU_DEP_1) | instskip(NEXT) | instid1(SALU_CYCLE_1)
	s_and_b32 s0, s0, vcc_lo
	s_and_b32 exec_lo, exec_lo, s0
	s_cbranch_execz .LBB303_33
; %bb.30:
	s_and_not1_b32 vcc_lo, exec_lo, s5
	s_cbranch_vccnz .LBB303_33
; %bb.31:
	v_mul_lo_u32 v0, v16, s8
	v_cmp_lt_f32_e32 vcc_lo, 0, v19
	v_cndmask_b32_e32 v2, 1.0, v19, vcc_lo
	s_delay_alu instid0(VALU_DEP_3) | instskip(NEXT) | instid1(VALU_DEP_1)
	v_ashrrev_i32_e32 v1, 31, v0
	v_lshlrev_b64 v[0:1], 2, v[0:1]
	s_delay_alu instid0(VALU_DEP_1) | instskip(NEXT) | instid1(VALU_DEP_2)
	v_add_co_u32 v0, vcc_lo, s16, v0
	v_add_co_ci_u32_e32 v1, vcc_lo, s17, v1, vcc_lo
	.p2align	6
.LBB303_32:                             ; =>This Inner Loop Header: Depth=1
	global_load_b32 v3, v[0:1], off
	s_add_i32 s8, s8, -1
	s_delay_alu instid0(SALU_CYCLE_1) | instskip(SKIP_3) | instid1(VALU_DEP_2)
	s_cmp_lg_u32 s8, 0
	s_waitcnt vmcnt(0)
	v_div_scale_f32 v4, null, v2, v2, v3
	v_div_scale_f32 v7, vcc_lo, v3, v2, v3
	v_rcp_f32_e32 v5, v4
	s_waitcnt_depctr 0xfff
	v_fma_f32 v6, -v4, v5, 1.0
	s_delay_alu instid0(VALU_DEP_1) | instskip(NEXT) | instid1(VALU_DEP_1)
	v_fmac_f32_e32 v5, v6, v5
	v_mul_f32_e32 v6, v7, v5
	s_delay_alu instid0(VALU_DEP_1) | instskip(NEXT) | instid1(VALU_DEP_1)
	v_fma_f32 v8, -v4, v6, v7
	v_fmac_f32_e32 v6, v8, v5
	s_delay_alu instid0(VALU_DEP_1) | instskip(NEXT) | instid1(VALU_DEP_1)
	v_fma_f32 v4, -v4, v6, v7
	v_div_fmas_f32 v4, v4, v5, v6
	s_delay_alu instid0(VALU_DEP_1)
	v_div_fixup_f32 v3, v4, v2, v3
	global_store_b32 v[0:1], v3, off
	v_add_co_u32 v0, vcc_lo, v0, 4
	v_add_co_ci_u32_e32 v1, vcc_lo, 0, v1, vcc_lo
	s_cbranch_scc1 .LBB303_32
.LBB303_33:
	s_nop 0
	s_sendmsg sendmsg(MSG_DEALLOC_VGPRS)
	s_endpgm
	.section	.rodata,"a",@progbits
	.p2align	6, 0x0
	.amdhsa_kernel _ZN4vllm3moe10topkGatingILi8ELi64ELi4ELi16ELi32El6__halfLNS0_11ScoringFuncE1EEEvPKT5_PKbPfiPT4_PiiiibPKf
		.amdhsa_group_segment_fixed_size 0
		.amdhsa_private_segment_fixed_size 0
		.amdhsa_kernarg_size 72
		.amdhsa_user_sgpr_count 15
		.amdhsa_user_sgpr_dispatch_ptr 0
		.amdhsa_user_sgpr_queue_ptr 0
		.amdhsa_user_sgpr_kernarg_segment_ptr 1
		.amdhsa_user_sgpr_dispatch_id 0
		.amdhsa_user_sgpr_private_segment_size 0
		.amdhsa_wavefront_size32 1
		.amdhsa_uses_dynamic_stack 0
		.amdhsa_enable_private_segment 0
		.amdhsa_system_sgpr_workgroup_id_x 1
		.amdhsa_system_sgpr_workgroup_id_y 0
		.amdhsa_system_sgpr_workgroup_id_z 0
		.amdhsa_system_sgpr_workgroup_info 0
		.amdhsa_system_vgpr_workitem_id 1
		.amdhsa_next_free_vgpr 47
		.amdhsa_next_free_sgpr 20
		.amdhsa_reserve_vcc 1
		.amdhsa_float_round_mode_32 0
		.amdhsa_float_round_mode_16_64 0
		.amdhsa_float_denorm_mode_32 3
		.amdhsa_float_denorm_mode_16_64 3
		.amdhsa_dx10_clamp 1
		.amdhsa_ieee_mode 1
		.amdhsa_fp16_overflow 0
		.amdhsa_workgroup_processor_mode 1
		.amdhsa_memory_ordered 1
		.amdhsa_forward_progress 0
		.amdhsa_shared_vgpr_count 0
		.amdhsa_exception_fp_ieee_invalid_op 0
		.amdhsa_exception_fp_denorm_src 0
		.amdhsa_exception_fp_ieee_div_zero 0
		.amdhsa_exception_fp_ieee_overflow 0
		.amdhsa_exception_fp_ieee_underflow 0
		.amdhsa_exception_fp_ieee_inexact 0
		.amdhsa_exception_int_div_zero 0
	.end_amdhsa_kernel
	.section	.text._ZN4vllm3moe10topkGatingILi8ELi64ELi4ELi16ELi32El6__halfLNS0_11ScoringFuncE1EEEvPKT5_PKbPfiPT4_PiiiibPKf,"axG",@progbits,_ZN4vllm3moe10topkGatingILi8ELi64ELi4ELi16ELi32El6__halfLNS0_11ScoringFuncE1EEEvPKT5_PKbPfiPT4_PiiiibPKf,comdat
.Lfunc_end303:
	.size	_ZN4vllm3moe10topkGatingILi8ELi64ELi4ELi16ELi32El6__halfLNS0_11ScoringFuncE1EEEvPKT5_PKbPfiPT4_PiiiibPKf, .Lfunc_end303-_ZN4vllm3moe10topkGatingILi8ELi64ELi4ELi16ELi32El6__halfLNS0_11ScoringFuncE1EEEvPKT5_PKbPfiPT4_PiiiibPKf
                                        ; -- End function
	.section	.AMDGPU.csdata,"",@progbits
; Kernel info:
; codeLenInByte = 2912
; NumSgprs: 22
; NumVgprs: 47
; ScratchSize: 0
; MemoryBound: 0
; FloatMode: 240
; IeeeMode: 1
; LDSByteSize: 0 bytes/workgroup (compile time only)
; SGPRBlocks: 2
; VGPRBlocks: 5
; NumSGPRsForWavesPerEU: 22
; NumVGPRsForWavesPerEU: 47
; Occupancy: 16
; WaveLimiterHint : 0
; COMPUTE_PGM_RSRC2:SCRATCH_EN: 0
; COMPUTE_PGM_RSRC2:USER_SGPR: 15
; COMPUTE_PGM_RSRC2:TRAP_HANDLER: 0
; COMPUTE_PGM_RSRC2:TGID_X_EN: 1
; COMPUTE_PGM_RSRC2:TGID_Y_EN: 0
; COMPUTE_PGM_RSRC2:TGID_Z_EN: 0
; COMPUTE_PGM_RSRC2:TIDIG_COMP_CNT: 1
	.section	.text._ZN4vllm3moe10topkGatingILi8ELi128ELi4ELi16ELi64El6__halfLNS0_11ScoringFuncE1EEEvPKT5_PKbPfiPT4_PiiiibPKf,"axG",@progbits,_ZN4vllm3moe10topkGatingILi8ELi128ELi4ELi16ELi64El6__halfLNS0_11ScoringFuncE1EEEvPKT5_PKbPfiPT4_PiiiibPKf,comdat
	.protected	_ZN4vllm3moe10topkGatingILi8ELi128ELi4ELi16ELi64El6__halfLNS0_11ScoringFuncE1EEEvPKT5_PKbPfiPT4_PiiiibPKf ; -- Begin function _ZN4vllm3moe10topkGatingILi8ELi128ELi4ELi16ELi64El6__halfLNS0_11ScoringFuncE1EEEvPKT5_PKbPfiPT4_PiiiibPKf
	.globl	_ZN4vllm3moe10topkGatingILi8ELi128ELi4ELi16ELi64El6__halfLNS0_11ScoringFuncE1EEEvPKT5_PKbPfiPT4_PiiiibPKf
	.p2align	8
	.type	_ZN4vllm3moe10topkGatingILi8ELi128ELi4ELi16ELi64El6__halfLNS0_11ScoringFuncE1EEEvPKT5_PKbPfiPT4_PiiiibPKf,@function
_ZN4vllm3moe10topkGatingILi8ELi128ELi4ELi16ELi64El6__halfLNS0_11ScoringFuncE1EEEvPKT5_PKbPfiPT4_PiiiibPKf: ; @_ZN4vllm3moe10topkGatingILi8ELi128ELi4ELi16ELi64El6__halfLNS0_11ScoringFuncE1EEEvPKT5_PKbPfiPT4_PiiiibPKf
; %bb.0:
	s_load_b32 s18, s[0:1], 0x18
	v_bfe_u32 v1, v0, 10, 10
	v_and_b32_e32 v0, 0x3ff, v0
	s_lshl_b32 s2, s15, 4
	s_delay_alu instid0(VALU_DEP_2) | instskip(NEXT) | instid1(VALU_DEP_2)
	v_lshlrev_b32_e32 v1, 2, v1
	v_lshrrev_b32_e32 v2, 4, v0
	s_delay_alu instid0(VALU_DEP_1) | instskip(SKIP_2) | instid1(VALU_DEP_1)
	v_add3_u32 v16, s2, v1, v2
	s_mov_b32 s2, exec_lo
	s_waitcnt lgkmcnt(0)
	v_cmpx_gt_i32_e64 s18, v16
	s_cbranch_execz .LBB304_37
; %bb.1:
	s_clause 0x1
	s_load_b128 s[4:7], s[0:1], 0x0
	s_load_b64 s[16:17], s[0:1], 0x10
	s_mov_b32 s9, -1
	s_mov_b32 s19, -1
	s_waitcnt lgkmcnt(0)
	s_cmp_eq_u64 s[6:7], 0
	s_cbranch_scc1 .LBB304_3
; %bb.2:
	v_ashrrev_i32_e32 v2, 31, v16
	v_add_co_u32 v1, vcc_lo, s6, v16
	s_delay_alu instid0(VALU_DEP_2) | instskip(SKIP_3) | instid1(VALU_DEP_1)
	v_add_co_ci_u32_e32 v2, vcc_lo, s7, v2, vcc_lo
	global_load_u8 v1, v[1:2], off
	s_waitcnt vmcnt(0)
	v_and_b32_e32 v1, 1, v1
	v_cmp_eq_u32_e32 vcc_lo, 1, v1
	s_xor_b32 s2, vcc_lo, -1
	s_delay_alu instid0(SALU_CYCLE_1)
	s_or_not1_b32 s19, s2, exec_lo
.LBB304_3:
	v_lshlrev_b32_e32 v1, 7, v16
	v_and_b32_e32 v17, 15, v0
	s_load_b64 s[10:11], s[0:1], 0x40
	s_delay_alu instid0(VALU_DEP_2) | instskip(NEXT) | instid1(VALU_DEP_1)
	v_ashrrev_i32_e32 v2, 31, v1
	v_lshlrev_b64 v[0:1], 1, v[1:2]
	s_delay_alu instid0(VALU_DEP_3) | instskip(NEXT) | instid1(VALU_DEP_2)
	v_lshlrev_b32_e32 v2, 4, v17
	v_add_co_u32 v0, vcc_lo, s4, v0
	s_delay_alu instid0(VALU_DEP_3) | instskip(NEXT) | instid1(VALU_DEP_2)
	v_add_co_ci_u32_e32 v1, vcc_lo, s5, v1, vcc_lo
	v_add_co_u32 v0, vcc_lo, v0, v2
	s_delay_alu instid0(VALU_DEP_2)
	v_add_co_ci_u32_e32 v1, vcc_lo, 0, v1, vcc_lo
	s_waitcnt lgkmcnt(0)
	s_cmp_eq_u64 s[10:11], 0
	global_load_b128 v[0:3], v[0:1], off
	s_waitcnt vmcnt(0)
	v_cvt_f32_f16_e32 v4, v0
	v_lshrrev_b32_e32 v0, 16, v0
	v_cvt_f32_f16_e32 v5, v1
	v_lshrrev_b32_e32 v1, 16, v1
	;; [unrolled: 2-line block ×4, first 2 shown]
	v_dual_mul_f32 v4, 0xbfb8aa3b, v4 :: v_dual_mul_f32 v5, 0xbfb8aa3b, v5
	v_cvt_f32_f16_e32 v0, v0
	v_cvt_f32_f16_e32 v1, v1
	;; [unrolled: 1-line block ×4, first 2 shown]
	v_dual_mul_f32 v6, 0xbfb8aa3b, v6 :: v_dual_mul_f32 v7, 0xbfb8aa3b, v7
	v_exp_f32_e32 v4, v4
	v_dual_mul_f32 v0, 0xbfb8aa3b, v0 :: v_dual_mul_f32 v1, 0xbfb8aa3b, v1
	v_exp_f32_e32 v5, v5
	s_delay_alu instid0(VALU_DEP_2)
	v_exp_f32_e32 v6, v6
	v_mul_f32_e32 v2, 0xbfb8aa3b, v2
	v_exp_f32_e32 v7, v7
	v_dual_mul_f32 v3, 0xbfb8aa3b, v3 :: v_dual_lshlrev_b32 v18, 3, v17
	v_exp_f32_e32 v0, v0
	v_exp_f32_e32 v1, v1
	;; [unrolled: 1-line block ×3, first 2 shown]
	s_delay_alu instid0(VALU_DEP_1) | instskip(SKIP_2) | instid1(VALU_DEP_2)
	v_exp_f32_e32 v3, v3
	v_dual_add_f32 v4, 1.0, v4 :: v_dual_add_f32 v5, 1.0, v5
	v_dual_add_f32 v6, 1.0, v6 :: v_dual_add_f32 v7, 1.0, v7
	v_div_scale_f32 v8, null, v4, v4, 1.0
	s_delay_alu instid0(TRANS32_DEP_3) | instskip(NEXT) | instid1(VALU_DEP_4)
	v_dual_add_f32 v0, 1.0, v0 :: v_dual_add_f32 v1, 1.0, v1
	v_div_scale_f32 v10, null, v5, v5, 1.0
	s_delay_alu instid0(VALU_DEP_4) | instskip(NEXT) | instid1(TRANS32_DEP_1)
	v_div_scale_f32 v12, null, v6, v6, 1.0
	v_dual_add_f32 v14, 1.0, v2 :: v_dual_add_f32 v19, 1.0, v3
	v_div_scale_f32 v2, null, v7, v7, 1.0
	v_rcp_f32_e32 v3, v8
	v_div_scale_f32 v20, null, v0, v0, 1.0
	v_rcp_f32_e32 v22, v10
	;; [unrolled: 2-line block ×3, first 2 shown]
	v_rcp_f32_e32 v28, v2
	v_div_scale_f32 v29, null, v19, v19, 1.0
	v_rcp_f32_e32 v30, v20
	v_div_scale_f32 v26, null, v14, v14, 1.0
	v_rcp_f32_e32 v32, v23
	v_fma_f32 v34, -v8, v3, 1.0
	v_rcp_f32_e32 v35, v29
	v_div_scale_f32 v9, vcc_lo, 1.0, v4, 1.0
	v_rcp_f32_e32 v33, v26
	v_fma_f32 v36, -v10, v22, 1.0
	v_fma_f32 v37, -v12, v25, 1.0
	;; [unrolled: 1-line block ×3, first 2 shown]
	v_fmac_f32_e32 v3, v34, v3
	v_fma_f32 v34, -v20, v30, 1.0
	v_fmac_f32_e32 v22, v36, v22
	v_div_scale_f32 v11, s2, 1.0, v5, 1.0
	v_fma_f32 v36, -v23, v32, 1.0
	v_dual_fmac_f32 v25, v37, v25 :: v_dual_fmac_f32 v28, v38, v28
	v_fma_f32 v38, -v29, v35, 1.0
	v_dual_mul_f32 v39, v9, v3 :: v_dual_fmac_f32 v30, v34, v30
	v_div_scale_f32 v21, s5, 1.0, v0, 1.0
	v_div_scale_f32 v24, s6, 1.0, v1, 1.0
	v_fma_f32 v37, -v26, v33, 1.0
	v_mul_f32_e32 v34, v11, v22
	v_dual_fmac_f32 v32, v36, v32 :: v_dual_fmac_f32 v35, v38, v35
	v_fma_f32 v38, -v8, v39, v9
	v_mul_f32_e32 v40, v21, v30
	v_div_scale_f32 v13, s3, 1.0, v6, 1.0
	v_div_scale_f32 v15, s4, 1.0, v7, 1.0
	s_delay_alu instid0(VALU_DEP_4)
	v_fmac_f32_e32 v39, v38, v3
	v_fmac_f32_e32 v33, v37, v33
	v_fma_f32 v41, -v10, v34, v11
	v_mul_f32_e32 v42, v24, v32
	v_fma_f32 v38, -v20, v40, v21
	v_div_scale_f32 v27, s7, 1.0, v14, 1.0
	v_dual_mul_f32 v36, v13, v25 :: v_dual_mul_f32 v37, v15, v28
	v_fmac_f32_e32 v34, v41, v22
	v_fma_f32 v41, -v23, v42, v24
	v_fma_f32 v8, -v8, v39, v9
	v_fmac_f32_e32 v40, v38, v30
	v_fma_f32 v43, -v12, v36, v13
	v_fma_f32 v45, -v2, v37, v15
	v_mul_f32_e32 v44, v27, v33
	v_fmac_f32_e32 v42, v41, v32
	v_div_fmas_f32 v3, v8, v3, v39
	v_fma_f32 v8, -v20, v40, v21
	v_fmac_f32_e32 v37, v45, v28
	v_fma_f32 v9, -v10, v34, v11
	v_fmac_f32_e32 v36, v43, v25
	v_fma_f32 v43, -v26, v44, v27
	s_mov_b32 vcc_lo, s5
	v_fma_f32 v11, -v23, v42, v24
	v_div_fixup_f32 v3, v3, v4, 1.0
	v_div_fmas_f32 v4, v8, v30, v40
	s_mov_b32 vcc_lo, s2
	v_fmac_f32_e32 v44, v43, v33
	v_div_fmas_f32 v8, v9, v22, v34
	s_mov_b32 vcc_lo, s6
	v_fma_f32 v10, -v12, v36, v13
	v_div_fmas_f32 v9, v11, v32, v42
	v_cmp_class_f32_e64 vcc_lo, v3, 0x1f8
	v_fma_f32 v12, -v26, v44, v27
	v_div_fixup_f32 v4, v4, v0, 1.0
	v_div_scale_f32 v31, s8, 1.0, v19, 1.0
	v_cndmask_b32_e32 v0, 0, v3, vcc_lo
	s_mov_b32 vcc_lo, s3
	v_fma_f32 v2, -v2, v37, v15
	v_div_fmas_f32 v3, v10, v25, v36
	s_mov_b32 vcc_lo, s7
	v_div_fixup_f32 v5, v8, v5, 1.0
	v_div_fmas_f32 v8, v12, v33, v44
	s_mov_b32 vcc_lo, s4
	v_div_fixup_f32 v9, v9, v1, 1.0
	v_div_fmas_f32 v10, v2, v28, v37
	v_cmp_class_f32_e64 vcc_lo, v4, 0x1f8
	v_mul_f32_e32 v46, v31, v35
	s_delay_alu instid0(VALU_DEP_3) | instskip(SKIP_1) | instid1(VALU_DEP_3)
	v_div_fixup_f32 v7, v10, v7, 1.0
	v_cndmask_b32_e32 v1, 0, v4, vcc_lo
	v_fma_f32 v45, -v29, v46, v31
	s_mov_b32 vcc_lo, s8
	v_div_fixup_f32 v4, v3, v6, 1.0
	s_delay_alu instid0(VALU_DEP_2) | instskip(NEXT) | instid1(VALU_DEP_1)
	v_fmac_f32_e32 v46, v45, v35
	v_fma_f32 v13, -v29, v46, v31
	s_delay_alu instid0(VALU_DEP_1)
	v_div_fmas_f32 v6, v13, v35, v46
	v_cmp_class_f32_e64 vcc_lo, v5, 0x1f8
	v_cndmask_b32_e32 v2, 0, v5, vcc_lo
	v_cmp_class_f32_e64 vcc_lo, v9, 0x1f8
	v_div_fixup_f32 v5, v8, v14, 1.0
	v_div_fixup_f32 v8, v6, v19, 1.0
	v_cndmask_b32_e32 v3, 0, v9, vcc_lo
	v_cmp_class_f32_e64 vcc_lo, v4, 0x1f8
	v_cndmask_b32_e32 v4, 0, v4, vcc_lo
	v_cmp_class_f32_e64 vcc_lo, v5, 0x1f8
	;; [unrolled: 2-line block ×4, first 2 shown]
	v_cndmask_b32_e32 v7, 0, v8, vcc_lo
	s_cbranch_scc1 .LBB304_31
; %bb.4:
	v_lshlrev_b32_e32 v12, 2, v18
	s_clause 0x1
	global_load_b128 v[8:11], v12, s[10:11]
	global_load_b128 v[12:15], v12, s[10:11] offset:16
	s_waitcnt vmcnt(1)
	v_dual_add_f32 v9, v9, v1 :: v_dual_add_f32 v8, v8, v0
	v_dual_add_f32 v11, v11, v3 :: v_dual_add_f32 v10, v10, v2
	s_waitcnt vmcnt(0)
	v_dual_add_f32 v13, v13, v5 :: v_dual_add_f32 v12, v12, v4
	v_dual_add_f32 v15, v15, v7 :: v_dual_add_f32 v14, v14, v6
	s_cbranch_execnz .LBB304_6
.LBB304_5:
	v_dual_mov_b32 v15, v7 :: v_dual_mov_b32 v14, v6
	v_dual_mov_b32 v13, v5 :: v_dual_mov_b32 v12, v4
	;; [unrolled: 1-line block ×4, first 2 shown]
.LBB304_6:
	s_load_b128 s[8:11], s[0:1], 0x30
	v_cmp_eq_u32_e64 s2, 0, v17
	s_mov_b32 s6, 0
	s_waitcnt lgkmcnt(0)
	s_bitcmp1_b32 s11, 0
	s_cselect_b32 vcc_lo, -1, 0
	s_cmp_gt_i32 s8, 0
	s_cselect_b32 s5, -1, 0
	s_cmp_lt_i32 s8, 1
	s_cbranch_scc1 .LBB304_32
; %bb.7:
	v_mbcnt_lo_u32_b32 v19, -1, 0
	s_load_b128 s[12:15], s[0:1], 0x20
	s_delay_alu instid0(VALU_DEP_1)
	v_dual_mov_b32 v25, v16 :: v_dual_and_b32 v20, 16, v19
	v_xor_b32_e32 v21, 8, v19
	v_xor_b32_e32 v22, 4, v19
	;; [unrolled: 1-line block ×4, first 2 shown]
	v_add_nc_u32_e32 v20, 16, v20
	s_delay_alu instid0(VALU_DEP_1) | instskip(NEXT) | instid1(VALU_DEP_1)
	v_cmp_lt_i32_e64 s0, v21, v20
	v_cndmask_b32_e64 v21, v19, v21, s0
	v_cmp_lt_i32_e64 s0, v22, v20
	s_delay_alu instid0(VALU_DEP_2) | instskip(NEXT) | instid1(VALU_DEP_2)
	v_lshlrev_b32_e32 v21, 2, v21
	v_cndmask_b32_e64 v22, v19, v22, s0
	v_cmp_lt_i32_e64 s0, v23, v20
	s_delay_alu instid0(VALU_DEP_2) | instskip(NEXT) | instid1(VALU_DEP_2)
	v_lshlrev_b32_e32 v22, 2, v22
	v_cndmask_b32_e64 v23, v19, v23, s0
	v_cmp_lt_i32_e64 s0, v24, v20
	v_mul_lo_u32 v20, v16, s8
	s_delay_alu instid0(VALU_DEP_3) | instskip(NEXT) | instid1(VALU_DEP_3)
	v_lshlrev_b32_e32 v23, 2, v23
	v_cndmask_b32_e64 v19, v19, v24, s0
	s_delay_alu instid0(VALU_DEP_1)
	v_dual_mov_b32 v19, 0 :: v_dual_lshlrev_b32 v24, 2, v19
	s_branch .LBB304_10
.LBB304_8:                              ;   in Loop: Header=BB304_10 Depth=1
	s_or_b32 exec_lo, exec_lo, s1
.LBB304_9:                              ;   in Loop: Header=BB304_10 Depth=1
	v_add_nc_u32_e32 v25, s18, v25
	s_cmp_eq_u32 s8, s6
	s_cbranch_scc1 .LBB304_33
.LBB304_10:                             ; =>This Inner Loop Header: Depth=1
	v_cmp_gt_f32_e64 s0, v9, v8
	s_delay_alu instid0(VALU_DEP_1) | instskip(SKIP_2) | instid1(VALU_DEP_3)
	v_cndmask_b32_e64 v27, v8, v9, s0
	v_cndmask_b32_e64 v26, 0, 1, s0
	;; [unrolled: 1-line block ×3, first 2 shown]
	v_cmp_gt_f32_e64 s1, v10, v27
	s_delay_alu instid0(VALU_DEP_1) | instskip(NEXT) | instid1(VALU_DEP_4)
	v_cndmask_b32_e64 v27, v27, v10, s1
	v_cndmask_b32_e64 v26, v26, 2, s1
	s_delay_alu instid0(VALU_DEP_4) | instskip(NEXT) | instid1(VALU_DEP_3)
	v_cndmask_b32_e64 v28, v28, v2, s1
	v_cmp_gt_f32_e64 s3, v11, v27
	s_delay_alu instid0(VALU_DEP_1) | instskip(NEXT) | instid1(VALU_DEP_4)
	v_cndmask_b32_e64 v27, v27, v11, s3
	v_cndmask_b32_e64 v26, v26, 3, s3
	s_delay_alu instid0(VALU_DEP_4) | instskip(NEXT) | instid1(VALU_DEP_3)
	v_cndmask_b32_e64 v28, v28, v3, s3
	v_cmp_gt_f32_e64 s4, v12, v27
	s_delay_alu instid0(VALU_DEP_1) | instskip(NEXT) | instid1(VALU_DEP_4)
	v_cndmask_b32_e64 v27, v27, v12, s4
	v_cndmask_b32_e64 v26, v26, 4, s4
	s_delay_alu instid0(VALU_DEP_4) | instskip(SKIP_1) | instid1(VALU_DEP_3)
	v_cndmask_b32_e64 v28, v28, v4, s4
	s_mov_b32 s4, exec_lo
	v_cmp_gt_f32_e64 s0, v13, v27
	s_delay_alu instid0(VALU_DEP_1) | instskip(SKIP_2) | instid1(VALU_DEP_3)
	v_cndmask_b32_e64 v27, v27, v13, s0
	v_cndmask_b32_e64 v26, v26, 5, s0
	;; [unrolled: 1-line block ×3, first 2 shown]
	v_cmp_gt_f32_e64 s1, v14, v27
	s_delay_alu instid0(VALU_DEP_1) | instskip(NEXT) | instid1(VALU_DEP_4)
	v_cndmask_b32_e64 v27, v27, v14, s1
	v_cndmask_b32_e64 v26, v26, 6, s1
	s_waitcnt lgkmcnt(0)
	v_cndmask_b32_e64 v29, v28, v6, s1
	s_delay_alu instid0(VALU_DEP_3) | instskip(NEXT) | instid1(VALU_DEP_1)
	v_cmp_gt_f32_e64 s0, v15, v27
	v_cndmask_b32_e64 v26, v26, 7, s0
	v_cndmask_b32_e64 v28, v27, v15, s0
	s_delay_alu instid0(VALU_DEP_4) | instskip(NEXT) | instid1(VALU_DEP_3)
	v_cndmask_b32_e64 v27, v29, v7, s0
	v_or_b32_e32 v26, v18, v26
	ds_bpermute_b32 v29, v21, v28
	ds_bpermute_b32 v31, v21, v27
	;; [unrolled: 1-line block ×3, first 2 shown]
	s_waitcnt lgkmcnt(0)
	v_cmp_lt_f32_e64 s3, v28, v29
	v_cmpx_nlt_f32_e32 v28, v29
; %bb.11:                               ;   in Loop: Header=BB304_10 Depth=1
	v_cmp_eq_f32_e64 s0, v28, v29
	v_cmp_lt_i32_e64 s1, v30, v26
	s_delay_alu instid0(VALU_DEP_1) | instskip(SKIP_2) | instid1(SALU_CYCLE_1)
	s_and_b32 s0, s0, s1
	s_and_not1_b32 s1, s3, exec_lo
	s_and_b32 s0, s0, exec_lo
	s_or_b32 s3, s1, s0
; %bb.12:                               ;   in Loop: Header=BB304_10 Depth=1
	s_or_b32 exec_lo, exec_lo, s4
	s_and_saveexec_b32 s0, s3
; %bb.13:                               ;   in Loop: Header=BB304_10 Depth=1
	v_dual_mov_b32 v27, v31 :: v_dual_mov_b32 v28, v29
	v_mov_b32_e32 v26, v30
; %bb.14:                               ;   in Loop: Header=BB304_10 Depth=1
	s_or_b32 exec_lo, exec_lo, s0
	ds_bpermute_b32 v29, v22, v28
	ds_bpermute_b32 v31, v22, v27
	;; [unrolled: 1-line block ×3, first 2 shown]
	s_mov_b32 s4, exec_lo
	s_waitcnt lgkmcnt(2)
	v_cmp_lt_f32_e64 s3, v28, v29
	v_cmpx_nlt_f32_e32 v28, v29
	s_cbranch_execz .LBB304_16
; %bb.15:                               ;   in Loop: Header=BB304_10 Depth=1
	v_cmp_eq_f32_e64 s0, v28, v29
	s_waitcnt lgkmcnt(0)
	v_cmp_lt_i32_e64 s1, v30, v26
	s_delay_alu instid0(VALU_DEP_1) | instskip(SKIP_2) | instid1(SALU_CYCLE_1)
	s_and_b32 s0, s0, s1
	s_and_not1_b32 s1, s3, exec_lo
	s_and_b32 s0, s0, exec_lo
	s_or_b32 s3, s1, s0
.LBB304_16:                             ;   in Loop: Header=BB304_10 Depth=1
	s_or_b32 exec_lo, exec_lo, s4
	s_delay_alu instid0(VALU_DEP_2)
	s_and_saveexec_b32 s0, s3
	s_cbranch_execz .LBB304_18
; %bb.17:                               ;   in Loop: Header=BB304_10 Depth=1
	s_waitcnt lgkmcnt(1)
	v_dual_mov_b32 v27, v31 :: v_dual_mov_b32 v28, v29
	s_waitcnt lgkmcnt(0)
	v_mov_b32_e32 v26, v30
.LBB304_18:                             ;   in Loop: Header=BB304_10 Depth=1
	s_or_b32 exec_lo, exec_lo, s0
	ds_bpermute_b32 v29, v23, v28
	s_waitcnt lgkmcnt(2)
	ds_bpermute_b32 v31, v23, v27
	s_waitcnt lgkmcnt(2)
	ds_bpermute_b32 v30, v23, v26
	s_mov_b32 s4, exec_lo
	s_waitcnt lgkmcnt(2)
	v_cmp_lt_f32_e64 s3, v28, v29
	v_cmpx_nlt_f32_e32 v28, v29
	s_cbranch_execz .LBB304_20
; %bb.19:                               ;   in Loop: Header=BB304_10 Depth=1
	v_cmp_eq_f32_e64 s0, v28, v29
	s_waitcnt lgkmcnt(0)
	v_cmp_lt_i32_e64 s1, v30, v26
	s_delay_alu instid0(VALU_DEP_1) | instskip(SKIP_2) | instid1(SALU_CYCLE_1)
	s_and_b32 s0, s0, s1
	s_and_not1_b32 s1, s3, exec_lo
	s_and_b32 s0, s0, exec_lo
	s_or_b32 s3, s1, s0
.LBB304_20:                             ;   in Loop: Header=BB304_10 Depth=1
	s_or_b32 exec_lo, exec_lo, s4
	s_delay_alu instid0(VALU_DEP_2)
	s_and_saveexec_b32 s0, s3
	s_cbranch_execz .LBB304_22
; %bb.21:                               ;   in Loop: Header=BB304_10 Depth=1
	s_waitcnt lgkmcnt(1)
	v_dual_mov_b32 v27, v31 :: v_dual_mov_b32 v28, v29
	s_waitcnt lgkmcnt(0)
	v_mov_b32_e32 v26, v30
.LBB304_22:                             ;   in Loop: Header=BB304_10 Depth=1
	s_or_b32 exec_lo, exec_lo, s0
	s_waitcnt lgkmcnt(1)
	ds_bpermute_b32 v31, v24, v28
	ds_bpermute_b32 v29, v24, v27
	s_waitcnt lgkmcnt(2)
	ds_bpermute_b32 v30, v24, v26
	s_mov_b32 s4, exec_lo
	s_waitcnt lgkmcnt(2)
	v_cmp_lt_f32_e64 s3, v28, v31
	v_cmpx_nlt_f32_e32 v28, v31
	s_cbranch_execnz .LBB304_26
; %bb.23:                               ;   in Loop: Header=BB304_10 Depth=1
	s_or_b32 exec_lo, exec_lo, s4
	s_delay_alu instid0(VALU_DEP_2)
	s_and_saveexec_b32 s0, s3
	s_cbranch_execnz .LBB304_27
.LBB304_24:                             ;   in Loop: Header=BB304_10 Depth=1
	s_or_b32 exec_lo, exec_lo, s0
	s_and_saveexec_b32 s3, s2
	s_cbranch_execnz .LBB304_28
.LBB304_25:                             ;   in Loop: Header=BB304_10 Depth=1
	s_or_b32 exec_lo, exec_lo, s3
	s_add_i32 s6, s6, 1
	s_delay_alu instid0(SALU_CYCLE_1)
	s_cmp_ge_i32 s6, s8
	s_cbranch_scc1 .LBB304_9
	s_branch .LBB304_29
.LBB304_26:                             ;   in Loop: Header=BB304_10 Depth=1
	v_cmp_eq_f32_e64 s0, v28, v31
	s_waitcnt lgkmcnt(0)
	v_cmp_lt_i32_e64 s1, v30, v26
	s_delay_alu instid0(VALU_DEP_1) | instskip(SKIP_2) | instid1(SALU_CYCLE_1)
	s_and_b32 s0, s0, s1
	s_and_not1_b32 s1, s3, exec_lo
	s_and_b32 s0, s0, exec_lo
	s_or_b32 s3, s1, s0
	s_or_b32 exec_lo, exec_lo, s4
	s_and_saveexec_b32 s0, s3
	s_cbranch_execz .LBB304_24
.LBB304_27:                             ;   in Loop: Header=BB304_10 Depth=1
	s_waitcnt lgkmcnt(0)
	v_dual_mov_b32 v26, v30 :: v_dual_mov_b32 v27, v29
	s_or_b32 exec_lo, exec_lo, s0
	s_and_saveexec_b32 s3, s2
	s_cbranch_execz .LBB304_25
.LBB304_28:                             ;   in Loop: Header=BB304_10 Depth=1
	v_add_nc_u32_e32 v28, s6, v20
	v_subrev_nc_u32_e32 v32, s9, v26
	v_cmp_le_i32_e64 s0, s9, v26
	v_cmp_gt_i32_e64 s1, s10, v26
	v_add_f32_e32 v36, v19, v27
	s_waitcnt lgkmcnt(1)
	v_ashrrev_i32_e32 v29, 31, v28
	v_ashrrev_i32_e32 v33, 31, v32
	s_and_b32 s0, s0, s1
	v_cndmask_b32_e32 v19, v19, v36, vcc_lo
	s_waitcnt lgkmcnt(0)
	v_lshlrev_b64 v[30:31], 2, v[28:29]
	v_lshlrev_b64 v[28:29], 3, v[28:29]
	s_and_b32 s0, s19, s0
	s_delay_alu instid0(SALU_CYCLE_1) | instskip(SKIP_1) | instid1(VALU_DEP_4)
	v_cndmask_b32_e64 v33, 0, v33, s0
	v_cndmask_b32_e64 v32, 0x80, v32, s0
	v_add_co_u32 v34, s0, s16, v30
	s_delay_alu instid0(VALU_DEP_1) | instskip(SKIP_1) | instid1(VALU_DEP_1)
	v_add_co_ci_u32_e64 v35, s0, s17, v31, s0
	v_add_co_u32 v28, s0, s12, v28
	v_add_co_ci_u32_e64 v29, s0, s13, v29, s0
	v_add_co_u32 v30, s0, s14, v30
	s_delay_alu instid0(VALU_DEP_1)
	v_add_co_ci_u32_e64 v31, s0, s15, v31, s0
	global_store_b32 v[34:35], v27, off
	global_store_b64 v[28:29], v[32:33], off
	global_store_b32 v[30:31], v25, off
	s_or_b32 exec_lo, exec_lo, s3
	s_add_i32 s6, s6, 1
	s_delay_alu instid0(SALU_CYCLE_1)
	s_cmp_ge_i32 s6, s8
	s_cbranch_scc1 .LBB304_9
.LBB304_29:                             ;   in Loop: Header=BB304_10 Depth=1
	v_ashrrev_i32_e32 v28, 31, v26
	s_mov_b32 s1, exec_lo
	s_delay_alu instid0(VALU_DEP_1) | instskip(NEXT) | instid1(VALU_DEP_1)
	v_lshrrev_b32_e32 v27, 29, v28
	v_add_nc_u32_e32 v27, v26, v27
	s_delay_alu instid0(VALU_DEP_1) | instskip(SKIP_1) | instid1(VALU_DEP_1)
	v_ashrrev_i32_e32 v27, 3, v27
	s_waitcnt lgkmcnt(1)
	v_lshrrev_b32_e32 v29, 28, v27
	s_delay_alu instid0(VALU_DEP_1) | instskip(NEXT) | instid1(VALU_DEP_1)
	v_add_nc_u32_e32 v29, v27, v29
	v_and_b32_e32 v29, -16, v29
	s_delay_alu instid0(VALU_DEP_1) | instskip(NEXT) | instid1(VALU_DEP_1)
	v_sub_nc_u32_e32 v29, v27, v29
	v_cmpx_eq_u32_e64 v17, v29
	s_cbranch_execz .LBB304_8
; %bb.30:                               ;   in Loop: Header=BB304_10 Depth=1
	v_lshrrev_b32_e32 v28, 25, v28
	v_lshlrev_b32_e32 v27, 3, v27
	s_delay_alu instid0(VALU_DEP_2) | instskip(NEXT) | instid1(VALU_DEP_2)
	v_add_nc_u32_e32 v28, v26, v28
	v_sub_nc_u32_e32 v26, v26, v27
	s_delay_alu instid0(VALU_DEP_2) | instskip(NEXT) | instid1(VALU_DEP_1)
	v_ashrrev_i32_e32 v27, 7, v28
	v_lshl_add_u32 v26, v27, 3, v26
	s_delay_alu instid0(VALU_DEP_1) | instskip(NEXT) | instid1(VALU_DEP_1)
	v_cmp_ne_u32_e64 s0, 7, v26
	v_cndmask_b32_e64 v15, 0xc61c4000, v15, s0
	v_cmp_ne_u32_e64 s0, 6, v26
	s_delay_alu instid0(VALU_DEP_1) | instskip(SKIP_1) | instid1(VALU_DEP_1)
	v_cndmask_b32_e64 v14, 0xc61c4000, v14, s0
	v_cmp_ne_u32_e64 s0, 5, v26
	v_cndmask_b32_e64 v13, 0xc61c4000, v13, s0
	v_cmp_ne_u32_e64 s0, 4, v26
	s_delay_alu instid0(VALU_DEP_1) | instskip(SKIP_1) | instid1(VALU_DEP_1)
	v_cndmask_b32_e64 v12, 0xc61c4000, v12, s0
	;; [unrolled: 5-line block ×3, first 2 shown]
	v_cmp_ne_u32_e64 s0, 1, v26
	v_cndmask_b32_e64 v9, 0xc61c4000, v9, s0
	v_cmp_ne_u32_e64 s0, 0, v26
	s_delay_alu instid0(VALU_DEP_1)
	v_cndmask_b32_e64 v8, 0xc61c4000, v8, s0
	s_branch .LBB304_8
.LBB304_31:
                                        ; implicit-def: $vgpr8_vgpr9_vgpr10_vgpr11_vgpr12_vgpr13_vgpr14_vgpr15
	s_and_not1_b32 vcc_lo, exec_lo, s9
	s_cbranch_vccz .LBB304_5
	s_branch .LBB304_6
.LBB304_32:
	v_mov_b32_e32 v19, 0
.LBB304_33:
	v_cmp_eq_u32_e64 s0, 0, v17
	s_delay_alu instid0(VALU_DEP_1) | instskip(NEXT) | instid1(SALU_CYCLE_1)
	s_and_b32 s0, s0, vcc_lo
	s_and_b32 exec_lo, exec_lo, s0
	s_cbranch_execz .LBB304_37
; %bb.34:
	s_and_not1_b32 vcc_lo, exec_lo, s5
	s_cbranch_vccnz .LBB304_37
; %bb.35:
	v_mul_lo_u32 v0, v16, s8
	v_cmp_lt_f32_e32 vcc_lo, 0, v19
	v_cndmask_b32_e32 v2, 1.0, v19, vcc_lo
	s_delay_alu instid0(VALU_DEP_3) | instskip(NEXT) | instid1(VALU_DEP_1)
	v_ashrrev_i32_e32 v1, 31, v0
	v_lshlrev_b64 v[0:1], 2, v[0:1]
	s_delay_alu instid0(VALU_DEP_1) | instskip(NEXT) | instid1(VALU_DEP_2)
	v_add_co_u32 v0, vcc_lo, s16, v0
	v_add_co_ci_u32_e32 v1, vcc_lo, s17, v1, vcc_lo
	.p2align	6
.LBB304_36:                             ; =>This Inner Loop Header: Depth=1
	global_load_b32 v3, v[0:1], off
	s_add_i32 s8, s8, -1
	s_delay_alu instid0(SALU_CYCLE_1) | instskip(SKIP_3) | instid1(VALU_DEP_2)
	s_cmp_lg_u32 s8, 0
	s_waitcnt vmcnt(0)
	v_div_scale_f32 v4, null, v2, v2, v3
	v_div_scale_f32 v7, vcc_lo, v3, v2, v3
	v_rcp_f32_e32 v5, v4
	s_waitcnt_depctr 0xfff
	v_fma_f32 v6, -v4, v5, 1.0
	s_delay_alu instid0(VALU_DEP_1) | instskip(NEXT) | instid1(VALU_DEP_1)
	v_fmac_f32_e32 v5, v6, v5
	v_mul_f32_e32 v6, v7, v5
	s_delay_alu instid0(VALU_DEP_1) | instskip(NEXT) | instid1(VALU_DEP_1)
	v_fma_f32 v8, -v4, v6, v7
	v_fmac_f32_e32 v6, v8, v5
	s_delay_alu instid0(VALU_DEP_1) | instskip(NEXT) | instid1(VALU_DEP_1)
	v_fma_f32 v4, -v4, v6, v7
	v_div_fmas_f32 v4, v4, v5, v6
	s_delay_alu instid0(VALU_DEP_1)
	v_div_fixup_f32 v3, v4, v2, v3
	global_store_b32 v[0:1], v3, off
	v_add_co_u32 v0, vcc_lo, v0, 4
	v_add_co_ci_u32_e32 v1, vcc_lo, 0, v1, vcc_lo
	s_cbranch_scc1 .LBB304_36
.LBB304_37:
	s_nop 0
	s_sendmsg sendmsg(MSG_DEALLOC_VGPRS)
	s_endpgm
	.section	.rodata,"a",@progbits
	.p2align	6, 0x0
	.amdhsa_kernel _ZN4vllm3moe10topkGatingILi8ELi128ELi4ELi16ELi64El6__halfLNS0_11ScoringFuncE1EEEvPKT5_PKbPfiPT4_PiiiibPKf
		.amdhsa_group_segment_fixed_size 0
		.amdhsa_private_segment_fixed_size 0
		.amdhsa_kernarg_size 72
		.amdhsa_user_sgpr_count 15
		.amdhsa_user_sgpr_dispatch_ptr 0
		.amdhsa_user_sgpr_queue_ptr 0
		.amdhsa_user_sgpr_kernarg_segment_ptr 1
		.amdhsa_user_sgpr_dispatch_id 0
		.amdhsa_user_sgpr_private_segment_size 0
		.amdhsa_wavefront_size32 1
		.amdhsa_uses_dynamic_stack 0
		.amdhsa_enable_private_segment 0
		.amdhsa_system_sgpr_workgroup_id_x 1
		.amdhsa_system_sgpr_workgroup_id_y 0
		.amdhsa_system_sgpr_workgroup_id_z 0
		.amdhsa_system_sgpr_workgroup_info 0
		.amdhsa_system_vgpr_workitem_id 1
		.amdhsa_next_free_vgpr 47
		.amdhsa_next_free_sgpr 20
		.amdhsa_reserve_vcc 1
		.amdhsa_float_round_mode_32 0
		.amdhsa_float_round_mode_16_64 0
		.amdhsa_float_denorm_mode_32 3
		.amdhsa_float_denorm_mode_16_64 3
		.amdhsa_dx10_clamp 1
		.amdhsa_ieee_mode 1
		.amdhsa_fp16_overflow 0
		.amdhsa_workgroup_processor_mode 1
		.amdhsa_memory_ordered 1
		.amdhsa_forward_progress 0
		.amdhsa_shared_vgpr_count 0
		.amdhsa_exception_fp_ieee_invalid_op 0
		.amdhsa_exception_fp_denorm_src 0
		.amdhsa_exception_fp_ieee_div_zero 0
		.amdhsa_exception_fp_ieee_overflow 0
		.amdhsa_exception_fp_ieee_underflow 0
		.amdhsa_exception_fp_ieee_inexact 0
		.amdhsa_exception_int_div_zero 0
	.end_amdhsa_kernel
	.section	.text._ZN4vllm3moe10topkGatingILi8ELi128ELi4ELi16ELi64El6__halfLNS0_11ScoringFuncE1EEEvPKT5_PKbPfiPT4_PiiiibPKf,"axG",@progbits,_ZN4vllm3moe10topkGatingILi8ELi128ELi4ELi16ELi64El6__halfLNS0_11ScoringFuncE1EEEvPKT5_PKbPfiPT4_PiiiibPKf,comdat
.Lfunc_end304:
	.size	_ZN4vllm3moe10topkGatingILi8ELi128ELi4ELi16ELi64El6__halfLNS0_11ScoringFuncE1EEEvPKT5_PKbPfiPT4_PiiiibPKf, .Lfunc_end304-_ZN4vllm3moe10topkGatingILi8ELi128ELi4ELi16ELi64El6__halfLNS0_11ScoringFuncE1EEEvPKT5_PKbPfiPT4_PiiiibPKf
                                        ; -- End function
	.section	.AMDGPU.csdata,"",@progbits
; Kernel info:
; codeLenInByte = 3080
; NumSgprs: 22
; NumVgprs: 47
; ScratchSize: 0
; MemoryBound: 0
; FloatMode: 240
; IeeeMode: 1
; LDSByteSize: 0 bytes/workgroup (compile time only)
; SGPRBlocks: 2
; VGPRBlocks: 5
; NumSGPRsForWavesPerEU: 22
; NumVGPRsForWavesPerEU: 47
; Occupancy: 16
; WaveLimiterHint : 0
; COMPUTE_PGM_RSRC2:SCRATCH_EN: 0
; COMPUTE_PGM_RSRC2:USER_SGPR: 15
; COMPUTE_PGM_RSRC2:TRAP_HANDLER: 0
; COMPUTE_PGM_RSRC2:TGID_X_EN: 1
; COMPUTE_PGM_RSRC2:TGID_Y_EN: 0
; COMPUTE_PGM_RSRC2:TGID_Z_EN: 0
; COMPUTE_PGM_RSRC2:TIDIG_COMP_CNT: 1
	.section	.text._ZN4vllm3moe10topkGatingILi8ELi128ELi4ELi16ELi32El6__halfLNS0_11ScoringFuncE1EEEvPKT5_PKbPfiPT4_PiiiibPKf,"axG",@progbits,_ZN4vllm3moe10topkGatingILi8ELi128ELi4ELi16ELi32El6__halfLNS0_11ScoringFuncE1EEEvPKT5_PKbPfiPT4_PiiiibPKf,comdat
	.protected	_ZN4vllm3moe10topkGatingILi8ELi128ELi4ELi16ELi32El6__halfLNS0_11ScoringFuncE1EEEvPKT5_PKbPfiPT4_PiiiibPKf ; -- Begin function _ZN4vllm3moe10topkGatingILi8ELi128ELi4ELi16ELi32El6__halfLNS0_11ScoringFuncE1EEEvPKT5_PKbPfiPT4_PiiiibPKf
	.globl	_ZN4vllm3moe10topkGatingILi8ELi128ELi4ELi16ELi32El6__halfLNS0_11ScoringFuncE1EEEvPKT5_PKbPfiPT4_PiiiibPKf
	.p2align	8
	.type	_ZN4vllm3moe10topkGatingILi8ELi128ELi4ELi16ELi32El6__halfLNS0_11ScoringFuncE1EEEvPKT5_PKbPfiPT4_PiiiibPKf,@function
_ZN4vllm3moe10topkGatingILi8ELi128ELi4ELi16ELi32El6__halfLNS0_11ScoringFuncE1EEEvPKT5_PKbPfiPT4_PiiiibPKf: ; @_ZN4vllm3moe10topkGatingILi8ELi128ELi4ELi16ELi32El6__halfLNS0_11ScoringFuncE1EEEvPKT5_PKbPfiPT4_PiiiibPKf
; %bb.0:
	s_load_b32 s18, s[0:1], 0x18
	v_bfe_u32 v1, v0, 10, 10
	v_and_b32_e32 v0, 0x3ff, v0
	s_lshl_b32 s2, s15, 3
	s_delay_alu instid0(VALU_DEP_2) | instskip(NEXT) | instid1(VALU_DEP_2)
	v_lshlrev_b32_e32 v1, 1, v1
	v_lshrrev_b32_e32 v2, 4, v0
	s_delay_alu instid0(VALU_DEP_1) | instskip(SKIP_2) | instid1(VALU_DEP_1)
	v_add3_u32 v16, s2, v1, v2
	s_mov_b32 s2, exec_lo
	s_waitcnt lgkmcnt(0)
	v_cmpx_gt_i32_e64 s18, v16
	s_cbranch_execz .LBB305_37
; %bb.1:
	s_clause 0x1
	s_load_b128 s[4:7], s[0:1], 0x0
	s_load_b64 s[16:17], s[0:1], 0x10
	s_mov_b32 s9, -1
	s_mov_b32 s19, -1
	s_waitcnt lgkmcnt(0)
	s_cmp_eq_u64 s[6:7], 0
	s_cbranch_scc1 .LBB305_3
; %bb.2:
	v_ashrrev_i32_e32 v2, 31, v16
	v_add_co_u32 v1, vcc_lo, s6, v16
	s_delay_alu instid0(VALU_DEP_2) | instskip(SKIP_3) | instid1(VALU_DEP_1)
	v_add_co_ci_u32_e32 v2, vcc_lo, s7, v2, vcc_lo
	global_load_u8 v1, v[1:2], off
	s_waitcnt vmcnt(0)
	v_and_b32_e32 v1, 1, v1
	v_cmp_eq_u32_e32 vcc_lo, 1, v1
	s_xor_b32 s2, vcc_lo, -1
	s_delay_alu instid0(SALU_CYCLE_1)
	s_or_not1_b32 s19, s2, exec_lo
.LBB305_3:
	v_lshlrev_b32_e32 v1, 7, v16
	v_and_b32_e32 v17, 15, v0
	s_load_b64 s[10:11], s[0:1], 0x40
	s_delay_alu instid0(VALU_DEP_2) | instskip(NEXT) | instid1(VALU_DEP_1)
	v_ashrrev_i32_e32 v2, 31, v1
	v_lshlrev_b64 v[0:1], 1, v[1:2]
	s_delay_alu instid0(VALU_DEP_3) | instskip(NEXT) | instid1(VALU_DEP_2)
	v_lshlrev_b32_e32 v2, 4, v17
	v_add_co_u32 v0, vcc_lo, s4, v0
	s_delay_alu instid0(VALU_DEP_3) | instskip(NEXT) | instid1(VALU_DEP_2)
	v_add_co_ci_u32_e32 v1, vcc_lo, s5, v1, vcc_lo
	v_add_co_u32 v0, vcc_lo, v0, v2
	s_delay_alu instid0(VALU_DEP_2)
	v_add_co_ci_u32_e32 v1, vcc_lo, 0, v1, vcc_lo
	s_waitcnt lgkmcnt(0)
	s_cmp_eq_u64 s[10:11], 0
	global_load_b128 v[0:3], v[0:1], off
	s_waitcnt vmcnt(0)
	v_cvt_f32_f16_e32 v4, v0
	v_lshrrev_b32_e32 v0, 16, v0
	v_cvt_f32_f16_e32 v5, v1
	v_lshrrev_b32_e32 v1, 16, v1
	;; [unrolled: 2-line block ×4, first 2 shown]
	v_dual_mul_f32 v4, 0xbfb8aa3b, v4 :: v_dual_mul_f32 v5, 0xbfb8aa3b, v5
	v_cvt_f32_f16_e32 v0, v0
	v_cvt_f32_f16_e32 v1, v1
	;; [unrolled: 1-line block ×4, first 2 shown]
	v_dual_mul_f32 v6, 0xbfb8aa3b, v6 :: v_dual_mul_f32 v7, 0xbfb8aa3b, v7
	v_exp_f32_e32 v4, v4
	v_dual_mul_f32 v0, 0xbfb8aa3b, v0 :: v_dual_mul_f32 v1, 0xbfb8aa3b, v1
	v_exp_f32_e32 v5, v5
	s_delay_alu instid0(VALU_DEP_2)
	v_exp_f32_e32 v6, v6
	v_mul_f32_e32 v2, 0xbfb8aa3b, v2
	v_exp_f32_e32 v7, v7
	v_dual_mul_f32 v3, 0xbfb8aa3b, v3 :: v_dual_lshlrev_b32 v18, 3, v17
	v_exp_f32_e32 v0, v0
	v_exp_f32_e32 v1, v1
	;; [unrolled: 1-line block ×3, first 2 shown]
	s_delay_alu instid0(VALU_DEP_1) | instskip(SKIP_2) | instid1(VALU_DEP_2)
	v_exp_f32_e32 v3, v3
	v_dual_add_f32 v4, 1.0, v4 :: v_dual_add_f32 v5, 1.0, v5
	v_dual_add_f32 v6, 1.0, v6 :: v_dual_add_f32 v7, 1.0, v7
	v_div_scale_f32 v8, null, v4, v4, 1.0
	s_delay_alu instid0(TRANS32_DEP_3) | instskip(NEXT) | instid1(VALU_DEP_4)
	v_dual_add_f32 v0, 1.0, v0 :: v_dual_add_f32 v1, 1.0, v1
	v_div_scale_f32 v10, null, v5, v5, 1.0
	s_delay_alu instid0(VALU_DEP_4) | instskip(NEXT) | instid1(TRANS32_DEP_1)
	v_div_scale_f32 v12, null, v6, v6, 1.0
	v_dual_add_f32 v14, 1.0, v2 :: v_dual_add_f32 v19, 1.0, v3
	v_div_scale_f32 v2, null, v7, v7, 1.0
	v_rcp_f32_e32 v3, v8
	v_div_scale_f32 v20, null, v0, v0, 1.0
	v_rcp_f32_e32 v22, v10
	;; [unrolled: 2-line block ×3, first 2 shown]
	v_rcp_f32_e32 v28, v2
	v_div_scale_f32 v29, null, v19, v19, 1.0
	v_rcp_f32_e32 v30, v20
	v_div_scale_f32 v26, null, v14, v14, 1.0
	v_rcp_f32_e32 v32, v23
	v_fma_f32 v34, -v8, v3, 1.0
	v_rcp_f32_e32 v35, v29
	v_div_scale_f32 v9, vcc_lo, 1.0, v4, 1.0
	v_rcp_f32_e32 v33, v26
	v_fma_f32 v36, -v10, v22, 1.0
	v_fma_f32 v37, -v12, v25, 1.0
	;; [unrolled: 1-line block ×3, first 2 shown]
	v_fmac_f32_e32 v3, v34, v3
	v_fma_f32 v34, -v20, v30, 1.0
	v_fmac_f32_e32 v22, v36, v22
	v_div_scale_f32 v11, s2, 1.0, v5, 1.0
	v_fma_f32 v36, -v23, v32, 1.0
	v_dual_fmac_f32 v25, v37, v25 :: v_dual_fmac_f32 v28, v38, v28
	v_fma_f32 v38, -v29, v35, 1.0
	v_dual_mul_f32 v39, v9, v3 :: v_dual_fmac_f32 v30, v34, v30
	v_div_scale_f32 v21, s5, 1.0, v0, 1.0
	v_div_scale_f32 v24, s6, 1.0, v1, 1.0
	v_fma_f32 v37, -v26, v33, 1.0
	v_mul_f32_e32 v34, v11, v22
	v_dual_fmac_f32 v32, v36, v32 :: v_dual_fmac_f32 v35, v38, v35
	v_fma_f32 v38, -v8, v39, v9
	v_mul_f32_e32 v40, v21, v30
	v_div_scale_f32 v13, s3, 1.0, v6, 1.0
	v_div_scale_f32 v15, s4, 1.0, v7, 1.0
	s_delay_alu instid0(VALU_DEP_4)
	v_fmac_f32_e32 v39, v38, v3
	v_fmac_f32_e32 v33, v37, v33
	v_fma_f32 v41, -v10, v34, v11
	v_mul_f32_e32 v42, v24, v32
	v_fma_f32 v38, -v20, v40, v21
	v_div_scale_f32 v27, s7, 1.0, v14, 1.0
	v_dual_mul_f32 v36, v13, v25 :: v_dual_mul_f32 v37, v15, v28
	v_fmac_f32_e32 v34, v41, v22
	v_fma_f32 v41, -v23, v42, v24
	v_fma_f32 v8, -v8, v39, v9
	v_fmac_f32_e32 v40, v38, v30
	v_fma_f32 v43, -v12, v36, v13
	v_fma_f32 v45, -v2, v37, v15
	v_mul_f32_e32 v44, v27, v33
	v_fmac_f32_e32 v42, v41, v32
	v_div_fmas_f32 v3, v8, v3, v39
	v_fma_f32 v8, -v20, v40, v21
	v_fmac_f32_e32 v37, v45, v28
	v_fma_f32 v9, -v10, v34, v11
	v_fmac_f32_e32 v36, v43, v25
	v_fma_f32 v43, -v26, v44, v27
	s_mov_b32 vcc_lo, s5
	v_fma_f32 v11, -v23, v42, v24
	v_div_fixup_f32 v3, v3, v4, 1.0
	v_div_fmas_f32 v4, v8, v30, v40
	s_mov_b32 vcc_lo, s2
	v_fmac_f32_e32 v44, v43, v33
	v_div_fmas_f32 v8, v9, v22, v34
	s_mov_b32 vcc_lo, s6
	v_fma_f32 v10, -v12, v36, v13
	v_div_fmas_f32 v9, v11, v32, v42
	v_cmp_class_f32_e64 vcc_lo, v3, 0x1f8
	v_fma_f32 v12, -v26, v44, v27
	v_div_fixup_f32 v4, v4, v0, 1.0
	v_div_scale_f32 v31, s8, 1.0, v19, 1.0
	v_cndmask_b32_e32 v0, 0, v3, vcc_lo
	s_mov_b32 vcc_lo, s3
	v_fma_f32 v2, -v2, v37, v15
	v_div_fmas_f32 v3, v10, v25, v36
	s_mov_b32 vcc_lo, s7
	v_div_fixup_f32 v5, v8, v5, 1.0
	v_div_fmas_f32 v8, v12, v33, v44
	s_mov_b32 vcc_lo, s4
	v_div_fixup_f32 v9, v9, v1, 1.0
	v_div_fmas_f32 v10, v2, v28, v37
	v_cmp_class_f32_e64 vcc_lo, v4, 0x1f8
	v_mul_f32_e32 v46, v31, v35
	s_delay_alu instid0(VALU_DEP_3) | instskip(SKIP_1) | instid1(VALU_DEP_3)
	v_div_fixup_f32 v7, v10, v7, 1.0
	v_cndmask_b32_e32 v1, 0, v4, vcc_lo
	v_fma_f32 v45, -v29, v46, v31
	s_mov_b32 vcc_lo, s8
	v_div_fixup_f32 v4, v3, v6, 1.0
	s_delay_alu instid0(VALU_DEP_2) | instskip(NEXT) | instid1(VALU_DEP_1)
	v_fmac_f32_e32 v46, v45, v35
	v_fma_f32 v13, -v29, v46, v31
	s_delay_alu instid0(VALU_DEP_1)
	v_div_fmas_f32 v6, v13, v35, v46
	v_cmp_class_f32_e64 vcc_lo, v5, 0x1f8
	v_cndmask_b32_e32 v2, 0, v5, vcc_lo
	v_cmp_class_f32_e64 vcc_lo, v9, 0x1f8
	v_div_fixup_f32 v5, v8, v14, 1.0
	v_div_fixup_f32 v8, v6, v19, 1.0
	v_cndmask_b32_e32 v3, 0, v9, vcc_lo
	v_cmp_class_f32_e64 vcc_lo, v4, 0x1f8
	v_cndmask_b32_e32 v4, 0, v4, vcc_lo
	v_cmp_class_f32_e64 vcc_lo, v5, 0x1f8
	;; [unrolled: 2-line block ×4, first 2 shown]
	v_cndmask_b32_e32 v7, 0, v8, vcc_lo
	s_cbranch_scc1 .LBB305_31
; %bb.4:
	v_lshlrev_b32_e32 v12, 2, v18
	s_clause 0x1
	global_load_b128 v[8:11], v12, s[10:11]
	global_load_b128 v[12:15], v12, s[10:11] offset:16
	s_waitcnt vmcnt(1)
	v_dual_add_f32 v9, v9, v1 :: v_dual_add_f32 v8, v8, v0
	v_dual_add_f32 v11, v11, v3 :: v_dual_add_f32 v10, v10, v2
	s_waitcnt vmcnt(0)
	v_dual_add_f32 v13, v13, v5 :: v_dual_add_f32 v12, v12, v4
	v_dual_add_f32 v15, v15, v7 :: v_dual_add_f32 v14, v14, v6
	s_cbranch_execnz .LBB305_6
.LBB305_5:
	v_dual_mov_b32 v15, v7 :: v_dual_mov_b32 v14, v6
	v_dual_mov_b32 v13, v5 :: v_dual_mov_b32 v12, v4
	;; [unrolled: 1-line block ×4, first 2 shown]
.LBB305_6:
	s_load_b128 s[8:11], s[0:1], 0x30
	v_cmp_eq_u32_e64 s2, 0, v17
	s_mov_b32 s6, 0
	s_waitcnt lgkmcnt(0)
	s_bitcmp1_b32 s11, 0
	s_cselect_b32 vcc_lo, -1, 0
	s_cmp_gt_i32 s8, 0
	s_cselect_b32 s5, -1, 0
	s_cmp_lt_i32 s8, 1
	s_cbranch_scc1 .LBB305_32
; %bb.7:
	v_mbcnt_lo_u32_b32 v19, -1, 0
	s_load_b128 s[12:15], s[0:1], 0x20
	s_delay_alu instid0(VALU_DEP_1)
	v_dual_mov_b32 v25, v16 :: v_dual_and_b32 v20, 16, v19
	v_xor_b32_e32 v21, 8, v19
	v_xor_b32_e32 v22, 4, v19
	v_xor_b32_e32 v23, 2, v19
	v_xor_b32_e32 v24, 1, v19
	v_add_nc_u32_e32 v20, 16, v20
	s_delay_alu instid0(VALU_DEP_1) | instskip(NEXT) | instid1(VALU_DEP_1)
	v_cmp_lt_i32_e64 s0, v21, v20
	v_cndmask_b32_e64 v21, v19, v21, s0
	v_cmp_lt_i32_e64 s0, v22, v20
	s_delay_alu instid0(VALU_DEP_2) | instskip(NEXT) | instid1(VALU_DEP_2)
	v_lshlrev_b32_e32 v21, 2, v21
	v_cndmask_b32_e64 v22, v19, v22, s0
	v_cmp_lt_i32_e64 s0, v23, v20
	s_delay_alu instid0(VALU_DEP_2) | instskip(NEXT) | instid1(VALU_DEP_2)
	v_lshlrev_b32_e32 v22, 2, v22
	v_cndmask_b32_e64 v23, v19, v23, s0
	v_cmp_lt_i32_e64 s0, v24, v20
	v_mul_lo_u32 v20, v16, s8
	s_delay_alu instid0(VALU_DEP_3) | instskip(NEXT) | instid1(VALU_DEP_3)
	v_lshlrev_b32_e32 v23, 2, v23
	v_cndmask_b32_e64 v19, v19, v24, s0
	s_delay_alu instid0(VALU_DEP_1)
	v_dual_mov_b32 v19, 0 :: v_dual_lshlrev_b32 v24, 2, v19
	s_branch .LBB305_10
.LBB305_8:                              ;   in Loop: Header=BB305_10 Depth=1
	s_or_b32 exec_lo, exec_lo, s1
.LBB305_9:                              ;   in Loop: Header=BB305_10 Depth=1
	v_add_nc_u32_e32 v25, s18, v25
	s_cmp_eq_u32 s8, s6
	s_cbranch_scc1 .LBB305_33
.LBB305_10:                             ; =>This Inner Loop Header: Depth=1
	v_cmp_gt_f32_e64 s0, v9, v8
	s_delay_alu instid0(VALU_DEP_1) | instskip(SKIP_2) | instid1(VALU_DEP_3)
	v_cndmask_b32_e64 v27, v8, v9, s0
	v_cndmask_b32_e64 v26, 0, 1, s0
	;; [unrolled: 1-line block ×3, first 2 shown]
	v_cmp_gt_f32_e64 s1, v10, v27
	s_delay_alu instid0(VALU_DEP_1) | instskip(NEXT) | instid1(VALU_DEP_4)
	v_cndmask_b32_e64 v27, v27, v10, s1
	v_cndmask_b32_e64 v26, v26, 2, s1
	s_delay_alu instid0(VALU_DEP_4) | instskip(NEXT) | instid1(VALU_DEP_3)
	v_cndmask_b32_e64 v28, v28, v2, s1
	v_cmp_gt_f32_e64 s3, v11, v27
	s_delay_alu instid0(VALU_DEP_1) | instskip(NEXT) | instid1(VALU_DEP_4)
	v_cndmask_b32_e64 v27, v27, v11, s3
	v_cndmask_b32_e64 v26, v26, 3, s3
	s_delay_alu instid0(VALU_DEP_4) | instskip(NEXT) | instid1(VALU_DEP_3)
	v_cndmask_b32_e64 v28, v28, v3, s3
	v_cmp_gt_f32_e64 s4, v12, v27
	s_delay_alu instid0(VALU_DEP_1) | instskip(NEXT) | instid1(VALU_DEP_4)
	v_cndmask_b32_e64 v27, v27, v12, s4
	v_cndmask_b32_e64 v26, v26, 4, s4
	s_delay_alu instid0(VALU_DEP_4) | instskip(SKIP_1) | instid1(VALU_DEP_3)
	v_cndmask_b32_e64 v28, v28, v4, s4
	s_mov_b32 s4, exec_lo
	v_cmp_gt_f32_e64 s0, v13, v27
	s_delay_alu instid0(VALU_DEP_1) | instskip(SKIP_2) | instid1(VALU_DEP_3)
	v_cndmask_b32_e64 v27, v27, v13, s0
	v_cndmask_b32_e64 v26, v26, 5, s0
	;; [unrolled: 1-line block ×3, first 2 shown]
	v_cmp_gt_f32_e64 s1, v14, v27
	s_delay_alu instid0(VALU_DEP_1) | instskip(NEXT) | instid1(VALU_DEP_4)
	v_cndmask_b32_e64 v27, v27, v14, s1
	v_cndmask_b32_e64 v26, v26, 6, s1
	s_waitcnt lgkmcnt(0)
	v_cndmask_b32_e64 v29, v28, v6, s1
	s_delay_alu instid0(VALU_DEP_3) | instskip(NEXT) | instid1(VALU_DEP_1)
	v_cmp_gt_f32_e64 s0, v15, v27
	v_cndmask_b32_e64 v26, v26, 7, s0
	v_cndmask_b32_e64 v28, v27, v15, s0
	s_delay_alu instid0(VALU_DEP_4) | instskip(NEXT) | instid1(VALU_DEP_3)
	v_cndmask_b32_e64 v27, v29, v7, s0
	v_or_b32_e32 v26, v18, v26
	ds_bpermute_b32 v29, v21, v28
	ds_bpermute_b32 v31, v21, v27
	;; [unrolled: 1-line block ×3, first 2 shown]
	s_waitcnt lgkmcnt(0)
	v_cmp_lt_f32_e64 s3, v28, v29
	v_cmpx_nlt_f32_e32 v28, v29
; %bb.11:                               ;   in Loop: Header=BB305_10 Depth=1
	v_cmp_eq_f32_e64 s0, v28, v29
	v_cmp_lt_i32_e64 s1, v30, v26
	s_delay_alu instid0(VALU_DEP_1) | instskip(SKIP_2) | instid1(SALU_CYCLE_1)
	s_and_b32 s0, s0, s1
	s_and_not1_b32 s1, s3, exec_lo
	s_and_b32 s0, s0, exec_lo
	s_or_b32 s3, s1, s0
; %bb.12:                               ;   in Loop: Header=BB305_10 Depth=1
	s_or_b32 exec_lo, exec_lo, s4
	s_and_saveexec_b32 s0, s3
; %bb.13:                               ;   in Loop: Header=BB305_10 Depth=1
	v_dual_mov_b32 v27, v31 :: v_dual_mov_b32 v28, v29
	v_mov_b32_e32 v26, v30
; %bb.14:                               ;   in Loop: Header=BB305_10 Depth=1
	s_or_b32 exec_lo, exec_lo, s0
	ds_bpermute_b32 v29, v22, v28
	ds_bpermute_b32 v31, v22, v27
	;; [unrolled: 1-line block ×3, first 2 shown]
	s_mov_b32 s4, exec_lo
	s_waitcnt lgkmcnt(2)
	v_cmp_lt_f32_e64 s3, v28, v29
	v_cmpx_nlt_f32_e32 v28, v29
	s_cbranch_execz .LBB305_16
; %bb.15:                               ;   in Loop: Header=BB305_10 Depth=1
	v_cmp_eq_f32_e64 s0, v28, v29
	s_waitcnt lgkmcnt(0)
	v_cmp_lt_i32_e64 s1, v30, v26
	s_delay_alu instid0(VALU_DEP_1) | instskip(SKIP_2) | instid1(SALU_CYCLE_1)
	s_and_b32 s0, s0, s1
	s_and_not1_b32 s1, s3, exec_lo
	s_and_b32 s0, s0, exec_lo
	s_or_b32 s3, s1, s0
.LBB305_16:                             ;   in Loop: Header=BB305_10 Depth=1
	s_or_b32 exec_lo, exec_lo, s4
	s_delay_alu instid0(VALU_DEP_2)
	s_and_saveexec_b32 s0, s3
	s_cbranch_execz .LBB305_18
; %bb.17:                               ;   in Loop: Header=BB305_10 Depth=1
	s_waitcnt lgkmcnt(1)
	v_dual_mov_b32 v27, v31 :: v_dual_mov_b32 v28, v29
	s_waitcnt lgkmcnt(0)
	v_mov_b32_e32 v26, v30
.LBB305_18:                             ;   in Loop: Header=BB305_10 Depth=1
	s_or_b32 exec_lo, exec_lo, s0
	ds_bpermute_b32 v29, v23, v28
	s_waitcnt lgkmcnt(2)
	ds_bpermute_b32 v31, v23, v27
	s_waitcnt lgkmcnt(2)
	ds_bpermute_b32 v30, v23, v26
	s_mov_b32 s4, exec_lo
	s_waitcnt lgkmcnt(2)
	v_cmp_lt_f32_e64 s3, v28, v29
	v_cmpx_nlt_f32_e32 v28, v29
	s_cbranch_execz .LBB305_20
; %bb.19:                               ;   in Loop: Header=BB305_10 Depth=1
	v_cmp_eq_f32_e64 s0, v28, v29
	s_waitcnt lgkmcnt(0)
	v_cmp_lt_i32_e64 s1, v30, v26
	s_delay_alu instid0(VALU_DEP_1) | instskip(SKIP_2) | instid1(SALU_CYCLE_1)
	s_and_b32 s0, s0, s1
	s_and_not1_b32 s1, s3, exec_lo
	s_and_b32 s0, s0, exec_lo
	s_or_b32 s3, s1, s0
.LBB305_20:                             ;   in Loop: Header=BB305_10 Depth=1
	s_or_b32 exec_lo, exec_lo, s4
	s_delay_alu instid0(VALU_DEP_2)
	s_and_saveexec_b32 s0, s3
	s_cbranch_execz .LBB305_22
; %bb.21:                               ;   in Loop: Header=BB305_10 Depth=1
	s_waitcnt lgkmcnt(1)
	v_dual_mov_b32 v27, v31 :: v_dual_mov_b32 v28, v29
	s_waitcnt lgkmcnt(0)
	v_mov_b32_e32 v26, v30
.LBB305_22:                             ;   in Loop: Header=BB305_10 Depth=1
	s_or_b32 exec_lo, exec_lo, s0
	s_waitcnt lgkmcnt(1)
	ds_bpermute_b32 v31, v24, v28
	ds_bpermute_b32 v29, v24, v27
	s_waitcnt lgkmcnt(2)
	ds_bpermute_b32 v30, v24, v26
	s_mov_b32 s4, exec_lo
	s_waitcnt lgkmcnt(2)
	v_cmp_lt_f32_e64 s3, v28, v31
	v_cmpx_nlt_f32_e32 v28, v31
	s_cbranch_execnz .LBB305_26
; %bb.23:                               ;   in Loop: Header=BB305_10 Depth=1
	s_or_b32 exec_lo, exec_lo, s4
	s_delay_alu instid0(VALU_DEP_2)
	s_and_saveexec_b32 s0, s3
	s_cbranch_execnz .LBB305_27
.LBB305_24:                             ;   in Loop: Header=BB305_10 Depth=1
	s_or_b32 exec_lo, exec_lo, s0
	s_and_saveexec_b32 s3, s2
	s_cbranch_execnz .LBB305_28
.LBB305_25:                             ;   in Loop: Header=BB305_10 Depth=1
	s_or_b32 exec_lo, exec_lo, s3
	s_add_i32 s6, s6, 1
	s_delay_alu instid0(SALU_CYCLE_1)
	s_cmp_ge_i32 s6, s8
	s_cbranch_scc1 .LBB305_9
	s_branch .LBB305_29
.LBB305_26:                             ;   in Loop: Header=BB305_10 Depth=1
	v_cmp_eq_f32_e64 s0, v28, v31
	s_waitcnt lgkmcnt(0)
	v_cmp_lt_i32_e64 s1, v30, v26
	s_delay_alu instid0(VALU_DEP_1) | instskip(SKIP_2) | instid1(SALU_CYCLE_1)
	s_and_b32 s0, s0, s1
	s_and_not1_b32 s1, s3, exec_lo
	s_and_b32 s0, s0, exec_lo
	s_or_b32 s3, s1, s0
	s_or_b32 exec_lo, exec_lo, s4
	s_and_saveexec_b32 s0, s3
	s_cbranch_execz .LBB305_24
.LBB305_27:                             ;   in Loop: Header=BB305_10 Depth=1
	s_waitcnt lgkmcnt(0)
	v_dual_mov_b32 v26, v30 :: v_dual_mov_b32 v27, v29
	s_or_b32 exec_lo, exec_lo, s0
	s_and_saveexec_b32 s3, s2
	s_cbranch_execz .LBB305_25
.LBB305_28:                             ;   in Loop: Header=BB305_10 Depth=1
	v_add_nc_u32_e32 v28, s6, v20
	v_subrev_nc_u32_e32 v32, s9, v26
	v_cmp_le_i32_e64 s0, s9, v26
	v_cmp_gt_i32_e64 s1, s10, v26
	v_add_f32_e32 v36, v19, v27
	s_waitcnt lgkmcnt(1)
	v_ashrrev_i32_e32 v29, 31, v28
	v_ashrrev_i32_e32 v33, 31, v32
	s_and_b32 s0, s0, s1
	v_cndmask_b32_e32 v19, v19, v36, vcc_lo
	s_waitcnt lgkmcnt(0)
	v_lshlrev_b64 v[30:31], 2, v[28:29]
	v_lshlrev_b64 v[28:29], 3, v[28:29]
	s_and_b32 s0, s19, s0
	s_delay_alu instid0(SALU_CYCLE_1) | instskip(SKIP_1) | instid1(VALU_DEP_4)
	v_cndmask_b32_e64 v33, 0, v33, s0
	v_cndmask_b32_e64 v32, 0x80, v32, s0
	v_add_co_u32 v34, s0, s16, v30
	s_delay_alu instid0(VALU_DEP_1) | instskip(SKIP_1) | instid1(VALU_DEP_1)
	v_add_co_ci_u32_e64 v35, s0, s17, v31, s0
	v_add_co_u32 v28, s0, s12, v28
	v_add_co_ci_u32_e64 v29, s0, s13, v29, s0
	v_add_co_u32 v30, s0, s14, v30
	s_delay_alu instid0(VALU_DEP_1)
	v_add_co_ci_u32_e64 v31, s0, s15, v31, s0
	global_store_b32 v[34:35], v27, off
	global_store_b64 v[28:29], v[32:33], off
	global_store_b32 v[30:31], v25, off
	s_or_b32 exec_lo, exec_lo, s3
	s_add_i32 s6, s6, 1
	s_delay_alu instid0(SALU_CYCLE_1)
	s_cmp_ge_i32 s6, s8
	s_cbranch_scc1 .LBB305_9
.LBB305_29:                             ;   in Loop: Header=BB305_10 Depth=1
	v_ashrrev_i32_e32 v28, 31, v26
	s_mov_b32 s1, exec_lo
	s_delay_alu instid0(VALU_DEP_1) | instskip(NEXT) | instid1(VALU_DEP_1)
	v_lshrrev_b32_e32 v27, 29, v28
	v_add_nc_u32_e32 v27, v26, v27
	s_delay_alu instid0(VALU_DEP_1) | instskip(SKIP_1) | instid1(VALU_DEP_1)
	v_ashrrev_i32_e32 v27, 3, v27
	s_waitcnt lgkmcnt(1)
	v_lshrrev_b32_e32 v29, 28, v27
	s_delay_alu instid0(VALU_DEP_1) | instskip(NEXT) | instid1(VALU_DEP_1)
	v_add_nc_u32_e32 v29, v27, v29
	v_and_b32_e32 v29, -16, v29
	s_delay_alu instid0(VALU_DEP_1) | instskip(NEXT) | instid1(VALU_DEP_1)
	v_sub_nc_u32_e32 v29, v27, v29
	v_cmpx_eq_u32_e64 v17, v29
	s_cbranch_execz .LBB305_8
; %bb.30:                               ;   in Loop: Header=BB305_10 Depth=1
	v_lshrrev_b32_e32 v28, 25, v28
	v_lshlrev_b32_e32 v27, 3, v27
	s_delay_alu instid0(VALU_DEP_2) | instskip(NEXT) | instid1(VALU_DEP_2)
	v_add_nc_u32_e32 v28, v26, v28
	v_sub_nc_u32_e32 v26, v26, v27
	s_delay_alu instid0(VALU_DEP_2) | instskip(NEXT) | instid1(VALU_DEP_1)
	v_ashrrev_i32_e32 v27, 7, v28
	v_lshl_add_u32 v26, v27, 3, v26
	s_delay_alu instid0(VALU_DEP_1) | instskip(NEXT) | instid1(VALU_DEP_1)
	v_cmp_ne_u32_e64 s0, 7, v26
	v_cndmask_b32_e64 v15, 0xc61c4000, v15, s0
	v_cmp_ne_u32_e64 s0, 6, v26
	s_delay_alu instid0(VALU_DEP_1) | instskip(SKIP_1) | instid1(VALU_DEP_1)
	v_cndmask_b32_e64 v14, 0xc61c4000, v14, s0
	v_cmp_ne_u32_e64 s0, 5, v26
	v_cndmask_b32_e64 v13, 0xc61c4000, v13, s0
	v_cmp_ne_u32_e64 s0, 4, v26
	s_delay_alu instid0(VALU_DEP_1) | instskip(SKIP_1) | instid1(VALU_DEP_1)
	v_cndmask_b32_e64 v12, 0xc61c4000, v12, s0
	;; [unrolled: 5-line block ×3, first 2 shown]
	v_cmp_ne_u32_e64 s0, 1, v26
	v_cndmask_b32_e64 v9, 0xc61c4000, v9, s0
	v_cmp_ne_u32_e64 s0, 0, v26
	s_delay_alu instid0(VALU_DEP_1)
	v_cndmask_b32_e64 v8, 0xc61c4000, v8, s0
	s_branch .LBB305_8
.LBB305_31:
                                        ; implicit-def: $vgpr8_vgpr9_vgpr10_vgpr11_vgpr12_vgpr13_vgpr14_vgpr15
	s_and_not1_b32 vcc_lo, exec_lo, s9
	s_cbranch_vccz .LBB305_5
	s_branch .LBB305_6
.LBB305_32:
	v_mov_b32_e32 v19, 0
.LBB305_33:
	v_cmp_eq_u32_e64 s0, 0, v17
	s_delay_alu instid0(VALU_DEP_1) | instskip(NEXT) | instid1(SALU_CYCLE_1)
	s_and_b32 s0, s0, vcc_lo
	s_and_b32 exec_lo, exec_lo, s0
	s_cbranch_execz .LBB305_37
; %bb.34:
	s_and_not1_b32 vcc_lo, exec_lo, s5
	s_cbranch_vccnz .LBB305_37
; %bb.35:
	v_mul_lo_u32 v0, v16, s8
	v_cmp_lt_f32_e32 vcc_lo, 0, v19
	v_cndmask_b32_e32 v2, 1.0, v19, vcc_lo
	s_delay_alu instid0(VALU_DEP_3) | instskip(NEXT) | instid1(VALU_DEP_1)
	v_ashrrev_i32_e32 v1, 31, v0
	v_lshlrev_b64 v[0:1], 2, v[0:1]
	s_delay_alu instid0(VALU_DEP_1) | instskip(NEXT) | instid1(VALU_DEP_2)
	v_add_co_u32 v0, vcc_lo, s16, v0
	v_add_co_ci_u32_e32 v1, vcc_lo, s17, v1, vcc_lo
	.p2align	6
.LBB305_36:                             ; =>This Inner Loop Header: Depth=1
	global_load_b32 v3, v[0:1], off
	s_add_i32 s8, s8, -1
	s_delay_alu instid0(SALU_CYCLE_1) | instskip(SKIP_3) | instid1(VALU_DEP_2)
	s_cmp_lg_u32 s8, 0
	s_waitcnt vmcnt(0)
	v_div_scale_f32 v4, null, v2, v2, v3
	v_div_scale_f32 v7, vcc_lo, v3, v2, v3
	v_rcp_f32_e32 v5, v4
	s_waitcnt_depctr 0xfff
	v_fma_f32 v6, -v4, v5, 1.0
	s_delay_alu instid0(VALU_DEP_1) | instskip(NEXT) | instid1(VALU_DEP_1)
	v_fmac_f32_e32 v5, v6, v5
	v_mul_f32_e32 v6, v7, v5
	s_delay_alu instid0(VALU_DEP_1) | instskip(NEXT) | instid1(VALU_DEP_1)
	v_fma_f32 v8, -v4, v6, v7
	v_fmac_f32_e32 v6, v8, v5
	s_delay_alu instid0(VALU_DEP_1) | instskip(NEXT) | instid1(VALU_DEP_1)
	v_fma_f32 v4, -v4, v6, v7
	v_div_fmas_f32 v4, v4, v5, v6
	s_delay_alu instid0(VALU_DEP_1)
	v_div_fixup_f32 v3, v4, v2, v3
	global_store_b32 v[0:1], v3, off
	v_add_co_u32 v0, vcc_lo, v0, 4
	v_add_co_ci_u32_e32 v1, vcc_lo, 0, v1, vcc_lo
	s_cbranch_scc1 .LBB305_36
.LBB305_37:
	s_nop 0
	s_sendmsg sendmsg(MSG_DEALLOC_VGPRS)
	s_endpgm
	.section	.rodata,"a",@progbits
	.p2align	6, 0x0
	.amdhsa_kernel _ZN4vllm3moe10topkGatingILi8ELi128ELi4ELi16ELi32El6__halfLNS0_11ScoringFuncE1EEEvPKT5_PKbPfiPT4_PiiiibPKf
		.amdhsa_group_segment_fixed_size 0
		.amdhsa_private_segment_fixed_size 0
		.amdhsa_kernarg_size 72
		.amdhsa_user_sgpr_count 15
		.amdhsa_user_sgpr_dispatch_ptr 0
		.amdhsa_user_sgpr_queue_ptr 0
		.amdhsa_user_sgpr_kernarg_segment_ptr 1
		.amdhsa_user_sgpr_dispatch_id 0
		.amdhsa_user_sgpr_private_segment_size 0
		.amdhsa_wavefront_size32 1
		.amdhsa_uses_dynamic_stack 0
		.amdhsa_enable_private_segment 0
		.amdhsa_system_sgpr_workgroup_id_x 1
		.amdhsa_system_sgpr_workgroup_id_y 0
		.amdhsa_system_sgpr_workgroup_id_z 0
		.amdhsa_system_sgpr_workgroup_info 0
		.amdhsa_system_vgpr_workitem_id 1
		.amdhsa_next_free_vgpr 47
		.amdhsa_next_free_sgpr 20
		.amdhsa_reserve_vcc 1
		.amdhsa_float_round_mode_32 0
		.amdhsa_float_round_mode_16_64 0
		.amdhsa_float_denorm_mode_32 3
		.amdhsa_float_denorm_mode_16_64 3
		.amdhsa_dx10_clamp 1
		.amdhsa_ieee_mode 1
		.amdhsa_fp16_overflow 0
		.amdhsa_workgroup_processor_mode 1
		.amdhsa_memory_ordered 1
		.amdhsa_forward_progress 0
		.amdhsa_shared_vgpr_count 0
		.amdhsa_exception_fp_ieee_invalid_op 0
		.amdhsa_exception_fp_denorm_src 0
		.amdhsa_exception_fp_ieee_div_zero 0
		.amdhsa_exception_fp_ieee_overflow 0
		.amdhsa_exception_fp_ieee_underflow 0
		.amdhsa_exception_fp_ieee_inexact 0
		.amdhsa_exception_int_div_zero 0
	.end_amdhsa_kernel
	.section	.text._ZN4vllm3moe10topkGatingILi8ELi128ELi4ELi16ELi32El6__halfLNS0_11ScoringFuncE1EEEvPKT5_PKbPfiPT4_PiiiibPKf,"axG",@progbits,_ZN4vllm3moe10topkGatingILi8ELi128ELi4ELi16ELi32El6__halfLNS0_11ScoringFuncE1EEEvPKT5_PKbPfiPT4_PiiiibPKf,comdat
.Lfunc_end305:
	.size	_ZN4vllm3moe10topkGatingILi8ELi128ELi4ELi16ELi32El6__halfLNS0_11ScoringFuncE1EEEvPKT5_PKbPfiPT4_PiiiibPKf, .Lfunc_end305-_ZN4vllm3moe10topkGatingILi8ELi128ELi4ELi16ELi32El6__halfLNS0_11ScoringFuncE1EEEvPKT5_PKbPfiPT4_PiiiibPKf
                                        ; -- End function
	.section	.AMDGPU.csdata,"",@progbits
; Kernel info:
; codeLenInByte = 3080
; NumSgprs: 22
; NumVgprs: 47
; ScratchSize: 0
; MemoryBound: 0
; FloatMode: 240
; IeeeMode: 1
; LDSByteSize: 0 bytes/workgroup (compile time only)
; SGPRBlocks: 2
; VGPRBlocks: 5
; NumSGPRsForWavesPerEU: 22
; NumVGPRsForWavesPerEU: 47
; Occupancy: 16
; WaveLimiterHint : 0
; COMPUTE_PGM_RSRC2:SCRATCH_EN: 0
; COMPUTE_PGM_RSRC2:USER_SGPR: 15
; COMPUTE_PGM_RSRC2:TRAP_HANDLER: 0
; COMPUTE_PGM_RSRC2:TGID_X_EN: 1
; COMPUTE_PGM_RSRC2:TGID_Y_EN: 0
; COMPUTE_PGM_RSRC2:TGID_Z_EN: 0
; COMPUTE_PGM_RSRC2:TIDIG_COMP_CNT: 1
	.section	.text._ZN4vllm3moe10topkGatingILi8ELi256ELi4ELi16ELi64El6__halfLNS0_11ScoringFuncE1EEEvPKT5_PKbPfiPT4_PiiiibPKf,"axG",@progbits,_ZN4vllm3moe10topkGatingILi8ELi256ELi4ELi16ELi64El6__halfLNS0_11ScoringFuncE1EEEvPKT5_PKbPfiPT4_PiiiibPKf,comdat
	.protected	_ZN4vllm3moe10topkGatingILi8ELi256ELi4ELi16ELi64El6__halfLNS0_11ScoringFuncE1EEEvPKT5_PKbPfiPT4_PiiiibPKf ; -- Begin function _ZN4vllm3moe10topkGatingILi8ELi256ELi4ELi16ELi64El6__halfLNS0_11ScoringFuncE1EEEvPKT5_PKbPfiPT4_PiiiibPKf
	.globl	_ZN4vllm3moe10topkGatingILi8ELi256ELi4ELi16ELi64El6__halfLNS0_11ScoringFuncE1EEEvPKT5_PKbPfiPT4_PiiiibPKf
	.p2align	8
	.type	_ZN4vllm3moe10topkGatingILi8ELi256ELi4ELi16ELi64El6__halfLNS0_11ScoringFuncE1EEEvPKT5_PKbPfiPT4_PiiiibPKf,@function
_ZN4vllm3moe10topkGatingILi8ELi256ELi4ELi16ELi64El6__halfLNS0_11ScoringFuncE1EEEvPKT5_PKbPfiPT4_PiiiibPKf: ; @_ZN4vllm3moe10topkGatingILi8ELi256ELi4ELi16ELi64El6__halfLNS0_11ScoringFuncE1EEEvPKT5_PKbPfiPT4_PiiiibPKf
; %bb.0:
	s_load_b32 s18, s[0:1], 0x18
	v_bfe_u32 v1, v0, 10, 10
	v_and_b32_e32 v0, 0x3ff, v0
	s_lshl_b32 s2, s15, 3
	s_delay_alu instid0(VALU_DEP_2) | instskip(NEXT) | instid1(VALU_DEP_2)
	v_lshlrev_b32_e32 v1, 1, v1
	v_lshrrev_b32_e32 v2, 5, v0
	s_delay_alu instid0(VALU_DEP_1) | instskip(SKIP_2) | instid1(VALU_DEP_1)
	v_add3_u32 v16, s2, v1, v2
	s_mov_b32 s2, exec_lo
	s_waitcnt lgkmcnt(0)
	v_cmpx_gt_i32_e64 s18, v16
	s_cbranch_execz .LBB306_41
; %bb.1:
	s_clause 0x1
	s_load_b128 s[4:7], s[0:1], 0x0
	s_load_b64 s[16:17], s[0:1], 0x10
	s_mov_b32 s9, -1
	s_mov_b32 s19, -1
	s_waitcnt lgkmcnt(0)
	s_cmp_eq_u64 s[6:7], 0
	s_cbranch_scc1 .LBB306_3
; %bb.2:
	v_ashrrev_i32_e32 v2, 31, v16
	v_add_co_u32 v1, vcc_lo, s6, v16
	s_delay_alu instid0(VALU_DEP_2) | instskip(SKIP_3) | instid1(VALU_DEP_1)
	v_add_co_ci_u32_e32 v2, vcc_lo, s7, v2, vcc_lo
	global_load_u8 v1, v[1:2], off
	s_waitcnt vmcnt(0)
	v_and_b32_e32 v1, 1, v1
	v_cmp_eq_u32_e32 vcc_lo, 1, v1
	s_xor_b32 s2, vcc_lo, -1
	s_delay_alu instid0(SALU_CYCLE_1)
	s_or_not1_b32 s19, s2, exec_lo
.LBB306_3:
	v_lshlrev_b32_e32 v1, 8, v16
	v_and_b32_e32 v17, 31, v0
	s_load_b64 s[10:11], s[0:1], 0x40
	s_delay_alu instid0(VALU_DEP_2) | instskip(NEXT) | instid1(VALU_DEP_1)
	v_ashrrev_i32_e32 v2, 31, v1
	v_lshlrev_b64 v[0:1], 1, v[1:2]
	s_delay_alu instid0(VALU_DEP_3) | instskip(NEXT) | instid1(VALU_DEP_2)
	v_lshlrev_b32_e32 v2, 4, v17
	v_add_co_u32 v0, vcc_lo, s4, v0
	s_delay_alu instid0(VALU_DEP_3) | instskip(NEXT) | instid1(VALU_DEP_2)
	v_add_co_ci_u32_e32 v1, vcc_lo, s5, v1, vcc_lo
	v_add_co_u32 v0, vcc_lo, v0, v2
	s_delay_alu instid0(VALU_DEP_2)
	v_add_co_ci_u32_e32 v1, vcc_lo, 0, v1, vcc_lo
	s_waitcnt lgkmcnt(0)
	s_cmp_eq_u64 s[10:11], 0
	global_load_b128 v[0:3], v[0:1], off
	s_waitcnt vmcnt(0)
	v_cvt_f32_f16_e32 v4, v0
	v_lshrrev_b32_e32 v0, 16, v0
	v_cvt_f32_f16_e32 v5, v1
	v_lshrrev_b32_e32 v1, 16, v1
	;; [unrolled: 2-line block ×4, first 2 shown]
	v_dual_mul_f32 v4, 0xbfb8aa3b, v4 :: v_dual_mul_f32 v5, 0xbfb8aa3b, v5
	v_cvt_f32_f16_e32 v0, v0
	v_cvt_f32_f16_e32 v1, v1
	;; [unrolled: 1-line block ×4, first 2 shown]
	v_dual_mul_f32 v6, 0xbfb8aa3b, v6 :: v_dual_mul_f32 v7, 0xbfb8aa3b, v7
	v_exp_f32_e32 v4, v4
	v_dual_mul_f32 v0, 0xbfb8aa3b, v0 :: v_dual_mul_f32 v1, 0xbfb8aa3b, v1
	v_exp_f32_e32 v5, v5
	s_delay_alu instid0(VALU_DEP_2)
	v_exp_f32_e32 v6, v6
	v_mul_f32_e32 v2, 0xbfb8aa3b, v2
	v_exp_f32_e32 v7, v7
	v_dual_mul_f32 v3, 0xbfb8aa3b, v3 :: v_dual_lshlrev_b32 v18, 3, v17
	v_exp_f32_e32 v0, v0
	v_exp_f32_e32 v1, v1
	v_exp_f32_e32 v2, v2
	s_delay_alu instid0(VALU_DEP_1) | instskip(SKIP_2) | instid1(VALU_DEP_2)
	v_exp_f32_e32 v3, v3
	v_dual_add_f32 v4, 1.0, v4 :: v_dual_add_f32 v5, 1.0, v5
	v_dual_add_f32 v6, 1.0, v6 :: v_dual_add_f32 v7, 1.0, v7
	v_div_scale_f32 v8, null, v4, v4, 1.0
	s_delay_alu instid0(TRANS32_DEP_3) | instskip(NEXT) | instid1(VALU_DEP_4)
	v_dual_add_f32 v0, 1.0, v0 :: v_dual_add_f32 v1, 1.0, v1
	v_div_scale_f32 v10, null, v5, v5, 1.0
	s_delay_alu instid0(VALU_DEP_4) | instskip(NEXT) | instid1(TRANS32_DEP_1)
	v_div_scale_f32 v12, null, v6, v6, 1.0
	v_dual_add_f32 v14, 1.0, v2 :: v_dual_add_f32 v19, 1.0, v3
	v_div_scale_f32 v2, null, v7, v7, 1.0
	v_rcp_f32_e32 v3, v8
	v_div_scale_f32 v20, null, v0, v0, 1.0
	v_rcp_f32_e32 v22, v10
	;; [unrolled: 2-line block ×3, first 2 shown]
	v_rcp_f32_e32 v28, v2
	v_div_scale_f32 v29, null, v19, v19, 1.0
	v_rcp_f32_e32 v30, v20
	v_div_scale_f32 v26, null, v14, v14, 1.0
	v_rcp_f32_e32 v32, v23
	v_fma_f32 v34, -v8, v3, 1.0
	v_rcp_f32_e32 v35, v29
	v_div_scale_f32 v9, vcc_lo, 1.0, v4, 1.0
	v_rcp_f32_e32 v33, v26
	v_fma_f32 v36, -v10, v22, 1.0
	v_fma_f32 v37, -v12, v25, 1.0
	;; [unrolled: 1-line block ×3, first 2 shown]
	v_fmac_f32_e32 v3, v34, v3
	v_fma_f32 v34, -v20, v30, 1.0
	v_fmac_f32_e32 v22, v36, v22
	v_div_scale_f32 v11, s2, 1.0, v5, 1.0
	v_fma_f32 v36, -v23, v32, 1.0
	v_dual_fmac_f32 v25, v37, v25 :: v_dual_fmac_f32 v28, v38, v28
	v_fma_f32 v38, -v29, v35, 1.0
	v_dual_mul_f32 v39, v9, v3 :: v_dual_fmac_f32 v30, v34, v30
	v_div_scale_f32 v21, s5, 1.0, v0, 1.0
	v_div_scale_f32 v24, s6, 1.0, v1, 1.0
	v_fma_f32 v37, -v26, v33, 1.0
	v_mul_f32_e32 v34, v11, v22
	v_dual_fmac_f32 v32, v36, v32 :: v_dual_fmac_f32 v35, v38, v35
	v_fma_f32 v38, -v8, v39, v9
	v_mul_f32_e32 v40, v21, v30
	v_div_scale_f32 v13, s3, 1.0, v6, 1.0
	v_div_scale_f32 v15, s4, 1.0, v7, 1.0
	s_delay_alu instid0(VALU_DEP_4)
	v_fmac_f32_e32 v39, v38, v3
	v_fmac_f32_e32 v33, v37, v33
	v_fma_f32 v41, -v10, v34, v11
	v_mul_f32_e32 v42, v24, v32
	v_fma_f32 v38, -v20, v40, v21
	v_div_scale_f32 v27, s7, 1.0, v14, 1.0
	v_dual_mul_f32 v36, v13, v25 :: v_dual_mul_f32 v37, v15, v28
	v_fmac_f32_e32 v34, v41, v22
	v_fma_f32 v41, -v23, v42, v24
	v_fma_f32 v8, -v8, v39, v9
	v_fmac_f32_e32 v40, v38, v30
	v_fma_f32 v43, -v12, v36, v13
	v_fma_f32 v45, -v2, v37, v15
	v_mul_f32_e32 v44, v27, v33
	v_fmac_f32_e32 v42, v41, v32
	v_div_fmas_f32 v3, v8, v3, v39
	v_fma_f32 v8, -v20, v40, v21
	v_fmac_f32_e32 v37, v45, v28
	v_fma_f32 v9, -v10, v34, v11
	v_fmac_f32_e32 v36, v43, v25
	v_fma_f32 v43, -v26, v44, v27
	s_mov_b32 vcc_lo, s5
	v_fma_f32 v11, -v23, v42, v24
	v_div_fixup_f32 v3, v3, v4, 1.0
	v_div_fmas_f32 v4, v8, v30, v40
	s_mov_b32 vcc_lo, s2
	v_fmac_f32_e32 v44, v43, v33
	v_div_fmas_f32 v8, v9, v22, v34
	s_mov_b32 vcc_lo, s6
	v_fma_f32 v10, -v12, v36, v13
	v_div_fmas_f32 v9, v11, v32, v42
	v_cmp_class_f32_e64 vcc_lo, v3, 0x1f8
	v_fma_f32 v12, -v26, v44, v27
	v_div_fixup_f32 v4, v4, v0, 1.0
	v_div_scale_f32 v31, s8, 1.0, v19, 1.0
	v_cndmask_b32_e32 v0, 0, v3, vcc_lo
	s_mov_b32 vcc_lo, s3
	v_fma_f32 v2, -v2, v37, v15
	v_div_fmas_f32 v3, v10, v25, v36
	s_mov_b32 vcc_lo, s7
	v_div_fixup_f32 v5, v8, v5, 1.0
	v_div_fmas_f32 v8, v12, v33, v44
	s_mov_b32 vcc_lo, s4
	v_div_fixup_f32 v9, v9, v1, 1.0
	v_div_fmas_f32 v10, v2, v28, v37
	v_cmp_class_f32_e64 vcc_lo, v4, 0x1f8
	v_mul_f32_e32 v46, v31, v35
	s_delay_alu instid0(VALU_DEP_3) | instskip(SKIP_1) | instid1(VALU_DEP_3)
	v_div_fixup_f32 v7, v10, v7, 1.0
	v_cndmask_b32_e32 v1, 0, v4, vcc_lo
	v_fma_f32 v45, -v29, v46, v31
	s_mov_b32 vcc_lo, s8
	v_div_fixup_f32 v4, v3, v6, 1.0
	s_delay_alu instid0(VALU_DEP_2) | instskip(NEXT) | instid1(VALU_DEP_1)
	v_fmac_f32_e32 v46, v45, v35
	v_fma_f32 v13, -v29, v46, v31
	s_delay_alu instid0(VALU_DEP_1)
	v_div_fmas_f32 v6, v13, v35, v46
	v_cmp_class_f32_e64 vcc_lo, v5, 0x1f8
	v_cndmask_b32_e32 v2, 0, v5, vcc_lo
	v_cmp_class_f32_e64 vcc_lo, v9, 0x1f8
	v_div_fixup_f32 v5, v8, v14, 1.0
	v_div_fixup_f32 v8, v6, v19, 1.0
	v_cndmask_b32_e32 v3, 0, v9, vcc_lo
	v_cmp_class_f32_e64 vcc_lo, v4, 0x1f8
	v_cndmask_b32_e32 v4, 0, v4, vcc_lo
	v_cmp_class_f32_e64 vcc_lo, v5, 0x1f8
	;; [unrolled: 2-line block ×4, first 2 shown]
	v_cndmask_b32_e32 v7, 0, v8, vcc_lo
	s_cbranch_scc1 .LBB306_35
; %bb.4:
	v_lshlrev_b32_e32 v12, 2, v18
	s_clause 0x1
	global_load_b128 v[8:11], v12, s[10:11]
	global_load_b128 v[12:15], v12, s[10:11] offset:16
	s_waitcnt vmcnt(1)
	v_dual_add_f32 v9, v9, v1 :: v_dual_add_f32 v8, v8, v0
	v_dual_add_f32 v11, v11, v3 :: v_dual_add_f32 v10, v10, v2
	s_waitcnt vmcnt(0)
	v_dual_add_f32 v13, v13, v5 :: v_dual_add_f32 v12, v12, v4
	v_dual_add_f32 v15, v15, v7 :: v_dual_add_f32 v14, v14, v6
	s_cbranch_execnz .LBB306_6
.LBB306_5:
	v_dual_mov_b32 v15, v7 :: v_dual_mov_b32 v14, v6
	v_dual_mov_b32 v13, v5 :: v_dual_mov_b32 v12, v4
	;; [unrolled: 1-line block ×4, first 2 shown]
.LBB306_6:
	s_load_b128 s[8:11], s[0:1], 0x30
	v_cmp_eq_u32_e64 s2, 0, v17
	s_mov_b32 s6, 0
	s_waitcnt lgkmcnt(0)
	s_bitcmp1_b32 s11, 0
	s_cselect_b32 vcc_lo, -1, 0
	s_cmp_gt_i32 s8, 0
	s_cselect_b32 s5, -1, 0
	s_cmp_lt_i32 s8, 1
	s_cbranch_scc1 .LBB306_36
; %bb.7:
	v_mbcnt_lo_u32_b32 v20, -1, 0
	s_load_b128 s[12:15], s[0:1], 0x20
	v_mul_lo_u32 v19, v16, s8
	v_mov_b32_e32 v26, v16
	s_delay_alu instid0(VALU_DEP_3)
	v_xor_b32_e32 v21, 16, v20
	v_xor_b32_e32 v22, 8, v20
	;; [unrolled: 1-line block ×5, first 2 shown]
	v_cmp_gt_i32_e64 s0, 32, v21
	s_delay_alu instid0(VALU_DEP_1) | instskip(SKIP_1) | instid1(VALU_DEP_2)
	v_cndmask_b32_e64 v21, v20, v21, s0
	v_cmp_gt_i32_e64 s0, 32, v22
	v_lshlrev_b32_e32 v21, 2, v21
	s_delay_alu instid0(VALU_DEP_2) | instskip(SKIP_1) | instid1(VALU_DEP_2)
	v_cndmask_b32_e64 v22, v20, v22, s0
	v_cmp_gt_i32_e64 s0, 32, v23
	v_lshlrev_b32_e32 v22, 2, v22
	s_delay_alu instid0(VALU_DEP_2) | instskip(SKIP_1) | instid1(VALU_DEP_2)
	;; [unrolled: 4-line block ×3, first 2 shown]
	v_cndmask_b32_e64 v24, v20, v24, s0
	v_cmp_gt_i32_e64 s0, 32, v25
	v_lshlrev_b32_e32 v24, 2, v24
	s_delay_alu instid0(VALU_DEP_2) | instskip(NEXT) | instid1(VALU_DEP_1)
	v_cndmask_b32_e64 v20, v20, v25, s0
	v_dual_mov_b32 v20, 0 :: v_dual_lshlrev_b32 v25, 2, v20
	s_branch .LBB306_10
.LBB306_8:                              ;   in Loop: Header=BB306_10 Depth=1
	s_or_b32 exec_lo, exec_lo, s1
.LBB306_9:                              ;   in Loop: Header=BB306_10 Depth=1
	v_add_nc_u32_e32 v26, s18, v26
	s_cmp_eq_u32 s8, s6
	s_cbranch_scc1 .LBB306_37
.LBB306_10:                             ; =>This Inner Loop Header: Depth=1
	v_cmp_gt_f32_e64 s0, v9, v8
	s_delay_alu instid0(VALU_DEP_1) | instskip(SKIP_2) | instid1(VALU_DEP_3)
	v_cndmask_b32_e64 v28, v8, v9, s0
	v_cndmask_b32_e64 v27, 0, 1, s0
	;; [unrolled: 1-line block ×3, first 2 shown]
	v_cmp_gt_f32_e64 s1, v10, v28
	s_delay_alu instid0(VALU_DEP_1) | instskip(NEXT) | instid1(VALU_DEP_4)
	v_cndmask_b32_e64 v28, v28, v10, s1
	v_cndmask_b32_e64 v27, v27, 2, s1
	s_delay_alu instid0(VALU_DEP_4) | instskip(NEXT) | instid1(VALU_DEP_3)
	v_cndmask_b32_e64 v29, v29, v2, s1
	v_cmp_gt_f32_e64 s3, v11, v28
	s_delay_alu instid0(VALU_DEP_1) | instskip(NEXT) | instid1(VALU_DEP_4)
	v_cndmask_b32_e64 v28, v28, v11, s3
	v_cndmask_b32_e64 v27, v27, 3, s3
	s_delay_alu instid0(VALU_DEP_4) | instskip(NEXT) | instid1(VALU_DEP_3)
	v_cndmask_b32_e64 v29, v29, v3, s3
	v_cmp_gt_f32_e64 s4, v12, v28
	s_delay_alu instid0(VALU_DEP_1) | instskip(NEXT) | instid1(VALU_DEP_4)
	v_cndmask_b32_e64 v28, v28, v12, s4
	v_cndmask_b32_e64 v27, v27, 4, s4
	s_delay_alu instid0(VALU_DEP_4) | instskip(SKIP_1) | instid1(VALU_DEP_3)
	v_cndmask_b32_e64 v29, v29, v4, s4
	s_mov_b32 s4, exec_lo
	v_cmp_gt_f32_e64 s0, v13, v28
	s_delay_alu instid0(VALU_DEP_1) | instskip(SKIP_2) | instid1(VALU_DEP_3)
	v_cndmask_b32_e64 v28, v28, v13, s0
	v_cndmask_b32_e64 v27, v27, 5, s0
	;; [unrolled: 1-line block ×3, first 2 shown]
	v_cmp_gt_f32_e64 s1, v14, v28
	s_delay_alu instid0(VALU_DEP_1) | instskip(NEXT) | instid1(VALU_DEP_4)
	v_cndmask_b32_e64 v28, v28, v14, s1
	v_cndmask_b32_e64 v27, v27, 6, s1
	s_waitcnt lgkmcnt(0)
	v_cndmask_b32_e64 v30, v29, v6, s1
	s_delay_alu instid0(VALU_DEP_3) | instskip(NEXT) | instid1(VALU_DEP_1)
	v_cmp_gt_f32_e64 s0, v15, v28
	v_cndmask_b32_e64 v27, v27, 7, s0
	v_cndmask_b32_e64 v29, v28, v15, s0
	s_delay_alu instid0(VALU_DEP_4) | instskip(NEXT) | instid1(VALU_DEP_3)
	v_cndmask_b32_e64 v28, v30, v7, s0
	v_or_b32_e32 v27, v18, v27
	ds_bpermute_b32 v30, v21, v29
	ds_bpermute_b32 v32, v21, v28
	;; [unrolled: 1-line block ×3, first 2 shown]
	s_waitcnt lgkmcnt(0)
	v_cmp_lt_f32_e64 s3, v29, v30
	v_cmpx_nlt_f32_e32 v29, v30
; %bb.11:                               ;   in Loop: Header=BB306_10 Depth=1
	v_cmp_eq_f32_e64 s0, v29, v30
	v_cmp_lt_i32_e64 s1, v31, v27
	s_delay_alu instid0(VALU_DEP_1) | instskip(SKIP_2) | instid1(SALU_CYCLE_1)
	s_and_b32 s0, s0, s1
	s_and_not1_b32 s1, s3, exec_lo
	s_and_b32 s0, s0, exec_lo
	s_or_b32 s3, s1, s0
; %bb.12:                               ;   in Loop: Header=BB306_10 Depth=1
	s_or_b32 exec_lo, exec_lo, s4
	s_and_saveexec_b32 s0, s3
; %bb.13:                               ;   in Loop: Header=BB306_10 Depth=1
	v_dual_mov_b32 v28, v32 :: v_dual_mov_b32 v29, v30
	v_mov_b32_e32 v27, v31
; %bb.14:                               ;   in Loop: Header=BB306_10 Depth=1
	s_or_b32 exec_lo, exec_lo, s0
	ds_bpermute_b32 v30, v22, v29
	ds_bpermute_b32 v32, v22, v28
	;; [unrolled: 1-line block ×3, first 2 shown]
	s_mov_b32 s4, exec_lo
	s_waitcnt lgkmcnt(2)
	v_cmp_lt_f32_e64 s3, v29, v30
	v_cmpx_nlt_f32_e32 v29, v30
	s_cbranch_execz .LBB306_16
; %bb.15:                               ;   in Loop: Header=BB306_10 Depth=1
	v_cmp_eq_f32_e64 s0, v29, v30
	s_waitcnt lgkmcnt(0)
	v_cmp_lt_i32_e64 s1, v31, v27
	s_delay_alu instid0(VALU_DEP_1) | instskip(SKIP_2) | instid1(SALU_CYCLE_1)
	s_and_b32 s0, s0, s1
	s_and_not1_b32 s1, s3, exec_lo
	s_and_b32 s0, s0, exec_lo
	s_or_b32 s3, s1, s0
.LBB306_16:                             ;   in Loop: Header=BB306_10 Depth=1
	s_or_b32 exec_lo, exec_lo, s4
	s_delay_alu instid0(VALU_DEP_2)
	s_and_saveexec_b32 s0, s3
	s_cbranch_execz .LBB306_18
; %bb.17:                               ;   in Loop: Header=BB306_10 Depth=1
	s_waitcnt lgkmcnt(1)
	v_dual_mov_b32 v28, v32 :: v_dual_mov_b32 v29, v30
	s_waitcnt lgkmcnt(0)
	v_mov_b32_e32 v27, v31
.LBB306_18:                             ;   in Loop: Header=BB306_10 Depth=1
	s_or_b32 exec_lo, exec_lo, s0
	ds_bpermute_b32 v30, v23, v29
	s_waitcnt lgkmcnt(2)
	ds_bpermute_b32 v32, v23, v28
	s_waitcnt lgkmcnt(2)
	ds_bpermute_b32 v31, v23, v27
	s_mov_b32 s4, exec_lo
	s_waitcnt lgkmcnt(2)
	v_cmp_lt_f32_e64 s3, v29, v30
	v_cmpx_nlt_f32_e32 v29, v30
	s_cbranch_execz .LBB306_20
; %bb.19:                               ;   in Loop: Header=BB306_10 Depth=1
	v_cmp_eq_f32_e64 s0, v29, v30
	s_waitcnt lgkmcnt(0)
	v_cmp_lt_i32_e64 s1, v31, v27
	s_delay_alu instid0(VALU_DEP_1) | instskip(SKIP_2) | instid1(SALU_CYCLE_1)
	s_and_b32 s0, s0, s1
	s_and_not1_b32 s1, s3, exec_lo
	s_and_b32 s0, s0, exec_lo
	s_or_b32 s3, s1, s0
.LBB306_20:                             ;   in Loop: Header=BB306_10 Depth=1
	s_or_b32 exec_lo, exec_lo, s4
	s_delay_alu instid0(VALU_DEP_2)
	s_and_saveexec_b32 s0, s3
	s_cbranch_execz .LBB306_22
; %bb.21:                               ;   in Loop: Header=BB306_10 Depth=1
	s_waitcnt lgkmcnt(1)
	v_dual_mov_b32 v28, v32 :: v_dual_mov_b32 v29, v30
	s_waitcnt lgkmcnt(0)
	v_mov_b32_e32 v27, v31
.LBB306_22:                             ;   in Loop: Header=BB306_10 Depth=1
	s_or_b32 exec_lo, exec_lo, s0
	ds_bpermute_b32 v30, v24, v29
	s_waitcnt lgkmcnt(2)
	ds_bpermute_b32 v32, v24, v28
	s_waitcnt lgkmcnt(2)
	ds_bpermute_b32 v31, v24, v27
	s_mov_b32 s4, exec_lo
	s_waitcnt lgkmcnt(2)
	v_cmp_lt_f32_e64 s3, v29, v30
	v_cmpx_nlt_f32_e32 v29, v30
	s_cbranch_execz .LBB306_24
; %bb.23:                               ;   in Loop: Header=BB306_10 Depth=1
	v_cmp_eq_f32_e64 s0, v29, v30
	s_waitcnt lgkmcnt(0)
	v_cmp_lt_i32_e64 s1, v31, v27
	s_delay_alu instid0(VALU_DEP_1) | instskip(SKIP_2) | instid1(SALU_CYCLE_1)
	s_and_b32 s0, s0, s1
	s_and_not1_b32 s1, s3, exec_lo
	s_and_b32 s0, s0, exec_lo
	s_or_b32 s3, s1, s0
.LBB306_24:                             ;   in Loop: Header=BB306_10 Depth=1
	s_or_b32 exec_lo, exec_lo, s4
	s_delay_alu instid0(VALU_DEP_2)
	s_and_saveexec_b32 s0, s3
	s_cbranch_execz .LBB306_26
; %bb.25:                               ;   in Loop: Header=BB306_10 Depth=1
	s_waitcnt lgkmcnt(1)
	v_dual_mov_b32 v28, v32 :: v_dual_mov_b32 v29, v30
	s_waitcnt lgkmcnt(0)
	v_mov_b32_e32 v27, v31
.LBB306_26:                             ;   in Loop: Header=BB306_10 Depth=1
	s_or_b32 exec_lo, exec_lo, s0
	s_waitcnt lgkmcnt(1)
	ds_bpermute_b32 v32, v25, v29
	ds_bpermute_b32 v30, v25, v28
	s_waitcnt lgkmcnt(2)
	ds_bpermute_b32 v31, v25, v27
	s_mov_b32 s4, exec_lo
	s_waitcnt lgkmcnt(2)
	v_cmp_lt_f32_e64 s3, v29, v32
	v_cmpx_nlt_f32_e32 v29, v32
	s_cbranch_execnz .LBB306_30
; %bb.27:                               ;   in Loop: Header=BB306_10 Depth=1
	s_or_b32 exec_lo, exec_lo, s4
	s_delay_alu instid0(VALU_DEP_2)
	s_and_saveexec_b32 s0, s3
	s_cbranch_execnz .LBB306_31
.LBB306_28:                             ;   in Loop: Header=BB306_10 Depth=1
	s_or_b32 exec_lo, exec_lo, s0
	s_and_saveexec_b32 s3, s2
	s_cbranch_execnz .LBB306_32
.LBB306_29:                             ;   in Loop: Header=BB306_10 Depth=1
	s_or_b32 exec_lo, exec_lo, s3
	s_add_i32 s6, s6, 1
	s_delay_alu instid0(SALU_CYCLE_1)
	s_cmp_ge_i32 s6, s8
	s_cbranch_scc1 .LBB306_9
	s_branch .LBB306_33
.LBB306_30:                             ;   in Loop: Header=BB306_10 Depth=1
	v_cmp_eq_f32_e64 s0, v29, v32
	s_waitcnt lgkmcnt(0)
	v_cmp_lt_i32_e64 s1, v31, v27
	s_delay_alu instid0(VALU_DEP_1) | instskip(SKIP_2) | instid1(SALU_CYCLE_1)
	s_and_b32 s0, s0, s1
	s_and_not1_b32 s1, s3, exec_lo
	s_and_b32 s0, s0, exec_lo
	s_or_b32 s3, s1, s0
	s_or_b32 exec_lo, exec_lo, s4
	s_and_saveexec_b32 s0, s3
	s_cbranch_execz .LBB306_28
.LBB306_31:                             ;   in Loop: Header=BB306_10 Depth=1
	s_waitcnt lgkmcnt(0)
	v_dual_mov_b32 v27, v31 :: v_dual_mov_b32 v28, v30
	s_or_b32 exec_lo, exec_lo, s0
	s_and_saveexec_b32 s3, s2
	s_cbranch_execz .LBB306_29
.LBB306_32:                             ;   in Loop: Header=BB306_10 Depth=1
	s_delay_alu instid0(VALU_DEP_1)
	v_add_f32_e32 v37, v20, v28
	v_add_nc_u32_e32 v29, s6, v19
	v_subrev_nc_u32_e32 v33, s9, v27
	v_cmp_le_i32_e64 s0, s9, v27
	v_cmp_gt_i32_e64 s1, s10, v27
	v_cndmask_b32_e32 v20, v20, v37, vcc_lo
	s_waitcnt lgkmcnt(1)
	v_ashrrev_i32_e32 v30, 31, v29
	v_ashrrev_i32_e32 v34, 31, v33
	s_and_b32 s0, s0, s1
	s_waitcnt lgkmcnt(0)
	s_delay_alu instid0(VALU_DEP_2) | instskip(SKIP_2) | instid1(SALU_CYCLE_1)
	v_lshlrev_b64 v[31:32], 2, v[29:30]
	v_lshlrev_b64 v[29:30], 3, v[29:30]
	s_and_b32 s0, s19, s0
	v_cndmask_b32_e64 v34, 0, v34, s0
	v_cndmask_b32_e64 v33, 0x100, v33, s0
	s_delay_alu instid0(VALU_DEP_4) | instskip(NEXT) | instid1(VALU_DEP_1)
	v_add_co_u32 v35, s0, s16, v31
	v_add_co_ci_u32_e64 v36, s0, s17, v32, s0
	v_add_co_u32 v29, s0, s12, v29
	s_delay_alu instid0(VALU_DEP_1) | instskip(SKIP_1) | instid1(VALU_DEP_1)
	v_add_co_ci_u32_e64 v30, s0, s13, v30, s0
	v_add_co_u32 v31, s0, s14, v31
	v_add_co_ci_u32_e64 v32, s0, s15, v32, s0
	global_store_b32 v[35:36], v28, off
	global_store_b64 v[29:30], v[33:34], off
	global_store_b32 v[31:32], v26, off
	s_or_b32 exec_lo, exec_lo, s3
	s_add_i32 s6, s6, 1
	s_delay_alu instid0(SALU_CYCLE_1)
	s_cmp_ge_i32 s6, s8
	s_cbranch_scc1 .LBB306_9
.LBB306_33:                             ;   in Loop: Header=BB306_10 Depth=1
	v_ashrrev_i32_e32 v28, 31, v27
	s_mov_b32 s1, exec_lo
	s_delay_alu instid0(VALU_DEP_1) | instskip(NEXT) | instid1(VALU_DEP_1)
	v_lshrrev_b32_e32 v29, 29, v28
	v_add_nc_u32_e32 v29, v27, v29
	s_waitcnt lgkmcnt(1)
	s_delay_alu instid0(VALU_DEP_1) | instskip(SKIP_1) | instid1(VALU_DEP_2)
	v_ashrrev_i32_e32 v30, 31, v29
	v_ashrrev_i32_e32 v29, 3, v29
	v_lshrrev_b32_e32 v30, 27, v30
	s_delay_alu instid0(VALU_DEP_1) | instskip(NEXT) | instid1(VALU_DEP_1)
	v_add_nc_u32_e32 v30, v29, v30
	v_and_b32_e32 v30, 0xffffffe0, v30
	s_delay_alu instid0(VALU_DEP_1) | instskip(NEXT) | instid1(VALU_DEP_1)
	v_sub_nc_u32_e32 v30, v29, v30
	v_cmpx_eq_u32_e64 v17, v30
	s_cbranch_execz .LBB306_8
; %bb.34:                               ;   in Loop: Header=BB306_10 Depth=1
	v_lshrrev_b32_e32 v28, 24, v28
	v_lshlrev_b32_e32 v29, 3, v29
	s_delay_alu instid0(VALU_DEP_2) | instskip(NEXT) | instid1(VALU_DEP_2)
	v_add_nc_u32_e32 v28, v27, v28
	v_sub_nc_u32_e32 v27, v27, v29
	s_delay_alu instid0(VALU_DEP_2) | instskip(NEXT) | instid1(VALU_DEP_1)
	v_ashrrev_i32_e32 v28, 8, v28
	v_lshl_add_u32 v27, v28, 3, v27
	s_delay_alu instid0(VALU_DEP_1) | instskip(NEXT) | instid1(VALU_DEP_1)
	v_cmp_ne_u32_e64 s0, 7, v27
	v_cndmask_b32_e64 v15, 0xc61c4000, v15, s0
	v_cmp_ne_u32_e64 s0, 6, v27
	s_delay_alu instid0(VALU_DEP_1) | instskip(SKIP_1) | instid1(VALU_DEP_1)
	v_cndmask_b32_e64 v14, 0xc61c4000, v14, s0
	v_cmp_ne_u32_e64 s0, 5, v27
	v_cndmask_b32_e64 v13, 0xc61c4000, v13, s0
	v_cmp_ne_u32_e64 s0, 4, v27
	s_delay_alu instid0(VALU_DEP_1) | instskip(SKIP_1) | instid1(VALU_DEP_1)
	v_cndmask_b32_e64 v12, 0xc61c4000, v12, s0
	;; [unrolled: 5-line block ×3, first 2 shown]
	v_cmp_ne_u32_e64 s0, 1, v27
	v_cndmask_b32_e64 v9, 0xc61c4000, v9, s0
	v_cmp_ne_u32_e64 s0, 0, v27
	s_delay_alu instid0(VALU_DEP_1)
	v_cndmask_b32_e64 v8, 0xc61c4000, v8, s0
	s_branch .LBB306_8
.LBB306_35:
                                        ; implicit-def: $vgpr8_vgpr9_vgpr10_vgpr11_vgpr12_vgpr13_vgpr14_vgpr15
	s_and_not1_b32 vcc_lo, exec_lo, s9
	s_cbranch_vccz .LBB306_5
	s_branch .LBB306_6
.LBB306_36:
	v_mov_b32_e32 v20, 0
.LBB306_37:
	v_cmp_eq_u32_e64 s0, 0, v17
	s_delay_alu instid0(VALU_DEP_1) | instskip(NEXT) | instid1(SALU_CYCLE_1)
	s_and_b32 s0, s0, vcc_lo
	s_and_b32 exec_lo, exec_lo, s0
	s_cbranch_execz .LBB306_41
; %bb.38:
	s_and_not1_b32 vcc_lo, exec_lo, s5
	s_cbranch_vccnz .LBB306_41
; %bb.39:
	v_mul_lo_u32 v0, v16, s8
	v_cmp_lt_f32_e32 vcc_lo, 0, v20
	v_cndmask_b32_e32 v2, 1.0, v20, vcc_lo
	s_delay_alu instid0(VALU_DEP_3) | instskip(NEXT) | instid1(VALU_DEP_1)
	v_ashrrev_i32_e32 v1, 31, v0
	v_lshlrev_b64 v[0:1], 2, v[0:1]
	s_delay_alu instid0(VALU_DEP_1) | instskip(NEXT) | instid1(VALU_DEP_2)
	v_add_co_u32 v0, vcc_lo, s16, v0
	v_add_co_ci_u32_e32 v1, vcc_lo, s17, v1, vcc_lo
	.p2align	6
.LBB306_40:                             ; =>This Inner Loop Header: Depth=1
	global_load_b32 v3, v[0:1], off
	s_add_i32 s8, s8, -1
	s_delay_alu instid0(SALU_CYCLE_1) | instskip(SKIP_3) | instid1(VALU_DEP_2)
	s_cmp_lg_u32 s8, 0
	s_waitcnt vmcnt(0)
	v_div_scale_f32 v4, null, v2, v2, v3
	v_div_scale_f32 v7, vcc_lo, v3, v2, v3
	v_rcp_f32_e32 v5, v4
	s_waitcnt_depctr 0xfff
	v_fma_f32 v6, -v4, v5, 1.0
	s_delay_alu instid0(VALU_DEP_1) | instskip(NEXT) | instid1(VALU_DEP_1)
	v_fmac_f32_e32 v5, v6, v5
	v_mul_f32_e32 v6, v7, v5
	s_delay_alu instid0(VALU_DEP_1) | instskip(NEXT) | instid1(VALU_DEP_1)
	v_fma_f32 v8, -v4, v6, v7
	v_fmac_f32_e32 v6, v8, v5
	s_delay_alu instid0(VALU_DEP_1) | instskip(NEXT) | instid1(VALU_DEP_1)
	v_fma_f32 v4, -v4, v6, v7
	v_div_fmas_f32 v4, v4, v5, v6
	s_delay_alu instid0(VALU_DEP_1)
	v_div_fixup_f32 v3, v4, v2, v3
	global_store_b32 v[0:1], v3, off
	v_add_co_u32 v0, vcc_lo, v0, 4
	v_add_co_ci_u32_e32 v1, vcc_lo, 0, v1, vcc_lo
	s_cbranch_scc1 .LBB306_40
.LBB306_41:
	s_nop 0
	s_sendmsg sendmsg(MSG_DEALLOC_VGPRS)
	s_endpgm
	.section	.rodata,"a",@progbits
	.p2align	6, 0x0
	.amdhsa_kernel _ZN4vllm3moe10topkGatingILi8ELi256ELi4ELi16ELi64El6__halfLNS0_11ScoringFuncE1EEEvPKT5_PKbPfiPT4_PiiiibPKf
		.amdhsa_group_segment_fixed_size 0
		.amdhsa_private_segment_fixed_size 0
		.amdhsa_kernarg_size 72
		.amdhsa_user_sgpr_count 15
		.amdhsa_user_sgpr_dispatch_ptr 0
		.amdhsa_user_sgpr_queue_ptr 0
		.amdhsa_user_sgpr_kernarg_segment_ptr 1
		.amdhsa_user_sgpr_dispatch_id 0
		.amdhsa_user_sgpr_private_segment_size 0
		.amdhsa_wavefront_size32 1
		.amdhsa_uses_dynamic_stack 0
		.amdhsa_enable_private_segment 0
		.amdhsa_system_sgpr_workgroup_id_x 1
		.amdhsa_system_sgpr_workgroup_id_y 0
		.amdhsa_system_sgpr_workgroup_id_z 0
		.amdhsa_system_sgpr_workgroup_info 0
		.amdhsa_system_vgpr_workitem_id 1
		.amdhsa_next_free_vgpr 47
		.amdhsa_next_free_sgpr 20
		.amdhsa_reserve_vcc 1
		.amdhsa_float_round_mode_32 0
		.amdhsa_float_round_mode_16_64 0
		.amdhsa_float_denorm_mode_32 3
		.amdhsa_float_denorm_mode_16_64 3
		.amdhsa_dx10_clamp 1
		.amdhsa_ieee_mode 1
		.amdhsa_fp16_overflow 0
		.amdhsa_workgroup_processor_mode 1
		.amdhsa_memory_ordered 1
		.amdhsa_forward_progress 0
		.amdhsa_shared_vgpr_count 0
		.amdhsa_exception_fp_ieee_invalid_op 0
		.amdhsa_exception_fp_denorm_src 0
		.amdhsa_exception_fp_ieee_div_zero 0
		.amdhsa_exception_fp_ieee_overflow 0
		.amdhsa_exception_fp_ieee_underflow 0
		.amdhsa_exception_fp_ieee_inexact 0
		.amdhsa_exception_int_div_zero 0
	.end_amdhsa_kernel
	.section	.text._ZN4vllm3moe10topkGatingILi8ELi256ELi4ELi16ELi64El6__halfLNS0_11ScoringFuncE1EEEvPKT5_PKbPfiPT4_PiiiibPKf,"axG",@progbits,_ZN4vllm3moe10topkGatingILi8ELi256ELi4ELi16ELi64El6__halfLNS0_11ScoringFuncE1EEEvPKT5_PKbPfiPT4_PiiiibPKf,comdat
.Lfunc_end306:
	.size	_ZN4vllm3moe10topkGatingILi8ELi256ELi4ELi16ELi64El6__halfLNS0_11ScoringFuncE1EEEvPKT5_PKbPfiPT4_PiiiibPKf, .Lfunc_end306-_ZN4vllm3moe10topkGatingILi8ELi256ELi4ELi16ELi64El6__halfLNS0_11ScoringFuncE1EEEvPKT5_PKbPfiPT4_PiiiibPKf
                                        ; -- End function
	.section	.AMDGPU.csdata,"",@progbits
; Kernel info:
; codeLenInByte = 3244
; NumSgprs: 22
; NumVgprs: 47
; ScratchSize: 0
; MemoryBound: 0
; FloatMode: 240
; IeeeMode: 1
; LDSByteSize: 0 bytes/workgroup (compile time only)
; SGPRBlocks: 2
; VGPRBlocks: 5
; NumSGPRsForWavesPerEU: 22
; NumVGPRsForWavesPerEU: 47
; Occupancy: 16
; WaveLimiterHint : 0
; COMPUTE_PGM_RSRC2:SCRATCH_EN: 0
; COMPUTE_PGM_RSRC2:USER_SGPR: 15
; COMPUTE_PGM_RSRC2:TRAP_HANDLER: 0
; COMPUTE_PGM_RSRC2:TGID_X_EN: 1
; COMPUTE_PGM_RSRC2:TGID_Y_EN: 0
; COMPUTE_PGM_RSRC2:TGID_Z_EN: 0
; COMPUTE_PGM_RSRC2:TIDIG_COMP_CNT: 1
	.section	.text._ZN4vllm3moe10topkGatingILi8ELi256ELi4ELi16ELi32El6__halfLNS0_11ScoringFuncE1EEEvPKT5_PKbPfiPT4_PiiiibPKf,"axG",@progbits,_ZN4vllm3moe10topkGatingILi8ELi256ELi4ELi16ELi32El6__halfLNS0_11ScoringFuncE1EEEvPKT5_PKbPfiPT4_PiiiibPKf,comdat
	.protected	_ZN4vllm3moe10topkGatingILi8ELi256ELi4ELi16ELi32El6__halfLNS0_11ScoringFuncE1EEEvPKT5_PKbPfiPT4_PiiiibPKf ; -- Begin function _ZN4vllm3moe10topkGatingILi8ELi256ELi4ELi16ELi32El6__halfLNS0_11ScoringFuncE1EEEvPKT5_PKbPfiPT4_PiiiibPKf
	.globl	_ZN4vllm3moe10topkGatingILi8ELi256ELi4ELi16ELi32El6__halfLNS0_11ScoringFuncE1EEEvPKT5_PKbPfiPT4_PiiiibPKf
	.p2align	8
	.type	_ZN4vllm3moe10topkGatingILi8ELi256ELi4ELi16ELi32El6__halfLNS0_11ScoringFuncE1EEEvPKT5_PKbPfiPT4_PiiiibPKf,@function
_ZN4vllm3moe10topkGatingILi8ELi256ELi4ELi16ELi32El6__halfLNS0_11ScoringFuncE1EEEvPKT5_PKbPfiPT4_PiiiibPKf: ; @_ZN4vllm3moe10topkGatingILi8ELi256ELi4ELi16ELi32El6__halfLNS0_11ScoringFuncE1EEEvPKT5_PKbPfiPT4_PiiiibPKf
; %bb.0:
	s_load_b32 s18, s[0:1], 0x18
	v_and_b32_e32 v1, 0x3ff, v0
	v_bfe_u32 v0, v0, 10, 10
	s_lshl_b32 s2, s15, 2
	s_delay_alu instid0(VALU_DEP_2) | instskip(NEXT) | instid1(VALU_DEP_1)
	v_lshrrev_b32_e32 v2, 5, v1
	v_add3_u32 v16, s2, v0, v2
	s_mov_b32 s2, exec_lo
	s_waitcnt lgkmcnt(0)
	s_delay_alu instid0(VALU_DEP_1)
	v_cmpx_gt_i32_e64 s18, v16
	s_cbranch_execz .LBB307_41
; %bb.1:
	s_clause 0x1
	s_load_b128 s[4:7], s[0:1], 0x0
	s_load_b64 s[16:17], s[0:1], 0x10
	s_mov_b32 s9, -1
	s_mov_b32 s19, -1
	s_waitcnt lgkmcnt(0)
	s_cmp_eq_u64 s[6:7], 0
	s_cbranch_scc1 .LBB307_3
; %bb.2:
	v_ashrrev_i32_e32 v0, 31, v16
	v_add_co_u32 v2, vcc_lo, s6, v16
	s_delay_alu instid0(VALU_DEP_2) | instskip(SKIP_3) | instid1(VALU_DEP_1)
	v_add_co_ci_u32_e32 v3, vcc_lo, s7, v0, vcc_lo
	global_load_u8 v0, v[2:3], off
	s_waitcnt vmcnt(0)
	v_and_b32_e32 v0, 1, v0
	v_cmp_eq_u32_e32 vcc_lo, 1, v0
	s_xor_b32 s2, vcc_lo, -1
	s_delay_alu instid0(SALU_CYCLE_1)
	s_or_not1_b32 s19, s2, exec_lo
.LBB307_3:
	v_lshlrev_b32_e32 v2, 8, v16
	v_and_b32_e32 v17, 31, v1
	s_load_b64 s[10:11], s[0:1], 0x40
	s_delay_alu instid0(VALU_DEP_2) | instskip(NEXT) | instid1(VALU_DEP_1)
	v_ashrrev_i32_e32 v3, 31, v2
	v_lshlrev_b64 v[0:1], 1, v[2:3]
	s_delay_alu instid0(VALU_DEP_3) | instskip(NEXT) | instid1(VALU_DEP_2)
	v_lshlrev_b32_e32 v2, 4, v17
	v_add_co_u32 v0, vcc_lo, s4, v0
	s_delay_alu instid0(VALU_DEP_3) | instskip(NEXT) | instid1(VALU_DEP_2)
	v_add_co_ci_u32_e32 v1, vcc_lo, s5, v1, vcc_lo
	v_add_co_u32 v0, vcc_lo, v0, v2
	s_delay_alu instid0(VALU_DEP_2)
	v_add_co_ci_u32_e32 v1, vcc_lo, 0, v1, vcc_lo
	s_waitcnt lgkmcnt(0)
	s_cmp_eq_u64 s[10:11], 0
	global_load_b128 v[0:3], v[0:1], off
	s_waitcnt vmcnt(0)
	v_cvt_f32_f16_e32 v4, v0
	v_cvt_f32_f16_e32 v5, v1
	v_lshrrev_b32_e32 v1, 16, v1
	v_lshrrev_b32_e32 v0, 16, v0
	v_cvt_f32_f16_e32 v6, v2
	v_cvt_f32_f16_e32 v7, v3
	v_lshrrev_b32_e32 v3, 16, v3
	v_cvt_f32_f16_e32 v1, v1
	v_mul_f32_e32 v4, 0xbfb8aa3b, v4
	v_cvt_f32_f16_e32 v0, v0
	v_mul_f32_e32 v7, 0xbfb8aa3b, v7
	v_cvt_f32_f16_e32 v3, v3
	v_dual_mul_f32 v6, 0xbfb8aa3b, v6 :: v_dual_mul_f32 v1, 0xbfb8aa3b, v1
	v_exp_f32_e32 v4, v4
	s_delay_alu instid0(VALU_DEP_2) | instskip(NEXT) | instid1(VALU_DEP_2)
	v_dual_mul_f32 v0, 0xbfb8aa3b, v0 :: v_dual_mul_f32 v3, 0xbfb8aa3b, v3
	v_exp_f32_e32 v6, v6
	s_delay_alu instid0(VALU_DEP_2)
	v_exp_f32_e32 v1, v1
	v_lshrrev_b32_e32 v2, 16, v2
	v_mul_f32_e32 v5, 0xbfb8aa3b, v5
	v_exp_f32_e32 v3, v3
	v_exp_f32_e32 v7, v7
	;; [unrolled: 1-line block ×3, first 2 shown]
	v_add_f32_e32 v4, 1.0, v4
	v_cvt_f32_f16_e32 v2, v2
	v_exp_f32_e32 v5, v5
	v_dual_add_f32 v6, 1.0, v6 :: v_dual_add_f32 v1, 1.0, v1
	s_delay_alu instid0(VALU_DEP_3) | instskip(NEXT) | instid1(VALU_DEP_3)
	v_div_scale_f32 v8, null, v4, v4, 1.0
	v_dual_add_f32 v19, 1.0, v3 :: v_dual_mul_f32 v2, 0xbfb8aa3b, v2
	s_delay_alu instid0(VALU_DEP_3) | instskip(NEXT) | instid1(VALU_DEP_3)
	v_div_scale_f32 v12, null, v6, v6, 1.0
	v_rcp_f32_e32 v3, v8
	s_waitcnt_depctr 0xfff
	v_add_f32_e32 v5, 1.0, v5
	v_exp_f32_e32 v2, v2
	v_rcp_f32_e32 v25, v12
	v_dual_add_f32 v7, 1.0, v7 :: v_dual_lshlrev_b32 v18, 3, v17
	s_delay_alu instid0(VALU_DEP_2) | instskip(SKIP_3) | instid1(VALU_DEP_4)
	v_div_scale_f32 v10, null, v5, v5, 1.0
	v_div_scale_f32 v29, null, v19, v19, 1.0
	v_fma_f32 v34, -v8, v3, 1.0
	v_add_f32_e32 v0, 1.0, v0
	v_rcp_f32_e32 v22, v10
	s_delay_alu instid0(TRANS32_DEP_2) | instskip(NEXT) | instid1(TRANS32_DEP_3)
	v_fma_f32 v37, -v12, v25, 1.0
	v_add_f32_e32 v14, 1.0, v2
	v_div_scale_f32 v2, null, v7, v7, 1.0
	v_fmac_f32_e32 v3, v34, v3
	s_delay_alu instid0(VALU_DEP_4) | instskip(SKIP_3) | instid1(VALU_DEP_2)
	v_fmac_f32_e32 v25, v37, v25
	v_div_scale_f32 v20, null, v0, v0, 1.0
	v_div_scale_f32 v26, null, v14, v14, 1.0
	v_rcp_f32_e32 v28, v2
	v_rcp_f32_e32 v30, v20
	v_div_scale_f32 v23, null, v1, v1, 1.0
	s_delay_alu instid0(VALU_DEP_2) | instskip(SKIP_2) | instid1(VALU_DEP_2)
	v_rcp_f32_e32 v33, v26
	v_rcp_f32_e32 v35, v29
	v_div_scale_f32 v9, vcc_lo, 1.0, v4, 1.0
	v_rcp_f32_e32 v32, v23
	v_fma_f32 v36, -v10, v22, 1.0
	v_fma_f32 v38, -v2, v28, 1.0
	;; [unrolled: 1-line block ×3, first 2 shown]
	v_div_scale_f32 v11, s2, 1.0, v5, 1.0
	v_div_scale_f32 v15, s4, 1.0, v7, 1.0
	;; [unrolled: 1-line block ×3, first 2 shown]
	v_dual_fmac_f32 v22, v36, v22 :: v_dual_mul_f32 v39, v9, v3
	v_fma_f32 v37, -v26, v33, 1.0
	v_fmac_f32_e32 v28, v38, v28
	v_fma_f32 v38, -v29, v35, 1.0
	v_fmac_f32_e32 v30, v34, v30
	v_fma_f32 v36, -v23, v32, 1.0
	v_dual_mul_f32 v34, v11, v22 :: v_dual_fmac_f32 v33, v37, v33
	s_delay_alu instid0(VALU_DEP_4)
	v_fmac_f32_e32 v35, v38, v35
	v_mul_f32_e32 v37, v15, v28
	v_fma_f32 v38, -v8, v39, v9
	v_mul_f32_e32 v40, v21, v30
	v_fmac_f32_e32 v32, v36, v32
	v_div_scale_f32 v24, s6, 1.0, v1, 1.0
	s_delay_alu instid0(VALU_DEP_4) | instskip(NEXT) | instid1(VALU_DEP_4)
	v_fmac_f32_e32 v39, v38, v3
	v_fma_f32 v38, -v20, v40, v21
	v_div_scale_f32 v13, s3, 1.0, v6, 1.0
	v_fma_f32 v41, -v10, v34, v11
	s_delay_alu instid0(VALU_DEP_4) | instskip(NEXT) | instid1(VALU_DEP_4)
	v_fma_f32 v8, -v8, v39, v9
	v_fmac_f32_e32 v40, v38, v30
	v_mul_f32_e32 v42, v24, v32
	v_div_scale_f32 v27, s7, 1.0, v14, 1.0
	s_delay_alu instid0(VALU_DEP_4) | instskip(NEXT) | instid1(VALU_DEP_4)
	v_div_fmas_f32 v3, v8, v3, v39
	v_fma_f32 v8, -v20, v40, v21
	s_mov_b32 vcc_lo, s5
	v_fmac_f32_e32 v34, v41, v22
	v_fma_f32 v41, -v23, v42, v24
	v_div_fixup_f32 v3, v3, v4, 1.0
	v_div_fmas_f32 v4, v8, v30, v40
	v_fma_f32 v45, -v2, v37, v15
	v_mul_f32_e32 v44, v27, v33
	v_fmac_f32_e32 v42, v41, v32
	v_div_scale_f32 v31, s8, 1.0, v19, 1.0
	s_delay_alu instid0(VALU_DEP_4)
	v_fmac_f32_e32 v37, v45, v28
	v_div_fixup_f32 v4, v4, v0, 1.0
	v_mul_f32_e32 v36, v13, v25
	v_fma_f32 v9, -v10, v34, v11
	v_fma_f32 v11, -v23, v42, v24
	s_mov_b32 vcc_lo, s2
	v_mul_f32_e32 v46, v31, v35
	v_fma_f32 v43, -v12, v36, v13
	v_div_fmas_f32 v8, v9, v22, v34
	s_mov_b32 vcc_lo, s6
	v_fma_f32 v2, -v2, v37, v15
	v_div_fmas_f32 v9, v11, v32, v42
	v_fmac_f32_e32 v36, v43, v25
	v_fma_f32 v43, -v26, v44, v27
	v_cmp_class_f32_e64 vcc_lo, v3, 0x1f8
	v_fma_f32 v45, -v29, v46, v31
	v_div_fixup_f32 v5, v8, v5, 1.0
	v_fma_f32 v10, -v12, v36, v13
	v_fmac_f32_e32 v44, v43, v33
	v_cndmask_b32_e32 v0, 0, v3, vcc_lo
	s_mov_b32 vcc_lo, s3
	v_fmac_f32_e32 v46, v45, v35
	v_div_fmas_f32 v3, v10, v25, v36
	v_fma_f32 v12, -v26, v44, v27
	s_mov_b32 vcc_lo, s7
	v_div_fixup_f32 v9, v9, v1, 1.0
	v_fma_f32 v13, -v29, v46, v31
	s_delay_alu instid0(VALU_DEP_3) | instskip(SKIP_3) | instid1(VALU_DEP_2)
	v_div_fmas_f32 v8, v12, v33, v44
	s_mov_b32 vcc_lo, s4
	v_div_fmas_f32 v10, v2, v28, v37
	v_cmp_class_f32_e64 vcc_lo, v4, 0x1f8
	v_div_fixup_f32 v7, v10, v7, 1.0
	v_cndmask_b32_e32 v1, 0, v4, vcc_lo
	s_mov_b32 vcc_lo, s8
	v_div_fixup_f32 v4, v3, v6, 1.0
	v_div_fmas_f32 v6, v13, v35, v46
	v_cmp_class_f32_e64 vcc_lo, v5, 0x1f8
	v_cndmask_b32_e32 v2, 0, v5, vcc_lo
	v_cmp_class_f32_e64 vcc_lo, v9, 0x1f8
	v_div_fixup_f32 v5, v8, v14, 1.0
	v_div_fixup_f32 v8, v6, v19, 1.0
	v_cndmask_b32_e32 v3, 0, v9, vcc_lo
	v_cmp_class_f32_e64 vcc_lo, v4, 0x1f8
	v_cndmask_b32_e32 v4, 0, v4, vcc_lo
	v_cmp_class_f32_e64 vcc_lo, v5, 0x1f8
	;; [unrolled: 2-line block ×4, first 2 shown]
	v_cndmask_b32_e32 v7, 0, v8, vcc_lo
	s_cbranch_scc1 .LBB307_35
; %bb.4:
	v_lshlrev_b32_e32 v12, 2, v18
	s_clause 0x1
	global_load_b128 v[8:11], v12, s[10:11]
	global_load_b128 v[12:15], v12, s[10:11] offset:16
	s_waitcnt vmcnt(1)
	v_dual_add_f32 v9, v9, v1 :: v_dual_add_f32 v8, v8, v0
	v_dual_add_f32 v11, v11, v3 :: v_dual_add_f32 v10, v10, v2
	s_waitcnt vmcnt(0)
	v_dual_add_f32 v13, v13, v5 :: v_dual_add_f32 v12, v12, v4
	v_dual_add_f32 v15, v15, v7 :: v_dual_add_f32 v14, v14, v6
	s_cbranch_execnz .LBB307_6
.LBB307_5:
	v_dual_mov_b32 v15, v7 :: v_dual_mov_b32 v14, v6
	v_dual_mov_b32 v13, v5 :: v_dual_mov_b32 v12, v4
	v_dual_mov_b32 v11, v3 :: v_dual_mov_b32 v10, v2
	v_dual_mov_b32 v9, v1 :: v_dual_mov_b32 v8, v0
.LBB307_6:
	s_load_b128 s[8:11], s[0:1], 0x30
	v_cmp_eq_u32_e64 s2, 0, v17
	s_mov_b32 s6, 0
	s_waitcnt lgkmcnt(0)
	s_bitcmp1_b32 s11, 0
	s_cselect_b32 vcc_lo, -1, 0
	s_cmp_gt_i32 s8, 0
	s_cselect_b32 s5, -1, 0
	s_cmp_lt_i32 s8, 1
	s_cbranch_scc1 .LBB307_36
; %bb.7:
	v_mbcnt_lo_u32_b32 v20, -1, 0
	s_load_b128 s[12:15], s[0:1], 0x20
	v_mul_lo_u32 v19, v16, s8
	v_mov_b32_e32 v26, v16
	s_delay_alu instid0(VALU_DEP_3)
	v_xor_b32_e32 v21, 16, v20
	v_xor_b32_e32 v22, 8, v20
	;; [unrolled: 1-line block ×5, first 2 shown]
	v_cmp_gt_i32_e64 s0, 32, v21
	s_delay_alu instid0(VALU_DEP_1) | instskip(SKIP_1) | instid1(VALU_DEP_2)
	v_cndmask_b32_e64 v21, v20, v21, s0
	v_cmp_gt_i32_e64 s0, 32, v22
	v_lshlrev_b32_e32 v21, 2, v21
	s_delay_alu instid0(VALU_DEP_2) | instskip(SKIP_1) | instid1(VALU_DEP_2)
	v_cndmask_b32_e64 v22, v20, v22, s0
	v_cmp_gt_i32_e64 s0, 32, v23
	v_lshlrev_b32_e32 v22, 2, v22
	s_delay_alu instid0(VALU_DEP_2) | instskip(SKIP_1) | instid1(VALU_DEP_2)
	;; [unrolled: 4-line block ×3, first 2 shown]
	v_cndmask_b32_e64 v24, v20, v24, s0
	v_cmp_gt_i32_e64 s0, 32, v25
	v_lshlrev_b32_e32 v24, 2, v24
	s_delay_alu instid0(VALU_DEP_2) | instskip(NEXT) | instid1(VALU_DEP_1)
	v_cndmask_b32_e64 v20, v20, v25, s0
	v_dual_mov_b32 v20, 0 :: v_dual_lshlrev_b32 v25, 2, v20
	s_branch .LBB307_10
.LBB307_8:                              ;   in Loop: Header=BB307_10 Depth=1
	s_or_b32 exec_lo, exec_lo, s1
.LBB307_9:                              ;   in Loop: Header=BB307_10 Depth=1
	v_add_nc_u32_e32 v26, s18, v26
	s_cmp_eq_u32 s8, s6
	s_cbranch_scc1 .LBB307_37
.LBB307_10:                             ; =>This Inner Loop Header: Depth=1
	v_cmp_gt_f32_e64 s0, v9, v8
	s_delay_alu instid0(VALU_DEP_1) | instskip(SKIP_2) | instid1(VALU_DEP_3)
	v_cndmask_b32_e64 v28, v8, v9, s0
	v_cndmask_b32_e64 v27, 0, 1, s0
	;; [unrolled: 1-line block ×3, first 2 shown]
	v_cmp_gt_f32_e64 s1, v10, v28
	s_delay_alu instid0(VALU_DEP_1) | instskip(NEXT) | instid1(VALU_DEP_4)
	v_cndmask_b32_e64 v28, v28, v10, s1
	v_cndmask_b32_e64 v27, v27, 2, s1
	s_delay_alu instid0(VALU_DEP_4) | instskip(NEXT) | instid1(VALU_DEP_3)
	v_cndmask_b32_e64 v29, v29, v2, s1
	v_cmp_gt_f32_e64 s3, v11, v28
	s_delay_alu instid0(VALU_DEP_1) | instskip(NEXT) | instid1(VALU_DEP_4)
	v_cndmask_b32_e64 v28, v28, v11, s3
	v_cndmask_b32_e64 v27, v27, 3, s3
	s_delay_alu instid0(VALU_DEP_4) | instskip(NEXT) | instid1(VALU_DEP_3)
	v_cndmask_b32_e64 v29, v29, v3, s3
	v_cmp_gt_f32_e64 s4, v12, v28
	s_delay_alu instid0(VALU_DEP_1) | instskip(NEXT) | instid1(VALU_DEP_4)
	v_cndmask_b32_e64 v28, v28, v12, s4
	v_cndmask_b32_e64 v27, v27, 4, s4
	s_delay_alu instid0(VALU_DEP_4) | instskip(SKIP_1) | instid1(VALU_DEP_3)
	v_cndmask_b32_e64 v29, v29, v4, s4
	s_mov_b32 s4, exec_lo
	v_cmp_gt_f32_e64 s0, v13, v28
	s_delay_alu instid0(VALU_DEP_1) | instskip(SKIP_2) | instid1(VALU_DEP_3)
	v_cndmask_b32_e64 v28, v28, v13, s0
	v_cndmask_b32_e64 v27, v27, 5, s0
	;; [unrolled: 1-line block ×3, first 2 shown]
	v_cmp_gt_f32_e64 s1, v14, v28
	s_delay_alu instid0(VALU_DEP_1) | instskip(NEXT) | instid1(VALU_DEP_4)
	v_cndmask_b32_e64 v28, v28, v14, s1
	v_cndmask_b32_e64 v27, v27, 6, s1
	s_waitcnt lgkmcnt(0)
	v_cndmask_b32_e64 v30, v29, v6, s1
	s_delay_alu instid0(VALU_DEP_3) | instskip(NEXT) | instid1(VALU_DEP_1)
	v_cmp_gt_f32_e64 s0, v15, v28
	v_cndmask_b32_e64 v27, v27, 7, s0
	v_cndmask_b32_e64 v29, v28, v15, s0
	s_delay_alu instid0(VALU_DEP_4) | instskip(NEXT) | instid1(VALU_DEP_3)
	v_cndmask_b32_e64 v28, v30, v7, s0
	v_or_b32_e32 v27, v18, v27
	ds_bpermute_b32 v30, v21, v29
	ds_bpermute_b32 v32, v21, v28
	;; [unrolled: 1-line block ×3, first 2 shown]
	s_waitcnt lgkmcnt(0)
	v_cmp_lt_f32_e64 s3, v29, v30
	v_cmpx_nlt_f32_e32 v29, v30
; %bb.11:                               ;   in Loop: Header=BB307_10 Depth=1
	v_cmp_eq_f32_e64 s0, v29, v30
	v_cmp_lt_i32_e64 s1, v31, v27
	s_delay_alu instid0(VALU_DEP_1) | instskip(SKIP_2) | instid1(SALU_CYCLE_1)
	s_and_b32 s0, s0, s1
	s_and_not1_b32 s1, s3, exec_lo
	s_and_b32 s0, s0, exec_lo
	s_or_b32 s3, s1, s0
; %bb.12:                               ;   in Loop: Header=BB307_10 Depth=1
	s_or_b32 exec_lo, exec_lo, s4
	s_and_saveexec_b32 s0, s3
; %bb.13:                               ;   in Loop: Header=BB307_10 Depth=1
	v_dual_mov_b32 v28, v32 :: v_dual_mov_b32 v29, v30
	v_mov_b32_e32 v27, v31
; %bb.14:                               ;   in Loop: Header=BB307_10 Depth=1
	s_or_b32 exec_lo, exec_lo, s0
	ds_bpermute_b32 v30, v22, v29
	ds_bpermute_b32 v32, v22, v28
	;; [unrolled: 1-line block ×3, first 2 shown]
	s_mov_b32 s4, exec_lo
	s_waitcnt lgkmcnt(2)
	v_cmp_lt_f32_e64 s3, v29, v30
	v_cmpx_nlt_f32_e32 v29, v30
	s_cbranch_execz .LBB307_16
; %bb.15:                               ;   in Loop: Header=BB307_10 Depth=1
	v_cmp_eq_f32_e64 s0, v29, v30
	s_waitcnt lgkmcnt(0)
	v_cmp_lt_i32_e64 s1, v31, v27
	s_delay_alu instid0(VALU_DEP_1) | instskip(SKIP_2) | instid1(SALU_CYCLE_1)
	s_and_b32 s0, s0, s1
	s_and_not1_b32 s1, s3, exec_lo
	s_and_b32 s0, s0, exec_lo
	s_or_b32 s3, s1, s0
.LBB307_16:                             ;   in Loop: Header=BB307_10 Depth=1
	s_or_b32 exec_lo, exec_lo, s4
	s_delay_alu instid0(VALU_DEP_2)
	s_and_saveexec_b32 s0, s3
	s_cbranch_execz .LBB307_18
; %bb.17:                               ;   in Loop: Header=BB307_10 Depth=1
	s_waitcnt lgkmcnt(1)
	v_dual_mov_b32 v28, v32 :: v_dual_mov_b32 v29, v30
	s_waitcnt lgkmcnt(0)
	v_mov_b32_e32 v27, v31
.LBB307_18:                             ;   in Loop: Header=BB307_10 Depth=1
	s_or_b32 exec_lo, exec_lo, s0
	ds_bpermute_b32 v30, v23, v29
	s_waitcnt lgkmcnt(2)
	ds_bpermute_b32 v32, v23, v28
	s_waitcnt lgkmcnt(2)
	ds_bpermute_b32 v31, v23, v27
	s_mov_b32 s4, exec_lo
	s_waitcnt lgkmcnt(2)
	v_cmp_lt_f32_e64 s3, v29, v30
	v_cmpx_nlt_f32_e32 v29, v30
	s_cbranch_execz .LBB307_20
; %bb.19:                               ;   in Loop: Header=BB307_10 Depth=1
	v_cmp_eq_f32_e64 s0, v29, v30
	s_waitcnt lgkmcnt(0)
	v_cmp_lt_i32_e64 s1, v31, v27
	s_delay_alu instid0(VALU_DEP_1) | instskip(SKIP_2) | instid1(SALU_CYCLE_1)
	s_and_b32 s0, s0, s1
	s_and_not1_b32 s1, s3, exec_lo
	s_and_b32 s0, s0, exec_lo
	s_or_b32 s3, s1, s0
.LBB307_20:                             ;   in Loop: Header=BB307_10 Depth=1
	s_or_b32 exec_lo, exec_lo, s4
	s_delay_alu instid0(VALU_DEP_2)
	s_and_saveexec_b32 s0, s3
	s_cbranch_execz .LBB307_22
; %bb.21:                               ;   in Loop: Header=BB307_10 Depth=1
	s_waitcnt lgkmcnt(1)
	v_dual_mov_b32 v28, v32 :: v_dual_mov_b32 v29, v30
	s_waitcnt lgkmcnt(0)
	v_mov_b32_e32 v27, v31
.LBB307_22:                             ;   in Loop: Header=BB307_10 Depth=1
	s_or_b32 exec_lo, exec_lo, s0
	ds_bpermute_b32 v30, v24, v29
	s_waitcnt lgkmcnt(2)
	ds_bpermute_b32 v32, v24, v28
	s_waitcnt lgkmcnt(2)
	ds_bpermute_b32 v31, v24, v27
	s_mov_b32 s4, exec_lo
	s_waitcnt lgkmcnt(2)
	v_cmp_lt_f32_e64 s3, v29, v30
	v_cmpx_nlt_f32_e32 v29, v30
	s_cbranch_execz .LBB307_24
; %bb.23:                               ;   in Loop: Header=BB307_10 Depth=1
	v_cmp_eq_f32_e64 s0, v29, v30
	s_waitcnt lgkmcnt(0)
	v_cmp_lt_i32_e64 s1, v31, v27
	s_delay_alu instid0(VALU_DEP_1) | instskip(SKIP_2) | instid1(SALU_CYCLE_1)
	s_and_b32 s0, s0, s1
	s_and_not1_b32 s1, s3, exec_lo
	s_and_b32 s0, s0, exec_lo
	s_or_b32 s3, s1, s0
.LBB307_24:                             ;   in Loop: Header=BB307_10 Depth=1
	s_or_b32 exec_lo, exec_lo, s4
	s_delay_alu instid0(VALU_DEP_2)
	s_and_saveexec_b32 s0, s3
	s_cbranch_execz .LBB307_26
; %bb.25:                               ;   in Loop: Header=BB307_10 Depth=1
	s_waitcnt lgkmcnt(1)
	v_dual_mov_b32 v28, v32 :: v_dual_mov_b32 v29, v30
	s_waitcnt lgkmcnt(0)
	v_mov_b32_e32 v27, v31
.LBB307_26:                             ;   in Loop: Header=BB307_10 Depth=1
	s_or_b32 exec_lo, exec_lo, s0
	s_waitcnt lgkmcnt(1)
	ds_bpermute_b32 v32, v25, v29
	ds_bpermute_b32 v30, v25, v28
	s_waitcnt lgkmcnt(2)
	ds_bpermute_b32 v31, v25, v27
	s_mov_b32 s4, exec_lo
	s_waitcnt lgkmcnt(2)
	v_cmp_lt_f32_e64 s3, v29, v32
	v_cmpx_nlt_f32_e32 v29, v32
	s_cbranch_execnz .LBB307_30
; %bb.27:                               ;   in Loop: Header=BB307_10 Depth=1
	s_or_b32 exec_lo, exec_lo, s4
	s_delay_alu instid0(VALU_DEP_2)
	s_and_saveexec_b32 s0, s3
	s_cbranch_execnz .LBB307_31
.LBB307_28:                             ;   in Loop: Header=BB307_10 Depth=1
	s_or_b32 exec_lo, exec_lo, s0
	s_and_saveexec_b32 s3, s2
	s_cbranch_execnz .LBB307_32
.LBB307_29:                             ;   in Loop: Header=BB307_10 Depth=1
	s_or_b32 exec_lo, exec_lo, s3
	s_add_i32 s6, s6, 1
	s_delay_alu instid0(SALU_CYCLE_1)
	s_cmp_ge_i32 s6, s8
	s_cbranch_scc1 .LBB307_9
	s_branch .LBB307_33
.LBB307_30:                             ;   in Loop: Header=BB307_10 Depth=1
	v_cmp_eq_f32_e64 s0, v29, v32
	s_waitcnt lgkmcnt(0)
	v_cmp_lt_i32_e64 s1, v31, v27
	s_delay_alu instid0(VALU_DEP_1) | instskip(SKIP_2) | instid1(SALU_CYCLE_1)
	s_and_b32 s0, s0, s1
	s_and_not1_b32 s1, s3, exec_lo
	s_and_b32 s0, s0, exec_lo
	s_or_b32 s3, s1, s0
	s_or_b32 exec_lo, exec_lo, s4
	s_and_saveexec_b32 s0, s3
	s_cbranch_execz .LBB307_28
.LBB307_31:                             ;   in Loop: Header=BB307_10 Depth=1
	s_waitcnt lgkmcnt(0)
	v_dual_mov_b32 v27, v31 :: v_dual_mov_b32 v28, v30
	s_or_b32 exec_lo, exec_lo, s0
	s_and_saveexec_b32 s3, s2
	s_cbranch_execz .LBB307_29
.LBB307_32:                             ;   in Loop: Header=BB307_10 Depth=1
	s_delay_alu instid0(VALU_DEP_1)
	v_add_f32_e32 v37, v20, v28
	v_add_nc_u32_e32 v29, s6, v19
	v_subrev_nc_u32_e32 v33, s9, v27
	v_cmp_le_i32_e64 s0, s9, v27
	v_cmp_gt_i32_e64 s1, s10, v27
	v_cndmask_b32_e32 v20, v20, v37, vcc_lo
	s_waitcnt lgkmcnt(1)
	v_ashrrev_i32_e32 v30, 31, v29
	v_ashrrev_i32_e32 v34, 31, v33
	s_and_b32 s0, s0, s1
	s_waitcnt lgkmcnt(0)
	s_delay_alu instid0(VALU_DEP_2) | instskip(SKIP_2) | instid1(SALU_CYCLE_1)
	v_lshlrev_b64 v[31:32], 2, v[29:30]
	v_lshlrev_b64 v[29:30], 3, v[29:30]
	s_and_b32 s0, s19, s0
	v_cndmask_b32_e64 v34, 0, v34, s0
	v_cndmask_b32_e64 v33, 0x100, v33, s0
	s_delay_alu instid0(VALU_DEP_4) | instskip(NEXT) | instid1(VALU_DEP_1)
	v_add_co_u32 v35, s0, s16, v31
	v_add_co_ci_u32_e64 v36, s0, s17, v32, s0
	v_add_co_u32 v29, s0, s12, v29
	s_delay_alu instid0(VALU_DEP_1) | instskip(SKIP_1) | instid1(VALU_DEP_1)
	v_add_co_ci_u32_e64 v30, s0, s13, v30, s0
	v_add_co_u32 v31, s0, s14, v31
	v_add_co_ci_u32_e64 v32, s0, s15, v32, s0
	global_store_b32 v[35:36], v28, off
	global_store_b64 v[29:30], v[33:34], off
	global_store_b32 v[31:32], v26, off
	s_or_b32 exec_lo, exec_lo, s3
	s_add_i32 s6, s6, 1
	s_delay_alu instid0(SALU_CYCLE_1)
	s_cmp_ge_i32 s6, s8
	s_cbranch_scc1 .LBB307_9
.LBB307_33:                             ;   in Loop: Header=BB307_10 Depth=1
	v_ashrrev_i32_e32 v28, 31, v27
	s_mov_b32 s1, exec_lo
	s_delay_alu instid0(VALU_DEP_1) | instskip(NEXT) | instid1(VALU_DEP_1)
	v_lshrrev_b32_e32 v29, 29, v28
	v_add_nc_u32_e32 v29, v27, v29
	s_waitcnt lgkmcnt(1)
	s_delay_alu instid0(VALU_DEP_1) | instskip(SKIP_1) | instid1(VALU_DEP_2)
	v_ashrrev_i32_e32 v30, 31, v29
	v_ashrrev_i32_e32 v29, 3, v29
	v_lshrrev_b32_e32 v30, 27, v30
	s_delay_alu instid0(VALU_DEP_1) | instskip(NEXT) | instid1(VALU_DEP_1)
	v_add_nc_u32_e32 v30, v29, v30
	v_and_b32_e32 v30, 0xffffffe0, v30
	s_delay_alu instid0(VALU_DEP_1) | instskip(NEXT) | instid1(VALU_DEP_1)
	v_sub_nc_u32_e32 v30, v29, v30
	v_cmpx_eq_u32_e64 v17, v30
	s_cbranch_execz .LBB307_8
; %bb.34:                               ;   in Loop: Header=BB307_10 Depth=1
	v_lshrrev_b32_e32 v28, 24, v28
	v_lshlrev_b32_e32 v29, 3, v29
	s_delay_alu instid0(VALU_DEP_2) | instskip(NEXT) | instid1(VALU_DEP_2)
	v_add_nc_u32_e32 v28, v27, v28
	v_sub_nc_u32_e32 v27, v27, v29
	s_delay_alu instid0(VALU_DEP_2) | instskip(NEXT) | instid1(VALU_DEP_1)
	v_ashrrev_i32_e32 v28, 8, v28
	v_lshl_add_u32 v27, v28, 3, v27
	s_delay_alu instid0(VALU_DEP_1) | instskip(NEXT) | instid1(VALU_DEP_1)
	v_cmp_ne_u32_e64 s0, 7, v27
	v_cndmask_b32_e64 v15, 0xc61c4000, v15, s0
	v_cmp_ne_u32_e64 s0, 6, v27
	s_delay_alu instid0(VALU_DEP_1) | instskip(SKIP_1) | instid1(VALU_DEP_1)
	v_cndmask_b32_e64 v14, 0xc61c4000, v14, s0
	v_cmp_ne_u32_e64 s0, 5, v27
	v_cndmask_b32_e64 v13, 0xc61c4000, v13, s0
	v_cmp_ne_u32_e64 s0, 4, v27
	s_delay_alu instid0(VALU_DEP_1) | instskip(SKIP_1) | instid1(VALU_DEP_1)
	v_cndmask_b32_e64 v12, 0xc61c4000, v12, s0
	;; [unrolled: 5-line block ×3, first 2 shown]
	v_cmp_ne_u32_e64 s0, 1, v27
	v_cndmask_b32_e64 v9, 0xc61c4000, v9, s0
	v_cmp_ne_u32_e64 s0, 0, v27
	s_delay_alu instid0(VALU_DEP_1)
	v_cndmask_b32_e64 v8, 0xc61c4000, v8, s0
	s_branch .LBB307_8
.LBB307_35:
                                        ; implicit-def: $vgpr8_vgpr9_vgpr10_vgpr11_vgpr12_vgpr13_vgpr14_vgpr15
	s_and_not1_b32 vcc_lo, exec_lo, s9
	s_cbranch_vccz .LBB307_5
	s_branch .LBB307_6
.LBB307_36:
	v_mov_b32_e32 v20, 0
.LBB307_37:
	v_cmp_eq_u32_e64 s0, 0, v17
	s_delay_alu instid0(VALU_DEP_1) | instskip(NEXT) | instid1(SALU_CYCLE_1)
	s_and_b32 s0, s0, vcc_lo
	s_and_b32 exec_lo, exec_lo, s0
	s_cbranch_execz .LBB307_41
; %bb.38:
	s_and_not1_b32 vcc_lo, exec_lo, s5
	s_cbranch_vccnz .LBB307_41
; %bb.39:
	v_mul_lo_u32 v0, v16, s8
	v_cmp_lt_f32_e32 vcc_lo, 0, v20
	v_cndmask_b32_e32 v2, 1.0, v20, vcc_lo
	s_delay_alu instid0(VALU_DEP_3) | instskip(NEXT) | instid1(VALU_DEP_1)
	v_ashrrev_i32_e32 v1, 31, v0
	v_lshlrev_b64 v[0:1], 2, v[0:1]
	s_delay_alu instid0(VALU_DEP_1) | instskip(NEXT) | instid1(VALU_DEP_2)
	v_add_co_u32 v0, vcc_lo, s16, v0
	v_add_co_ci_u32_e32 v1, vcc_lo, s17, v1, vcc_lo
	.p2align	6
.LBB307_40:                             ; =>This Inner Loop Header: Depth=1
	global_load_b32 v3, v[0:1], off
	s_add_i32 s8, s8, -1
	s_delay_alu instid0(SALU_CYCLE_1) | instskip(SKIP_3) | instid1(VALU_DEP_2)
	s_cmp_lg_u32 s8, 0
	s_waitcnt vmcnt(0)
	v_div_scale_f32 v4, null, v2, v2, v3
	v_div_scale_f32 v7, vcc_lo, v3, v2, v3
	v_rcp_f32_e32 v5, v4
	s_waitcnt_depctr 0xfff
	v_fma_f32 v6, -v4, v5, 1.0
	s_delay_alu instid0(VALU_DEP_1) | instskip(NEXT) | instid1(VALU_DEP_1)
	v_fmac_f32_e32 v5, v6, v5
	v_mul_f32_e32 v6, v7, v5
	s_delay_alu instid0(VALU_DEP_1) | instskip(NEXT) | instid1(VALU_DEP_1)
	v_fma_f32 v8, -v4, v6, v7
	v_fmac_f32_e32 v6, v8, v5
	s_delay_alu instid0(VALU_DEP_1) | instskip(NEXT) | instid1(VALU_DEP_1)
	v_fma_f32 v4, -v4, v6, v7
	v_div_fmas_f32 v4, v4, v5, v6
	s_delay_alu instid0(VALU_DEP_1)
	v_div_fixup_f32 v3, v4, v2, v3
	global_store_b32 v[0:1], v3, off
	v_add_co_u32 v0, vcc_lo, v0, 4
	v_add_co_ci_u32_e32 v1, vcc_lo, 0, v1, vcc_lo
	s_cbranch_scc1 .LBB307_40
.LBB307_41:
	s_nop 0
	s_sendmsg sendmsg(MSG_DEALLOC_VGPRS)
	s_endpgm
	.section	.rodata,"a",@progbits
	.p2align	6, 0x0
	.amdhsa_kernel _ZN4vllm3moe10topkGatingILi8ELi256ELi4ELi16ELi32El6__halfLNS0_11ScoringFuncE1EEEvPKT5_PKbPfiPT4_PiiiibPKf
		.amdhsa_group_segment_fixed_size 0
		.amdhsa_private_segment_fixed_size 0
		.amdhsa_kernarg_size 72
		.amdhsa_user_sgpr_count 15
		.amdhsa_user_sgpr_dispatch_ptr 0
		.amdhsa_user_sgpr_queue_ptr 0
		.amdhsa_user_sgpr_kernarg_segment_ptr 1
		.amdhsa_user_sgpr_dispatch_id 0
		.amdhsa_user_sgpr_private_segment_size 0
		.amdhsa_wavefront_size32 1
		.amdhsa_uses_dynamic_stack 0
		.amdhsa_enable_private_segment 0
		.amdhsa_system_sgpr_workgroup_id_x 1
		.amdhsa_system_sgpr_workgroup_id_y 0
		.amdhsa_system_sgpr_workgroup_id_z 0
		.amdhsa_system_sgpr_workgroup_info 0
		.amdhsa_system_vgpr_workitem_id 1
		.amdhsa_next_free_vgpr 47
		.amdhsa_next_free_sgpr 20
		.amdhsa_reserve_vcc 1
		.amdhsa_float_round_mode_32 0
		.amdhsa_float_round_mode_16_64 0
		.amdhsa_float_denorm_mode_32 3
		.amdhsa_float_denorm_mode_16_64 3
		.amdhsa_dx10_clamp 1
		.amdhsa_ieee_mode 1
		.amdhsa_fp16_overflow 0
		.amdhsa_workgroup_processor_mode 1
		.amdhsa_memory_ordered 1
		.amdhsa_forward_progress 0
		.amdhsa_shared_vgpr_count 0
		.amdhsa_exception_fp_ieee_invalid_op 0
		.amdhsa_exception_fp_denorm_src 0
		.amdhsa_exception_fp_ieee_div_zero 0
		.amdhsa_exception_fp_ieee_overflow 0
		.amdhsa_exception_fp_ieee_underflow 0
		.amdhsa_exception_fp_ieee_inexact 0
		.amdhsa_exception_int_div_zero 0
	.end_amdhsa_kernel
	.section	.text._ZN4vllm3moe10topkGatingILi8ELi256ELi4ELi16ELi32El6__halfLNS0_11ScoringFuncE1EEEvPKT5_PKbPfiPT4_PiiiibPKf,"axG",@progbits,_ZN4vllm3moe10topkGatingILi8ELi256ELi4ELi16ELi32El6__halfLNS0_11ScoringFuncE1EEEvPKT5_PKbPfiPT4_PiiiibPKf,comdat
.Lfunc_end307:
	.size	_ZN4vllm3moe10topkGatingILi8ELi256ELi4ELi16ELi32El6__halfLNS0_11ScoringFuncE1EEEvPKT5_PKbPfiPT4_PiiiibPKf, .Lfunc_end307-_ZN4vllm3moe10topkGatingILi8ELi256ELi4ELi16ELi32El6__halfLNS0_11ScoringFuncE1EEEvPKT5_PKbPfiPT4_PiiiibPKf
                                        ; -- End function
	.section	.AMDGPU.csdata,"",@progbits
; Kernel info:
; codeLenInByte = 3272
; NumSgprs: 22
; NumVgprs: 47
; ScratchSize: 0
; MemoryBound: 0
; FloatMode: 240
; IeeeMode: 1
; LDSByteSize: 0 bytes/workgroup (compile time only)
; SGPRBlocks: 2
; VGPRBlocks: 5
; NumSGPRsForWavesPerEU: 22
; NumVGPRsForWavesPerEU: 47
; Occupancy: 16
; WaveLimiterHint : 0
; COMPUTE_PGM_RSRC2:SCRATCH_EN: 0
; COMPUTE_PGM_RSRC2:USER_SGPR: 15
; COMPUTE_PGM_RSRC2:TRAP_HANDLER: 0
; COMPUTE_PGM_RSRC2:TGID_X_EN: 1
; COMPUTE_PGM_RSRC2:TGID_Y_EN: 0
; COMPUTE_PGM_RSRC2:TGID_Z_EN: 0
; COMPUTE_PGM_RSRC2:TIDIG_COMP_CNT: 1
	.section	.text._ZN4vllm3moe10topkGatingILi8ELi512ELi4ELi16ELi64El6__halfLNS0_11ScoringFuncE1EEEvPKT5_PKbPfiPT4_PiiiibPKf,"axG",@progbits,_ZN4vllm3moe10topkGatingILi8ELi512ELi4ELi16ELi64El6__halfLNS0_11ScoringFuncE1EEEvPKT5_PKbPfiPT4_PiiiibPKf,comdat
	.protected	_ZN4vllm3moe10topkGatingILi8ELi512ELi4ELi16ELi64El6__halfLNS0_11ScoringFuncE1EEEvPKT5_PKbPfiPT4_PiiiibPKf ; -- Begin function _ZN4vllm3moe10topkGatingILi8ELi512ELi4ELi16ELi64El6__halfLNS0_11ScoringFuncE1EEEvPKT5_PKbPfiPT4_PiiiibPKf
	.globl	_ZN4vllm3moe10topkGatingILi8ELi512ELi4ELi16ELi64El6__halfLNS0_11ScoringFuncE1EEEvPKT5_PKbPfiPT4_PiiiibPKf
	.p2align	8
	.type	_ZN4vllm3moe10topkGatingILi8ELi512ELi4ELi16ELi64El6__halfLNS0_11ScoringFuncE1EEEvPKT5_PKbPfiPT4_PiiiibPKf,@function
_ZN4vllm3moe10topkGatingILi8ELi512ELi4ELi16ELi64El6__halfLNS0_11ScoringFuncE1EEEvPKT5_PKbPfiPT4_PiiiibPKf: ; @_ZN4vllm3moe10topkGatingILi8ELi512ELi4ELi16ELi64El6__halfLNS0_11ScoringFuncE1EEEvPKT5_PKbPfiPT4_PiiiibPKf
; %bb.0:
	s_load_b32 s18, s[0:1], 0x18
	v_and_b32_e32 v1, 0x3ff, v0
	v_bfe_u32 v0, v0, 10, 10
	s_lshl_b32 s2, s15, 2
	s_delay_alu instid0(VALU_DEP_2) | instskip(NEXT) | instid1(VALU_DEP_1)
	v_lshrrev_b32_e32 v2, 6, v1
	v_add3_u32 v16, s2, v0, v2
	s_mov_b32 s2, exec_lo
	s_waitcnt lgkmcnt(0)
	s_delay_alu instid0(VALU_DEP_1)
	v_cmpx_gt_i32_e64 s18, v16
	s_cbranch_execz .LBB308_45
; %bb.1:
	s_clause 0x1
	s_load_b128 s[4:7], s[0:1], 0x0
	s_load_b64 s[16:17], s[0:1], 0x10
	s_mov_b32 s9, -1
	s_mov_b32 s19, -1
	s_waitcnt lgkmcnt(0)
	s_cmp_eq_u64 s[6:7], 0
	s_cbranch_scc1 .LBB308_3
; %bb.2:
	v_ashrrev_i32_e32 v0, 31, v16
	v_add_co_u32 v2, vcc_lo, s6, v16
	s_delay_alu instid0(VALU_DEP_2) | instskip(SKIP_3) | instid1(VALU_DEP_1)
	v_add_co_ci_u32_e32 v3, vcc_lo, s7, v0, vcc_lo
	global_load_u8 v0, v[2:3], off
	s_waitcnt vmcnt(0)
	v_and_b32_e32 v0, 1, v0
	v_cmp_eq_u32_e32 vcc_lo, 1, v0
	s_xor_b32 s2, vcc_lo, -1
	s_delay_alu instid0(SALU_CYCLE_1)
	s_or_not1_b32 s19, s2, exec_lo
.LBB308_3:
	v_lshlrev_b32_e32 v2, 9, v16
	v_and_b32_e32 v17, 63, v1
	s_load_b64 s[10:11], s[0:1], 0x40
	s_delay_alu instid0(VALU_DEP_2) | instskip(NEXT) | instid1(VALU_DEP_1)
	v_ashrrev_i32_e32 v3, 31, v2
	v_lshlrev_b64 v[0:1], 1, v[2:3]
	s_delay_alu instid0(VALU_DEP_3) | instskip(NEXT) | instid1(VALU_DEP_2)
	v_lshlrev_b32_e32 v2, 4, v17
	v_add_co_u32 v0, vcc_lo, s4, v0
	s_delay_alu instid0(VALU_DEP_3) | instskip(NEXT) | instid1(VALU_DEP_2)
	v_add_co_ci_u32_e32 v1, vcc_lo, s5, v1, vcc_lo
	v_add_co_u32 v0, vcc_lo, v0, v2
	s_delay_alu instid0(VALU_DEP_2)
	v_add_co_ci_u32_e32 v1, vcc_lo, 0, v1, vcc_lo
	s_waitcnt lgkmcnt(0)
	s_cmp_eq_u64 s[10:11], 0
	global_load_b128 v[0:3], v[0:1], off
	s_waitcnt vmcnt(0)
	v_cvt_f32_f16_e32 v4, v0
	v_cvt_f32_f16_e32 v5, v1
	v_lshrrev_b32_e32 v1, 16, v1
	v_lshrrev_b32_e32 v0, 16, v0
	v_cvt_f32_f16_e32 v6, v2
	v_cvt_f32_f16_e32 v7, v3
	v_lshrrev_b32_e32 v3, 16, v3
	v_cvt_f32_f16_e32 v1, v1
	v_mul_f32_e32 v4, 0xbfb8aa3b, v4
	v_cvt_f32_f16_e32 v0, v0
	v_mul_f32_e32 v7, 0xbfb8aa3b, v7
	v_cvt_f32_f16_e32 v3, v3
	v_dual_mul_f32 v6, 0xbfb8aa3b, v6 :: v_dual_mul_f32 v1, 0xbfb8aa3b, v1
	v_exp_f32_e32 v4, v4
	s_delay_alu instid0(VALU_DEP_2) | instskip(NEXT) | instid1(VALU_DEP_2)
	v_dual_mul_f32 v0, 0xbfb8aa3b, v0 :: v_dual_mul_f32 v3, 0xbfb8aa3b, v3
	v_exp_f32_e32 v6, v6
	s_delay_alu instid0(VALU_DEP_2)
	v_exp_f32_e32 v1, v1
	v_lshrrev_b32_e32 v2, 16, v2
	v_mul_f32_e32 v5, 0xbfb8aa3b, v5
	v_exp_f32_e32 v3, v3
	v_exp_f32_e32 v7, v7
	;; [unrolled: 1-line block ×3, first 2 shown]
	v_add_f32_e32 v4, 1.0, v4
	v_cvt_f32_f16_e32 v2, v2
	v_exp_f32_e32 v5, v5
	v_dual_add_f32 v6, 1.0, v6 :: v_dual_add_f32 v1, 1.0, v1
	s_delay_alu instid0(VALU_DEP_3) | instskip(NEXT) | instid1(VALU_DEP_3)
	v_div_scale_f32 v8, null, v4, v4, 1.0
	v_dual_add_f32 v19, 1.0, v3 :: v_dual_mul_f32 v2, 0xbfb8aa3b, v2
	s_delay_alu instid0(VALU_DEP_3) | instskip(NEXT) | instid1(VALU_DEP_3)
	v_div_scale_f32 v12, null, v6, v6, 1.0
	v_rcp_f32_e32 v3, v8
	s_waitcnt_depctr 0xfff
	v_add_f32_e32 v5, 1.0, v5
	v_exp_f32_e32 v2, v2
	v_rcp_f32_e32 v25, v12
	v_dual_add_f32 v7, 1.0, v7 :: v_dual_lshlrev_b32 v18, 3, v17
	s_delay_alu instid0(VALU_DEP_2) | instskip(SKIP_3) | instid1(VALU_DEP_4)
	v_div_scale_f32 v10, null, v5, v5, 1.0
	v_div_scale_f32 v29, null, v19, v19, 1.0
	v_fma_f32 v34, -v8, v3, 1.0
	v_add_f32_e32 v0, 1.0, v0
	v_rcp_f32_e32 v22, v10
	s_delay_alu instid0(TRANS32_DEP_2) | instskip(NEXT) | instid1(TRANS32_DEP_3)
	v_fma_f32 v37, -v12, v25, 1.0
	v_add_f32_e32 v14, 1.0, v2
	v_div_scale_f32 v2, null, v7, v7, 1.0
	v_fmac_f32_e32 v3, v34, v3
	s_delay_alu instid0(VALU_DEP_4) | instskip(SKIP_3) | instid1(VALU_DEP_2)
	v_fmac_f32_e32 v25, v37, v25
	v_div_scale_f32 v20, null, v0, v0, 1.0
	v_div_scale_f32 v26, null, v14, v14, 1.0
	v_rcp_f32_e32 v28, v2
	v_rcp_f32_e32 v30, v20
	v_div_scale_f32 v23, null, v1, v1, 1.0
	s_delay_alu instid0(VALU_DEP_2) | instskip(SKIP_2) | instid1(VALU_DEP_2)
	v_rcp_f32_e32 v33, v26
	v_rcp_f32_e32 v35, v29
	v_div_scale_f32 v9, vcc_lo, 1.0, v4, 1.0
	v_rcp_f32_e32 v32, v23
	v_fma_f32 v36, -v10, v22, 1.0
	v_fma_f32 v38, -v2, v28, 1.0
	;; [unrolled: 1-line block ×3, first 2 shown]
	v_div_scale_f32 v11, s2, 1.0, v5, 1.0
	v_div_scale_f32 v15, s4, 1.0, v7, 1.0
	;; [unrolled: 1-line block ×3, first 2 shown]
	v_dual_fmac_f32 v22, v36, v22 :: v_dual_mul_f32 v39, v9, v3
	v_fma_f32 v37, -v26, v33, 1.0
	v_fmac_f32_e32 v28, v38, v28
	v_fma_f32 v38, -v29, v35, 1.0
	v_fmac_f32_e32 v30, v34, v30
	v_fma_f32 v36, -v23, v32, 1.0
	v_dual_mul_f32 v34, v11, v22 :: v_dual_fmac_f32 v33, v37, v33
	s_delay_alu instid0(VALU_DEP_4)
	v_fmac_f32_e32 v35, v38, v35
	v_mul_f32_e32 v37, v15, v28
	v_fma_f32 v38, -v8, v39, v9
	v_mul_f32_e32 v40, v21, v30
	v_fmac_f32_e32 v32, v36, v32
	v_div_scale_f32 v24, s6, 1.0, v1, 1.0
	s_delay_alu instid0(VALU_DEP_4) | instskip(NEXT) | instid1(VALU_DEP_4)
	v_fmac_f32_e32 v39, v38, v3
	v_fma_f32 v38, -v20, v40, v21
	v_div_scale_f32 v13, s3, 1.0, v6, 1.0
	v_fma_f32 v41, -v10, v34, v11
	s_delay_alu instid0(VALU_DEP_4) | instskip(NEXT) | instid1(VALU_DEP_4)
	v_fma_f32 v8, -v8, v39, v9
	v_fmac_f32_e32 v40, v38, v30
	v_mul_f32_e32 v42, v24, v32
	v_div_scale_f32 v27, s7, 1.0, v14, 1.0
	s_delay_alu instid0(VALU_DEP_4) | instskip(NEXT) | instid1(VALU_DEP_4)
	v_div_fmas_f32 v3, v8, v3, v39
	v_fma_f32 v8, -v20, v40, v21
	s_mov_b32 vcc_lo, s5
	v_fmac_f32_e32 v34, v41, v22
	v_fma_f32 v41, -v23, v42, v24
	v_div_fixup_f32 v3, v3, v4, 1.0
	v_div_fmas_f32 v4, v8, v30, v40
	v_fma_f32 v45, -v2, v37, v15
	v_mul_f32_e32 v44, v27, v33
	v_fmac_f32_e32 v42, v41, v32
	v_div_scale_f32 v31, s8, 1.0, v19, 1.0
	s_delay_alu instid0(VALU_DEP_4)
	v_fmac_f32_e32 v37, v45, v28
	v_div_fixup_f32 v4, v4, v0, 1.0
	v_mul_f32_e32 v36, v13, v25
	v_fma_f32 v9, -v10, v34, v11
	v_fma_f32 v11, -v23, v42, v24
	s_mov_b32 vcc_lo, s2
	v_mul_f32_e32 v46, v31, v35
	v_fma_f32 v43, -v12, v36, v13
	v_div_fmas_f32 v8, v9, v22, v34
	s_mov_b32 vcc_lo, s6
	v_fma_f32 v2, -v2, v37, v15
	v_div_fmas_f32 v9, v11, v32, v42
	v_fmac_f32_e32 v36, v43, v25
	v_fma_f32 v43, -v26, v44, v27
	v_cmp_class_f32_e64 vcc_lo, v3, 0x1f8
	v_fma_f32 v45, -v29, v46, v31
	v_div_fixup_f32 v5, v8, v5, 1.0
	v_fma_f32 v10, -v12, v36, v13
	v_fmac_f32_e32 v44, v43, v33
	v_cndmask_b32_e32 v0, 0, v3, vcc_lo
	s_mov_b32 vcc_lo, s3
	v_fmac_f32_e32 v46, v45, v35
	v_div_fmas_f32 v3, v10, v25, v36
	v_fma_f32 v12, -v26, v44, v27
	s_mov_b32 vcc_lo, s7
	v_div_fixup_f32 v9, v9, v1, 1.0
	v_fma_f32 v13, -v29, v46, v31
	s_delay_alu instid0(VALU_DEP_3) | instskip(SKIP_3) | instid1(VALU_DEP_2)
	v_div_fmas_f32 v8, v12, v33, v44
	s_mov_b32 vcc_lo, s4
	v_div_fmas_f32 v10, v2, v28, v37
	v_cmp_class_f32_e64 vcc_lo, v4, 0x1f8
	v_div_fixup_f32 v7, v10, v7, 1.0
	v_cndmask_b32_e32 v1, 0, v4, vcc_lo
	s_mov_b32 vcc_lo, s8
	v_div_fixup_f32 v4, v3, v6, 1.0
	v_div_fmas_f32 v6, v13, v35, v46
	v_cmp_class_f32_e64 vcc_lo, v5, 0x1f8
	v_cndmask_b32_e32 v2, 0, v5, vcc_lo
	v_cmp_class_f32_e64 vcc_lo, v9, 0x1f8
	v_div_fixup_f32 v5, v8, v14, 1.0
	v_div_fixup_f32 v8, v6, v19, 1.0
	v_cndmask_b32_e32 v3, 0, v9, vcc_lo
	v_cmp_class_f32_e64 vcc_lo, v4, 0x1f8
	v_cndmask_b32_e32 v4, 0, v4, vcc_lo
	v_cmp_class_f32_e64 vcc_lo, v5, 0x1f8
	;; [unrolled: 2-line block ×4, first 2 shown]
	v_cndmask_b32_e32 v7, 0, v8, vcc_lo
	s_cbranch_scc1 .LBB308_39
; %bb.4:
	v_lshlrev_b32_e32 v12, 2, v18
	s_clause 0x1
	global_load_b128 v[8:11], v12, s[10:11]
	global_load_b128 v[12:15], v12, s[10:11] offset:16
	s_waitcnt vmcnt(1)
	v_dual_add_f32 v9, v9, v1 :: v_dual_add_f32 v8, v8, v0
	v_dual_add_f32 v11, v11, v3 :: v_dual_add_f32 v10, v10, v2
	s_waitcnt vmcnt(0)
	v_dual_add_f32 v13, v13, v5 :: v_dual_add_f32 v12, v12, v4
	v_dual_add_f32 v15, v15, v7 :: v_dual_add_f32 v14, v14, v6
	s_cbranch_execnz .LBB308_6
.LBB308_5:
	v_dual_mov_b32 v15, v7 :: v_dual_mov_b32 v14, v6
	v_dual_mov_b32 v13, v5 :: v_dual_mov_b32 v12, v4
	;; [unrolled: 1-line block ×4, first 2 shown]
.LBB308_6:
	s_load_b128 s[8:11], s[0:1], 0x30
	v_cmp_eq_u32_e64 s2, 0, v17
	s_mov_b32 s6, 0
	s_waitcnt lgkmcnt(0)
	s_bitcmp1_b32 s11, 0
	s_cselect_b32 vcc_lo, -1, 0
	s_cmp_gt_i32 s8, 0
	s_cselect_b32 s5, -1, 0
	s_cmp_lt_i32 s8, 1
	s_cbranch_scc1 .LBB308_40
; %bb.7:
	v_mbcnt_lo_u32_b32 v20, -1, 0
	s_load_b128 s[12:15], s[0:1], 0x20
	v_mul_lo_u32 v19, v16, s8
	v_mov_b32_e32 v27, v16
	s_delay_alu instid0(VALU_DEP_3)
	v_or_b32_e32 v21, 32, v20
	v_xor_b32_e32 v22, 16, v20
	v_xor_b32_e32 v23, 8, v20
	;; [unrolled: 1-line block ×4, first 2 shown]
	v_cmp_gt_i32_e64 s0, 64, v21
	v_xor_b32_e32 v26, 1, v20
	s_delay_alu instid0(VALU_DEP_2) | instskip(SKIP_1) | instid1(VALU_DEP_2)
	v_cndmask_b32_e64 v21, v20, v21, s0
	v_cmp_gt_i32_e64 s0, 64, v22
	v_lshlrev_b32_e32 v21, 2, v21
	s_delay_alu instid0(VALU_DEP_2) | instskip(SKIP_1) | instid1(VALU_DEP_2)
	v_cndmask_b32_e64 v22, v20, v22, s0
	v_cmp_gt_i32_e64 s0, 64, v23
	v_lshlrev_b32_e32 v22, 2, v22
	s_delay_alu instid0(VALU_DEP_2) | instskip(SKIP_1) | instid1(VALU_DEP_2)
	v_cndmask_b32_e64 v23, v20, v23, s0
	v_cmp_gt_i32_e64 s0, 64, v24
	v_lshlrev_b32_e32 v23, 2, v23
	s_delay_alu instid0(VALU_DEP_2) | instskip(SKIP_1) | instid1(VALU_DEP_2)
	v_cndmask_b32_e64 v24, v20, v24, s0
	v_cmp_gt_i32_e64 s0, 64, v25
	v_lshlrev_b32_e32 v24, 2, v24
	s_delay_alu instid0(VALU_DEP_2) | instskip(SKIP_1) | instid1(VALU_DEP_2)
	v_cndmask_b32_e64 v25, v20, v25, s0
	v_cmp_gt_i32_e64 s0, 64, v26
	v_lshlrev_b32_e32 v25, 2, v25
	s_delay_alu instid0(VALU_DEP_2) | instskip(NEXT) | instid1(VALU_DEP_1)
	v_cndmask_b32_e64 v20, v20, v26, s0
	v_lshlrev_b32_e32 v26, 2, v20
	v_mov_b32_e32 v20, 0
	s_branch .LBB308_10
.LBB308_8:                              ;   in Loop: Header=BB308_10 Depth=1
	s_or_b32 exec_lo, exec_lo, s1
.LBB308_9:                              ;   in Loop: Header=BB308_10 Depth=1
	v_add_nc_u32_e32 v27, s18, v27
	s_cmp_eq_u32 s8, s6
	s_cbranch_scc1 .LBB308_41
.LBB308_10:                             ; =>This Inner Loop Header: Depth=1
	v_cmp_gt_f32_e64 s0, v9, v8
	s_delay_alu instid0(VALU_DEP_1) | instskip(SKIP_2) | instid1(VALU_DEP_3)
	v_cndmask_b32_e64 v29, v8, v9, s0
	v_cndmask_b32_e64 v28, 0, 1, s0
	v_cndmask_b32_e64 v30, v0, v1, s0
	v_cmp_gt_f32_e64 s1, v10, v29
	s_delay_alu instid0(VALU_DEP_1) | instskip(NEXT) | instid1(VALU_DEP_4)
	v_cndmask_b32_e64 v29, v29, v10, s1
	v_cndmask_b32_e64 v28, v28, 2, s1
	s_delay_alu instid0(VALU_DEP_4) | instskip(NEXT) | instid1(VALU_DEP_3)
	v_cndmask_b32_e64 v30, v30, v2, s1
	v_cmp_gt_f32_e64 s3, v11, v29
	s_delay_alu instid0(VALU_DEP_1) | instskip(NEXT) | instid1(VALU_DEP_4)
	v_cndmask_b32_e64 v29, v29, v11, s3
	v_cndmask_b32_e64 v28, v28, 3, s3
	s_delay_alu instid0(VALU_DEP_4) | instskip(NEXT) | instid1(VALU_DEP_3)
	v_cndmask_b32_e64 v30, v30, v3, s3
	v_cmp_gt_f32_e64 s4, v12, v29
	s_delay_alu instid0(VALU_DEP_1) | instskip(NEXT) | instid1(VALU_DEP_4)
	v_cndmask_b32_e64 v29, v29, v12, s4
	v_cndmask_b32_e64 v28, v28, 4, s4
	s_delay_alu instid0(VALU_DEP_4) | instskip(SKIP_1) | instid1(VALU_DEP_3)
	v_cndmask_b32_e64 v30, v30, v4, s4
	s_mov_b32 s4, exec_lo
	v_cmp_gt_f32_e64 s0, v13, v29
	s_delay_alu instid0(VALU_DEP_1) | instskip(SKIP_2) | instid1(VALU_DEP_3)
	v_cndmask_b32_e64 v29, v29, v13, s0
	v_cndmask_b32_e64 v28, v28, 5, s0
	;; [unrolled: 1-line block ×3, first 2 shown]
	v_cmp_gt_f32_e64 s1, v14, v29
	s_delay_alu instid0(VALU_DEP_1) | instskip(NEXT) | instid1(VALU_DEP_4)
	v_cndmask_b32_e64 v29, v29, v14, s1
	v_cndmask_b32_e64 v28, v28, 6, s1
	s_waitcnt lgkmcnt(0)
	v_cndmask_b32_e64 v31, v30, v6, s1
	s_delay_alu instid0(VALU_DEP_3) | instskip(NEXT) | instid1(VALU_DEP_1)
	v_cmp_gt_f32_e64 s0, v15, v29
	v_cndmask_b32_e64 v28, v28, 7, s0
	v_cndmask_b32_e64 v30, v29, v15, s0
	s_delay_alu instid0(VALU_DEP_4) | instskip(NEXT) | instid1(VALU_DEP_3)
	v_cndmask_b32_e64 v29, v31, v7, s0
	v_or_b32_e32 v28, v18, v28
	ds_bpermute_b32 v31, v21, v30
	ds_bpermute_b32 v33, v21, v29
	;; [unrolled: 1-line block ×3, first 2 shown]
	s_waitcnt lgkmcnt(0)
	v_cmp_lt_f32_e64 s3, v30, v31
	v_cmpx_nlt_f32_e32 v30, v31
; %bb.11:                               ;   in Loop: Header=BB308_10 Depth=1
	v_cmp_eq_f32_e64 s0, v30, v31
	v_cmp_lt_i32_e64 s1, v32, v28
	s_delay_alu instid0(VALU_DEP_1) | instskip(SKIP_2) | instid1(SALU_CYCLE_1)
	s_and_b32 s0, s0, s1
	s_and_not1_b32 s1, s3, exec_lo
	s_and_b32 s0, s0, exec_lo
	s_or_b32 s3, s1, s0
; %bb.12:                               ;   in Loop: Header=BB308_10 Depth=1
	s_or_b32 exec_lo, exec_lo, s4
	s_and_saveexec_b32 s0, s3
; %bb.13:                               ;   in Loop: Header=BB308_10 Depth=1
	v_dual_mov_b32 v29, v33 :: v_dual_mov_b32 v30, v31
	v_mov_b32_e32 v28, v32
; %bb.14:                               ;   in Loop: Header=BB308_10 Depth=1
	s_or_b32 exec_lo, exec_lo, s0
	ds_bpermute_b32 v31, v22, v30
	ds_bpermute_b32 v33, v22, v29
	;; [unrolled: 1-line block ×3, first 2 shown]
	s_mov_b32 s4, exec_lo
	s_waitcnt lgkmcnt(2)
	v_cmp_lt_f32_e64 s3, v30, v31
	v_cmpx_nlt_f32_e32 v30, v31
	s_cbranch_execz .LBB308_16
; %bb.15:                               ;   in Loop: Header=BB308_10 Depth=1
	v_cmp_eq_f32_e64 s0, v30, v31
	s_waitcnt lgkmcnt(0)
	v_cmp_lt_i32_e64 s1, v32, v28
	s_delay_alu instid0(VALU_DEP_1) | instskip(SKIP_2) | instid1(SALU_CYCLE_1)
	s_and_b32 s0, s0, s1
	s_and_not1_b32 s1, s3, exec_lo
	s_and_b32 s0, s0, exec_lo
	s_or_b32 s3, s1, s0
.LBB308_16:                             ;   in Loop: Header=BB308_10 Depth=1
	s_or_b32 exec_lo, exec_lo, s4
	s_delay_alu instid0(VALU_DEP_2)
	s_and_saveexec_b32 s0, s3
	s_cbranch_execz .LBB308_18
; %bb.17:                               ;   in Loop: Header=BB308_10 Depth=1
	s_waitcnt lgkmcnt(1)
	v_dual_mov_b32 v29, v33 :: v_dual_mov_b32 v30, v31
	s_waitcnt lgkmcnt(0)
	v_mov_b32_e32 v28, v32
.LBB308_18:                             ;   in Loop: Header=BB308_10 Depth=1
	s_or_b32 exec_lo, exec_lo, s0
	ds_bpermute_b32 v31, v23, v30
	s_waitcnt lgkmcnt(2)
	ds_bpermute_b32 v33, v23, v29
	s_waitcnt lgkmcnt(2)
	ds_bpermute_b32 v32, v23, v28
	s_mov_b32 s4, exec_lo
	s_waitcnt lgkmcnt(2)
	v_cmp_lt_f32_e64 s3, v30, v31
	v_cmpx_nlt_f32_e32 v30, v31
	s_cbranch_execz .LBB308_20
; %bb.19:                               ;   in Loop: Header=BB308_10 Depth=1
	v_cmp_eq_f32_e64 s0, v30, v31
	s_waitcnt lgkmcnt(0)
	v_cmp_lt_i32_e64 s1, v32, v28
	s_delay_alu instid0(VALU_DEP_1) | instskip(SKIP_2) | instid1(SALU_CYCLE_1)
	s_and_b32 s0, s0, s1
	s_and_not1_b32 s1, s3, exec_lo
	s_and_b32 s0, s0, exec_lo
	s_or_b32 s3, s1, s0
.LBB308_20:                             ;   in Loop: Header=BB308_10 Depth=1
	s_or_b32 exec_lo, exec_lo, s4
	s_delay_alu instid0(VALU_DEP_2)
	s_and_saveexec_b32 s0, s3
	s_cbranch_execz .LBB308_22
; %bb.21:                               ;   in Loop: Header=BB308_10 Depth=1
	s_waitcnt lgkmcnt(1)
	v_dual_mov_b32 v29, v33 :: v_dual_mov_b32 v30, v31
	s_waitcnt lgkmcnt(0)
	v_mov_b32_e32 v28, v32
.LBB308_22:                             ;   in Loop: Header=BB308_10 Depth=1
	s_or_b32 exec_lo, exec_lo, s0
	ds_bpermute_b32 v31, v24, v30
	s_waitcnt lgkmcnt(2)
	ds_bpermute_b32 v33, v24, v29
	s_waitcnt lgkmcnt(2)
	ds_bpermute_b32 v32, v24, v28
	;; [unrolled: 31-line block ×3, first 2 shown]
	s_mov_b32 s4, exec_lo
	s_waitcnt lgkmcnt(2)
	v_cmp_lt_f32_e64 s3, v30, v31
	v_cmpx_nlt_f32_e32 v30, v31
	s_cbranch_execz .LBB308_28
; %bb.27:                               ;   in Loop: Header=BB308_10 Depth=1
	v_cmp_eq_f32_e64 s0, v30, v31
	s_waitcnt lgkmcnt(0)
	v_cmp_lt_i32_e64 s1, v32, v28
	s_delay_alu instid0(VALU_DEP_1) | instskip(SKIP_2) | instid1(SALU_CYCLE_1)
	s_and_b32 s0, s0, s1
	s_and_not1_b32 s1, s3, exec_lo
	s_and_b32 s0, s0, exec_lo
	s_or_b32 s3, s1, s0
.LBB308_28:                             ;   in Loop: Header=BB308_10 Depth=1
	s_or_b32 exec_lo, exec_lo, s4
	s_delay_alu instid0(VALU_DEP_2)
	s_and_saveexec_b32 s0, s3
	s_cbranch_execz .LBB308_30
; %bb.29:                               ;   in Loop: Header=BB308_10 Depth=1
	s_waitcnt lgkmcnt(1)
	v_dual_mov_b32 v29, v33 :: v_dual_mov_b32 v30, v31
	s_waitcnt lgkmcnt(0)
	v_mov_b32_e32 v28, v32
.LBB308_30:                             ;   in Loop: Header=BB308_10 Depth=1
	s_or_b32 exec_lo, exec_lo, s0
	s_waitcnt lgkmcnt(1)
	ds_bpermute_b32 v33, v26, v30
	ds_bpermute_b32 v31, v26, v29
	s_waitcnt lgkmcnt(2)
	ds_bpermute_b32 v32, v26, v28
	s_mov_b32 s4, exec_lo
	s_waitcnt lgkmcnt(2)
	v_cmp_lt_f32_e64 s3, v30, v33
	v_cmpx_nlt_f32_e32 v30, v33
	s_cbranch_execnz .LBB308_34
; %bb.31:                               ;   in Loop: Header=BB308_10 Depth=1
	s_or_b32 exec_lo, exec_lo, s4
	s_delay_alu instid0(VALU_DEP_2)
	s_and_saveexec_b32 s0, s3
	s_cbranch_execnz .LBB308_35
.LBB308_32:                             ;   in Loop: Header=BB308_10 Depth=1
	s_or_b32 exec_lo, exec_lo, s0
	s_and_saveexec_b32 s3, s2
	s_cbranch_execnz .LBB308_36
.LBB308_33:                             ;   in Loop: Header=BB308_10 Depth=1
	s_or_b32 exec_lo, exec_lo, s3
	s_add_i32 s6, s6, 1
	s_delay_alu instid0(SALU_CYCLE_1)
	s_cmp_ge_i32 s6, s8
	s_cbranch_scc1 .LBB308_9
	s_branch .LBB308_37
.LBB308_34:                             ;   in Loop: Header=BB308_10 Depth=1
	v_cmp_eq_f32_e64 s0, v30, v33
	s_waitcnt lgkmcnt(0)
	v_cmp_lt_i32_e64 s1, v32, v28
	s_delay_alu instid0(VALU_DEP_1) | instskip(SKIP_2) | instid1(SALU_CYCLE_1)
	s_and_b32 s0, s0, s1
	s_and_not1_b32 s1, s3, exec_lo
	s_and_b32 s0, s0, exec_lo
	s_or_b32 s3, s1, s0
	s_or_b32 exec_lo, exec_lo, s4
	s_and_saveexec_b32 s0, s3
	s_cbranch_execz .LBB308_32
.LBB308_35:                             ;   in Loop: Header=BB308_10 Depth=1
	s_waitcnt lgkmcnt(0)
	v_dual_mov_b32 v28, v32 :: v_dual_mov_b32 v29, v31
	s_or_b32 exec_lo, exec_lo, s0
	s_and_saveexec_b32 s3, s2
	s_cbranch_execz .LBB308_33
.LBB308_36:                             ;   in Loop: Header=BB308_10 Depth=1
	v_add_nc_u32_e32 v30, s6, v19
	v_subrev_nc_u32_e32 v34, s9, v28
	v_cmp_le_i32_e64 s0, s9, v28
	v_cmp_gt_i32_e64 s1, s10, v28
	v_add_f32_e32 v38, v20, v29
	s_waitcnt lgkmcnt(1)
	v_ashrrev_i32_e32 v31, 31, v30
	v_ashrrev_i32_e32 v35, 31, v34
	s_and_b32 s0, s0, s1
	v_cndmask_b32_e32 v20, v20, v38, vcc_lo
	s_waitcnt lgkmcnt(0)
	v_lshlrev_b64 v[32:33], 2, v[30:31]
	v_lshlrev_b64 v[30:31], 3, v[30:31]
	s_and_b32 s0, s19, s0
	s_delay_alu instid0(SALU_CYCLE_1) | instskip(SKIP_1) | instid1(VALU_DEP_4)
	v_cndmask_b32_e64 v35, 0, v35, s0
	v_cndmask_b32_e64 v34, 0x200, v34, s0
	v_add_co_u32 v36, s0, s16, v32
	s_delay_alu instid0(VALU_DEP_1) | instskip(SKIP_1) | instid1(VALU_DEP_1)
	v_add_co_ci_u32_e64 v37, s0, s17, v33, s0
	v_add_co_u32 v30, s0, s12, v30
	v_add_co_ci_u32_e64 v31, s0, s13, v31, s0
	v_add_co_u32 v32, s0, s14, v32
	s_delay_alu instid0(VALU_DEP_1)
	v_add_co_ci_u32_e64 v33, s0, s15, v33, s0
	global_store_b32 v[36:37], v29, off
	global_store_b64 v[30:31], v[34:35], off
	global_store_b32 v[32:33], v27, off
	s_or_b32 exec_lo, exec_lo, s3
	s_add_i32 s6, s6, 1
	s_delay_alu instid0(SALU_CYCLE_1)
	s_cmp_ge_i32 s6, s8
	s_cbranch_scc1 .LBB308_9
.LBB308_37:                             ;   in Loop: Header=BB308_10 Depth=1
	v_ashrrev_i32_e32 v29, 31, v28
	s_mov_b32 s1, exec_lo
	s_delay_alu instid0(VALU_DEP_1) | instskip(NEXT) | instid1(VALU_DEP_1)
	v_lshrrev_b32_e32 v30, 29, v29
	v_add_nc_u32_e32 v30, v28, v30
	s_waitcnt lgkmcnt(1)
	s_delay_alu instid0(VALU_DEP_1) | instskip(SKIP_1) | instid1(VALU_DEP_2)
	v_ashrrev_i32_e32 v31, 31, v30
	v_ashrrev_i32_e32 v30, 3, v30
	v_lshrrev_b32_e32 v31, 26, v31
	s_delay_alu instid0(VALU_DEP_1) | instskip(NEXT) | instid1(VALU_DEP_1)
	v_add_nc_u32_e32 v31, v30, v31
	v_and_b32_e32 v31, 0xffffffc0, v31
	s_delay_alu instid0(VALU_DEP_1) | instskip(NEXT) | instid1(VALU_DEP_1)
	v_sub_nc_u32_e32 v31, v30, v31
	v_cmpx_eq_u32_e64 v17, v31
	s_cbranch_execz .LBB308_8
; %bb.38:                               ;   in Loop: Header=BB308_10 Depth=1
	v_lshrrev_b32_e32 v29, 23, v29
	v_lshlrev_b32_e32 v30, 3, v30
	s_delay_alu instid0(VALU_DEP_2) | instskip(NEXT) | instid1(VALU_DEP_2)
	v_add_nc_u32_e32 v29, v28, v29
	v_sub_nc_u32_e32 v28, v28, v30
	s_delay_alu instid0(VALU_DEP_2) | instskip(NEXT) | instid1(VALU_DEP_1)
	v_ashrrev_i32_e32 v29, 9, v29
	v_lshl_add_u32 v28, v29, 3, v28
	s_delay_alu instid0(VALU_DEP_1) | instskip(NEXT) | instid1(VALU_DEP_1)
	v_cmp_ne_u32_e64 s0, 7, v28
	v_cndmask_b32_e64 v15, 0xc61c4000, v15, s0
	v_cmp_ne_u32_e64 s0, 6, v28
	s_delay_alu instid0(VALU_DEP_1) | instskip(SKIP_1) | instid1(VALU_DEP_1)
	v_cndmask_b32_e64 v14, 0xc61c4000, v14, s0
	v_cmp_ne_u32_e64 s0, 5, v28
	v_cndmask_b32_e64 v13, 0xc61c4000, v13, s0
	v_cmp_ne_u32_e64 s0, 4, v28
	s_delay_alu instid0(VALU_DEP_1) | instskip(SKIP_1) | instid1(VALU_DEP_1)
	v_cndmask_b32_e64 v12, 0xc61c4000, v12, s0
	;; [unrolled: 5-line block ×3, first 2 shown]
	v_cmp_ne_u32_e64 s0, 1, v28
	v_cndmask_b32_e64 v9, 0xc61c4000, v9, s0
	v_cmp_ne_u32_e64 s0, 0, v28
	s_delay_alu instid0(VALU_DEP_1)
	v_cndmask_b32_e64 v8, 0xc61c4000, v8, s0
	s_branch .LBB308_8
.LBB308_39:
                                        ; implicit-def: $vgpr8_vgpr9_vgpr10_vgpr11_vgpr12_vgpr13_vgpr14_vgpr15
	s_and_not1_b32 vcc_lo, exec_lo, s9
	s_cbranch_vccz .LBB308_5
	s_branch .LBB308_6
.LBB308_40:
	v_mov_b32_e32 v20, 0
.LBB308_41:
	v_cmp_eq_u32_e64 s0, 0, v17
	s_delay_alu instid0(VALU_DEP_1) | instskip(NEXT) | instid1(SALU_CYCLE_1)
	s_and_b32 s0, s0, vcc_lo
	s_and_b32 exec_lo, exec_lo, s0
	s_cbranch_execz .LBB308_45
; %bb.42:
	s_and_not1_b32 vcc_lo, exec_lo, s5
	s_cbranch_vccnz .LBB308_45
; %bb.43:
	v_mul_lo_u32 v0, v16, s8
	v_cmp_lt_f32_e32 vcc_lo, 0, v20
	v_cndmask_b32_e32 v2, 1.0, v20, vcc_lo
	s_delay_alu instid0(VALU_DEP_3) | instskip(NEXT) | instid1(VALU_DEP_1)
	v_ashrrev_i32_e32 v1, 31, v0
	v_lshlrev_b64 v[0:1], 2, v[0:1]
	s_delay_alu instid0(VALU_DEP_1) | instskip(NEXT) | instid1(VALU_DEP_2)
	v_add_co_u32 v0, vcc_lo, s16, v0
	v_add_co_ci_u32_e32 v1, vcc_lo, s17, v1, vcc_lo
	.p2align	6
.LBB308_44:                             ; =>This Inner Loop Header: Depth=1
	global_load_b32 v3, v[0:1], off
	s_add_i32 s8, s8, -1
	s_delay_alu instid0(SALU_CYCLE_1) | instskip(SKIP_3) | instid1(VALU_DEP_2)
	s_cmp_lg_u32 s8, 0
	s_waitcnt vmcnt(0)
	v_div_scale_f32 v4, null, v2, v2, v3
	v_div_scale_f32 v7, vcc_lo, v3, v2, v3
	v_rcp_f32_e32 v5, v4
	s_waitcnt_depctr 0xfff
	v_fma_f32 v6, -v4, v5, 1.0
	s_delay_alu instid0(VALU_DEP_1) | instskip(NEXT) | instid1(VALU_DEP_1)
	v_fmac_f32_e32 v5, v6, v5
	v_mul_f32_e32 v6, v7, v5
	s_delay_alu instid0(VALU_DEP_1) | instskip(NEXT) | instid1(VALU_DEP_1)
	v_fma_f32 v8, -v4, v6, v7
	v_fmac_f32_e32 v6, v8, v5
	s_delay_alu instid0(VALU_DEP_1) | instskip(NEXT) | instid1(VALU_DEP_1)
	v_fma_f32 v4, -v4, v6, v7
	v_div_fmas_f32 v4, v4, v5, v6
	s_delay_alu instid0(VALU_DEP_1)
	v_div_fixup_f32 v3, v4, v2, v3
	global_store_b32 v[0:1], v3, off
	v_add_co_u32 v0, vcc_lo, v0, 4
	v_add_co_ci_u32_e32 v1, vcc_lo, 0, v1, vcc_lo
	s_cbranch_scc1 .LBB308_44
.LBB308_45:
	s_nop 0
	s_sendmsg sendmsg(MSG_DEALLOC_VGPRS)
	s_endpgm
	.section	.rodata,"a",@progbits
	.p2align	6, 0x0
	.amdhsa_kernel _ZN4vllm3moe10topkGatingILi8ELi512ELi4ELi16ELi64El6__halfLNS0_11ScoringFuncE1EEEvPKT5_PKbPfiPT4_PiiiibPKf
		.amdhsa_group_segment_fixed_size 0
		.amdhsa_private_segment_fixed_size 0
		.amdhsa_kernarg_size 72
		.amdhsa_user_sgpr_count 15
		.amdhsa_user_sgpr_dispatch_ptr 0
		.amdhsa_user_sgpr_queue_ptr 0
		.amdhsa_user_sgpr_kernarg_segment_ptr 1
		.amdhsa_user_sgpr_dispatch_id 0
		.amdhsa_user_sgpr_private_segment_size 0
		.amdhsa_wavefront_size32 1
		.amdhsa_uses_dynamic_stack 0
		.amdhsa_enable_private_segment 0
		.amdhsa_system_sgpr_workgroup_id_x 1
		.amdhsa_system_sgpr_workgroup_id_y 0
		.amdhsa_system_sgpr_workgroup_id_z 0
		.amdhsa_system_sgpr_workgroup_info 0
		.amdhsa_system_vgpr_workitem_id 1
		.amdhsa_next_free_vgpr 47
		.amdhsa_next_free_sgpr 20
		.amdhsa_reserve_vcc 1
		.amdhsa_float_round_mode_32 0
		.amdhsa_float_round_mode_16_64 0
		.amdhsa_float_denorm_mode_32 3
		.amdhsa_float_denorm_mode_16_64 3
		.amdhsa_dx10_clamp 1
		.amdhsa_ieee_mode 1
		.amdhsa_fp16_overflow 0
		.amdhsa_workgroup_processor_mode 1
		.amdhsa_memory_ordered 1
		.amdhsa_forward_progress 0
		.amdhsa_shared_vgpr_count 0
		.amdhsa_exception_fp_ieee_invalid_op 0
		.amdhsa_exception_fp_denorm_src 0
		.amdhsa_exception_fp_ieee_div_zero 0
		.amdhsa_exception_fp_ieee_overflow 0
		.amdhsa_exception_fp_ieee_underflow 0
		.amdhsa_exception_fp_ieee_inexact 0
		.amdhsa_exception_int_div_zero 0
	.end_amdhsa_kernel
	.section	.text._ZN4vllm3moe10topkGatingILi8ELi512ELi4ELi16ELi64El6__halfLNS0_11ScoringFuncE1EEEvPKT5_PKbPfiPT4_PiiiibPKf,"axG",@progbits,_ZN4vllm3moe10topkGatingILi8ELi512ELi4ELi16ELi64El6__halfLNS0_11ScoringFuncE1EEEvPKT5_PKbPfiPT4_PiiiibPKf,comdat
.Lfunc_end308:
	.size	_ZN4vllm3moe10topkGatingILi8ELi512ELi4ELi16ELi64El6__halfLNS0_11ScoringFuncE1EEEvPKT5_PKbPfiPT4_PiiiibPKf, .Lfunc_end308-_ZN4vllm3moe10topkGatingILi8ELi512ELi4ELi16ELi64El6__halfLNS0_11ScoringFuncE1EEEvPKT5_PKbPfiPT4_PiiiibPKf
                                        ; -- End function
	.section	.AMDGPU.csdata,"",@progbits
; Kernel info:
; codeLenInByte = 3432
; NumSgprs: 22
; NumVgprs: 47
; ScratchSize: 0
; MemoryBound: 0
; FloatMode: 240
; IeeeMode: 1
; LDSByteSize: 0 bytes/workgroup (compile time only)
; SGPRBlocks: 2
; VGPRBlocks: 5
; NumSGPRsForWavesPerEU: 22
; NumVGPRsForWavesPerEU: 47
; Occupancy: 16
; WaveLimiterHint : 0
; COMPUTE_PGM_RSRC2:SCRATCH_EN: 0
; COMPUTE_PGM_RSRC2:USER_SGPR: 15
; COMPUTE_PGM_RSRC2:TRAP_HANDLER: 0
; COMPUTE_PGM_RSRC2:TGID_X_EN: 1
; COMPUTE_PGM_RSRC2:TGID_Y_EN: 0
; COMPUTE_PGM_RSRC2:TGID_Z_EN: 0
; COMPUTE_PGM_RSRC2:TIDIG_COMP_CNT: 1
	.section	.text._ZN4vllm3moe10topkGatingILi16ELi512ELi4ELi16ELi32El6__halfLNS0_11ScoringFuncE1EEEvPKT5_PKbPfiPT4_PiiiibPKf,"axG",@progbits,_ZN4vllm3moe10topkGatingILi16ELi512ELi4ELi16ELi32El6__halfLNS0_11ScoringFuncE1EEEvPKT5_PKbPfiPT4_PiiiibPKf,comdat
	.protected	_ZN4vllm3moe10topkGatingILi16ELi512ELi4ELi16ELi32El6__halfLNS0_11ScoringFuncE1EEEvPKT5_PKbPfiPT4_PiiiibPKf ; -- Begin function _ZN4vllm3moe10topkGatingILi16ELi512ELi4ELi16ELi32El6__halfLNS0_11ScoringFuncE1EEEvPKT5_PKbPfiPT4_PiiiibPKf
	.globl	_ZN4vllm3moe10topkGatingILi16ELi512ELi4ELi16ELi32El6__halfLNS0_11ScoringFuncE1EEEvPKT5_PKbPfiPT4_PiiiibPKf
	.p2align	8
	.type	_ZN4vllm3moe10topkGatingILi16ELi512ELi4ELi16ELi32El6__halfLNS0_11ScoringFuncE1EEEvPKT5_PKbPfiPT4_PiiiibPKf,@function
_ZN4vllm3moe10topkGatingILi16ELi512ELi4ELi16ELi32El6__halfLNS0_11ScoringFuncE1EEEvPKT5_PKbPfiPT4_PiiiibPKf: ; @_ZN4vllm3moe10topkGatingILi16ELi512ELi4ELi16ELi32El6__halfLNS0_11ScoringFuncE1EEEvPKT5_PKbPfiPT4_PiiiibPKf
; %bb.0:
	s_load_b32 s22, s[0:1], 0x18
	v_and_b32_e32 v1, 0x3ff, v0
	v_bfe_u32 v0, v0, 10, 10
	s_lshl_b32 s2, s15, 2
	s_delay_alu instid0(VALU_DEP_2) | instskip(NEXT) | instid1(VALU_DEP_1)
	v_lshrrev_b32_e32 v2, 5, v1
	v_add3_u32 v32, s2, v0, v2
	s_mov_b32 s2, exec_lo
	s_waitcnt lgkmcnt(0)
	s_delay_alu instid0(VALU_DEP_1)
	v_cmpx_gt_i32_e64 s22, v32
	s_cbranch_execz .LBB309_41
; %bb.1:
	s_clause 0x1
	s_load_b128 s[4:7], s[0:1], 0x0
	s_load_b64 s[20:21], s[0:1], 0x10
	s_mov_b32 s17, -1
	s_mov_b32 s23, -1
	s_waitcnt lgkmcnt(0)
	s_cmp_eq_u64 s[6:7], 0
	s_cbranch_scc1 .LBB309_3
; %bb.2:
	v_ashrrev_i32_e32 v0, 31, v32
	v_add_co_u32 v2, vcc_lo, s6, v32
	s_delay_alu instid0(VALU_DEP_2) | instskip(SKIP_3) | instid1(VALU_DEP_1)
	v_add_co_ci_u32_e32 v3, vcc_lo, s7, v0, vcc_lo
	global_load_u8 v0, v[2:3], off
	s_waitcnt vmcnt(0)
	v_and_b32_e32 v0, 1, v0
	v_cmp_eq_u32_e32 vcc_lo, 1, v0
	s_xor_b32 s2, vcc_lo, -1
	s_delay_alu instid0(SALU_CYCLE_1)
	s_or_not1_b32 s23, s2, exec_lo
.LBB309_3:
	v_lshlrev_b32_e32 v2, 9, v32
	v_and_b32_e32 v33, 31, v1
	s_load_b64 s[18:19], s[0:1], 0x40
	s_delay_alu instid0(VALU_DEP_2) | instskip(NEXT) | instid1(VALU_DEP_1)
	v_ashrrev_i32_e32 v3, 31, v2
	v_lshlrev_b64 v[0:1], 1, v[2:3]
	s_delay_alu instid0(VALU_DEP_3) | instskip(NEXT) | instid1(VALU_DEP_2)
	v_lshlrev_b32_e32 v2, 4, v33
	v_add_co_u32 v0, vcc_lo, s4, v0
	s_delay_alu instid0(VALU_DEP_3) | instskip(NEXT) | instid1(VALU_DEP_2)
	v_add_co_ci_u32_e32 v1, vcc_lo, s5, v1, vcc_lo
	v_add_co_u32 v4, vcc_lo, v0, v2
	s_delay_alu instid0(VALU_DEP_2)
	v_add_co_ci_u32_e32 v5, vcc_lo, 0, v1, vcc_lo
	s_waitcnt lgkmcnt(0)
	s_cmp_eq_u64 s[18:19], 0
	s_clause 0x1
	global_load_b128 v[0:3], v[4:5], off
	global_load_b128 v[4:7], v[4:5], off offset:512
	s_waitcnt vmcnt(1)
	v_cvt_f32_f16_e32 v8, v0
	v_cvt_f32_f16_e32 v10, v2
	v_lshrrev_b32_e32 v2, 16, v2
	s_waitcnt vmcnt(0)
	v_cvt_f32_f16_e32 v13, v5
	v_cvt_f32_f16_e32 v15, v7
	v_lshrrev_b32_e32 v7, 16, v7
	v_mul_f32_e32 v8, 0xbfb8aa3b, v8
	v_cvt_f32_f16_e32 v11, v3
	v_lshrrev_b32_e32 v3, 16, v3
	v_cvt_f32_f16_e32 v14, v6
	v_cvt_f32_f16_e32 v2, v2
	;; [unrolled: 1-line block ×3, first 2 shown]
	v_dual_mul_f32 v11, 0xbfb8aa3b, v11 :: v_dual_mul_f32 v10, 0xbfb8aa3b, v10
	v_mul_f32_e32 v13, 0xbfb8aa3b, v13
	v_exp_f32_e32 v8, v8
	v_cvt_f32_f16_e32 v3, v3
	v_mul_f32_e32 v14, 0xbfb8aa3b, v14
	v_dual_mul_f32 v2, 0xbfb8aa3b, v2 :: v_dual_mul_f32 v7, 0xbfb8aa3b, v7
	v_exp_f32_e32 v13, v13
	v_lshrrev_b32_e32 v0, 16, v0
	v_lshrrev_b32_e32 v5, 16, v5
	v_mul_f32_e32 v3, 0xbfb8aa3b, v3
	v_exp_f32_e32 v14, v14
	v_exp_f32_e32 v7, v7
	v_add_f32_e32 v8, 1.0, v8
	v_cvt_f32_f16_e32 v0, v0
	v_cvt_f32_f16_e32 v5, v5
	v_dual_mul_f32 v15, 0xbfb8aa3b, v15 :: v_dual_lshlrev_b32 v34, 3, v33
	v_add_f32_e32 v13, 1.0, v13
	v_div_scale_f32 v16, null, v8, v8, 1.0
	s_delay_alu instid0(VALU_DEP_4) | instskip(NEXT) | instid1(TRANS32_DEP_1)
	v_dual_mul_f32 v0, 0xbfb8aa3b, v0 :: v_dual_mul_f32 v5, 0xbfb8aa3b, v5
	v_dual_add_f32 v14, 1.0, v14 :: v_dual_add_f32 v35, 1.0, v7
	s_delay_alu instid0(VALU_DEP_3)
	v_rcp_f32_e32 v7, v16
	v_cvt_f32_f16_e32 v9, v1
	v_lshrrev_b32_e32 v1, 16, v1
	v_cvt_f32_f16_e32 v12, v4
	v_exp_f32_e32 v10, v10
	v_exp_f32_e32 v0, v0
	;; [unrolled: 1-line block ×3, first 2 shown]
	v_cvt_f32_f16_e32 v1, v1
	v_mul_f32_e32 v12, 0xbfb8aa3b, v12
	v_exp_f32_e32 v15, v15
	v_fma_f32 v67, -v16, v7, 1.0
	v_div_scale_f32 v17, vcc_lo, 1.0, v8, 1.0
	v_mul_f32_e32 v1, 0xbfb8aa3b, v1
	v_exp_f32_e32 v12, v12
	v_add_f32_e32 v10, 1.0, v10
	v_dual_add_f32 v0, 1.0, v0 :: v_dual_fmac_f32 v7, v67, v7
	v_add_f32_e32 v28, 1.0, v5
	v_div_scale_f32 v5, null, v14, v14, 1.0
	v_lshrrev_b32_e32 v4, 16, v4
	s_delay_alu instid0(VALU_DEP_4)
	v_mul_f32_e32 v75, v17, v7
	v_lshrrev_b32_e32 v6, 16, v6
	v_mul_f32_e32 v9, 0xbfb8aa3b, v9
	v_exp_f32_e32 v1, v1
	v_exp_f32_e32 v3, v3
	v_add_f32_e32 v15, 1.0, v15
	v_div_scale_f32 v20, null, v10, v10, 1.0
	v_rcp_f32_e32 v53, v5
	v_cvt_f32_f16_e32 v4, v4
	v_cvt_f32_f16_e32 v6, v6
	v_exp_f32_e32 v9, v9
	v_exp_f32_e32 v11, v11
	;; [unrolled: 1-line block ×3, first 2 shown]
	v_dual_add_f32 v12, 1.0, v12 :: v_dual_add_f32 v1, 1.0, v1
	v_rcp_f32_e32 v41, v20
	v_mul_f32_e32 v4, 0xbfb8aa3b, v4
	v_mul_f32_e32 v6, 0xbfb8aa3b, v6
	v_div_scale_f32 v36, null, v0, v0, 1.0
	v_fma_f32 v73, -v5, v53, 1.0
	s_delay_alu instid0(TRANS32_DEP_3) | instskip(SKIP_2) | instid1(VALU_DEP_4)
	v_add_f32_e32 v11, 1.0, v11
	v_add_f32_e32 v24, 1.0, v3
	v_div_scale_f32 v3, null, v12, v12, 1.0
	v_fmac_f32_e32 v53, v73, v53
	v_exp_f32_e32 v6, v6
	v_add_f32_e32 v9, 1.0, v9
	v_exp_f32_e32 v4, v4
	v_rcp_f32_e32 v47, v3
	v_rcp_f32_e32 v59, v36
	v_fma_f32 v69, -v20, v41, 1.0
	v_add_f32_e32 v22, 1.0, v2
	v_div_scale_f32 v18, null, v9, v9, 1.0
	v_div_scale_f32 v2, null, v11, v11, 1.0
	s_delay_alu instid0(VALU_DEP_4) | instskip(NEXT) | instid1(VALU_DEP_4)
	v_fmac_f32_e32 v41, v69, v41
	v_div_scale_f32 v42, null, v22, v22, 1.0
	s_delay_alu instid0(VALU_DEP_4) | instskip(NEXT) | instid1(VALU_DEP_3)
	v_rcp_f32_e32 v38, v18
	v_rcp_f32_e32 v44, v2
	v_fma_f32 v71, -v3, v47, 1.0
	v_add_f32_e32 v26, 1.0, v4
	v_div_scale_f32 v4, null, v13, v13, 1.0
	v_rcp_f32_e32 v61, v42
	s_delay_alu instid0(VALU_DEP_3) | instskip(SKIP_4) | instid1(VALU_DEP_4)
	v_fmac_f32_e32 v47, v71, v47
	v_fma_f32 v67, -v36, v59, 1.0
	v_add_f32_e32 v30, 1.0, v6
	v_div_scale_f32 v6, null, v15, v15, 1.0
	v_div_scale_f32 v39, null, v1, v1, 1.0
	v_fmac_f32_e32 v59, v67, v59
	v_div_scale_f32 v48, null, v26, v26, 1.0
	v_rcp_f32_e32 v50, v4
	v_rcp_f32_e32 v56, v6
	v_div_scale_f32 v57, null, v35, v35, 1.0
	v_div_scale_f32 v51, null, v28, v28, 1.0
	;; [unrolled: 1-line block ×4, first 2 shown]
	v_rcp_f32_e32 v60, v39
	v_rcp_f32_e32 v63, v48
	;; [unrolled: 1-line block ×3, first 2 shown]
	v_fma_f32 v68, -v18, v38, 1.0
	v_fma_f32 v70, -v2, v44, 1.0
	;; [unrolled: 1-line block ×3, first 2 shown]
	v_rcp_f32_e32 v64, v51
	v_div_scale_f32 v19, s2, 1.0, v9, 1.0
	v_div_scale_f32 v23, s4, 1.0, v11, 1.0
	v_rcp_f32_e32 v62, v45
	v_rcp_f32_e32 v65, v54
	v_fma_f32 v72, -v4, v50, 1.0
	v_fma_f32 v74, -v6, v56, 1.0
	v_dual_fmac_f32 v38, v68, v38 :: v_dual_fmac_f32 v61, v69, v61
	v_fmac_f32_e32 v44, v70, v44
	v_div_scale_f32 v27, s6, 1.0, v13, 1.0
	s_delay_alu instid0(VALU_DEP_3)
	v_mul_f32_e32 v67, v19, v38
	v_fma_f32 v68, -v39, v60, 1.0
	v_fma_f32 v71, -v48, v63, 1.0
	v_dual_fmac_f32 v50, v72, v50 :: v_dual_mul_f32 v69, v23, v44
	v_fmac_f32_e32 v56, v74, v56
	v_fma_f32 v74, -v57, v66, 1.0
	s_delay_alu instid0(VALU_DEP_4)
	v_fmac_f32_e32 v63, v71, v63
	v_div_scale_f32 v21, s3, 1.0, v10, 1.0
	v_div_scale_f32 v29, s7, 1.0, v14, 1.0
	;; [unrolled: 1-line block ×3, first 2 shown]
	v_fma_f32 v72, -v51, v64, 1.0
	v_div_scale_f32 v31, s8, 1.0, v15, 1.0
	v_div_scale_f32 v40, s10, 1.0, v1, 1.0
	v_fma_f32 v70, -v45, v62, 1.0
	v_fma_f32 v73, -v54, v65, 1.0
	v_dual_fmac_f32 v60, v68, v60 :: v_dual_mul_f32 v71, v27, v50
	v_fma_f32 v81, -v2, v69, v23
	v_fmac_f32_e32 v66, v74, v66
	v_fma_f32 v74, -v16, v75, v17
	v_mul_f32_e32 v68, v21, v41
	v_fmac_f32_e32 v64, v72, v64
	v_mul_f32_e32 v72, v29, v53
	v_mul_f32_e32 v76, v37, v59
	v_div_scale_f32 v43, s11, 1.0, v22, 1.0
	v_dual_fmac_f32 v62, v70, v62 :: v_dual_fmac_f32 v65, v73, v65
	v_mul_f32_e32 v73, v31, v56
	v_fma_f32 v77, -v18, v67, v19
	v_mul_f32_e32 v78, v40, v60
	v_fma_f32 v85, -v4, v71, v27
	v_fmac_f32_e32 v75, v74, v7
	v_fma_f32 v79, -v20, v68, v21
	v_fmac_f32_e32 v67, v77, v38
	v_fma_f32 v87, -v5, v72, v29
	v_fma_f32 v74, -v36, v76, v37
	v_div_scale_f32 v46, s12, 1.0, v24, 1.0
	v_dual_mul_f32 v80, v43, v61 :: v_dual_fmac_f32 v71, v85, v50
	v_fma_f32 v89, -v6, v73, v31
	v_fma_f32 v77, -v39, v78, v40
	;; [unrolled: 1-line block ×3, first 2 shown]
	v_fmac_f32_e32 v68, v79, v41
	v_fmac_f32_e32 v72, v87, v53
	;; [unrolled: 1-line block ×3, first 2 shown]
	v_dual_mul_f32 v82, v46, v62 :: v_dual_fmac_f32 v73, v89, v56
	v_fma_f32 v17, -v18, v67, v19
	v_fmac_f32_e32 v78, v77, v60
	v_fma_f32 v19, -v4, v71, v27
	v_div_fmas_f32 v4, v16, v7, v75
	v_fma_f32 v18, -v20, v68, v21
	v_fma_f32 v20, -v5, v72, v29
	;; [unrolled: 1-line block ×4, first 2 shown]
	s_mov_b32 vcc_lo, s9
	v_fma_f32 v21, -v6, v73, v31
	v_fma_f32 v6, -v39, v78, v40
	v_div_fixup_f32 v4, v4, v8, 1.0
	v_div_fmas_f32 v5, v5, v59, v76
	s_mov_b32 vcc_lo, s2
	v_fmac_f32_e32 v80, v79, v61
	v_div_fmas_f32 v8, v17, v38, v67
	s_mov_b32 vcc_lo, s10
	v_fmac_f32_e32 v69, v81, v44
	v_div_fmas_f32 v6, v6, v60, v78
	v_cmp_class_f32_e64 vcc_lo, v4, 0x1f8
	v_fma_f32 v7, -v42, v80, v43
	v_div_fixup_f32 v5, v5, v0, 1.0
	v_div_scale_f32 v25, s5, 1.0, v12, 1.0
	v_cndmask_b32_e32 v0, 0, v4, vcc_lo
	s_mov_b32 vcc_lo, s3
	v_fma_f32 v2, -v2, v69, v23
	v_div_fmas_f32 v4, v18, v41, v68
	s_mov_b32 vcc_lo, s11
	v_fma_f32 v81, -v45, v82, v46
	v_div_fmas_f32 v7, v7, v61, v80
	s_mov_b32 vcc_lo, s4
	v_div_fixup_f32 v8, v8, v9, 1.0
	v_div_fmas_f32 v9, v2, v44, v69
	v_cmp_class_f32_e64 vcc_lo, v5, 0x1f8
	v_mul_f32_e32 v70, v25, v47
	v_div_scale_f32 v49, s13, 1.0, v26, 1.0
	v_fmac_f32_e32 v82, v81, v62
	v_div_fixup_f32 v6, v6, v1, 1.0
	v_cndmask_b32_e32 v1, 0, v5, vcc_lo
	v_fma_f32 v83, -v3, v70, v25
	v_mul_f32_e32 v84, v49, v63
	v_fma_f32 v16, -v45, v82, v46
	s_mov_b32 vcc_lo, s12
	v_div_fixup_f32 v4, v4, v10, 1.0
	v_fmac_f32_e32 v70, v83, v47
	v_fma_f32 v83, -v48, v84, v49
	v_div_fmas_f32 v5, v16, v62, v82
	v_cmp_class_f32_e64 vcc_lo, v8, 0x1f8
	v_div_scale_f32 v52, s14, 1.0, v28, 1.0
	v_fma_f32 v3, -v3, v70, v25
	v_fmac_f32_e32 v84, v83, v63
	v_cndmask_b32_e32 v2, 0, v8, vcc_lo
	s_mov_b32 vcc_lo, s5
	v_div_fixup_f32 v7, v7, v22, 1.0
	v_div_fmas_f32 v8, v3, v47, v70
	v_cmp_class_f32_e64 vcc_lo, v6, 0x1f8
	v_fma_f32 v23, -v48, v84, v49
	v_div_fixup_f32 v10, v5, v24, 1.0
	v_div_scale_f32 v55, s15, 1.0, v30, 1.0
	v_cndmask_b32_e32 v3, 0, v6, vcc_lo
	s_mov_b32 vcc_lo, s13
	v_div_fixup_f32 v6, v9, v11, 1.0
	v_div_fmas_f32 v9, v23, v63, v84
	v_cmp_class_f32_e64 vcc_lo, v4, 0x1f8
	v_div_fixup_f32 v8, v8, v12, 1.0
	v_div_scale_f32 v58, s16, 1.0, v35, 1.0
	s_delay_alu instid0(VALU_DEP_4)
	v_div_fixup_f32 v9, v9, v26, 1.0
	v_cndmask_b32_e32 v4, 0, v4, vcc_lo
	s_mov_b32 vcc_lo, s6
	v_div_fmas_f32 v11, v19, v50, v71
	v_cmp_class_f32_e64 vcc_lo, v7, 0x1f8
	v_dual_mul_f32 v86, v52, v64 :: v_dual_cndmask_b32 v5, 0, v7
	s_delay_alu instid0(VALU_DEP_1) | instskip(SKIP_1) | instid1(VALU_DEP_1)
	v_fma_f32 v85, -v51, v86, v52
	s_mov_b32 vcc_lo, s14
	v_fmac_f32_e32 v86, v85, v64
	s_delay_alu instid0(VALU_DEP_1) | instskip(NEXT) | instid1(VALU_DEP_1)
	v_fma_f32 v25, -v51, v86, v52
	v_div_fmas_f32 v12, v25, v64, v86
	v_cmp_class_f32_e64 vcc_lo, v6, 0x1f8
	s_delay_alu instid0(VALU_DEP_2) | instskip(SKIP_4) | instid1(VALU_DEP_3)
	v_div_fixup_f32 v12, v12, v28, 1.0
	v_mul_f32_e32 v88, v55, v65
	v_cndmask_b32_e32 v6, 0, v6, vcc_lo
	s_mov_b32 vcc_lo, s7
	v_div_fmas_f32 v16, v20, v53, v72
	v_fma_f32 v87, -v54, v88, v55
	v_cmp_class_f32_e64 vcc_lo, v10, 0x1f8
	s_delay_alu instid0(VALU_DEP_3) | instskip(NEXT) | instid1(VALU_DEP_3)
	v_div_fixup_f32 v14, v16, v14, 1.0
	v_dual_fmac_f32 v88, v87, v65 :: v_dual_cndmask_b32 v7, 0, v10
	s_mov_b32 vcc_lo, s15
	v_div_fixup_f32 v10, v11, v13, 1.0
	s_delay_alu instid0(VALU_DEP_2) | instskip(NEXT) | instid1(VALU_DEP_1)
	v_fma_f32 v27, -v54, v88, v55
	v_div_fmas_f32 v11, v27, v65, v88
	v_cmp_class_f32_e64 vcc_lo, v8, 0x1f8
	s_delay_alu instid0(VALU_DEP_2) | instskip(SKIP_4) | instid1(VALU_DEP_3)
	v_div_fixup_f32 v17, v11, v30, 1.0
	v_mul_f32_e32 v90, v58, v66
	v_cndmask_b32_e32 v8, 0, v8, vcc_lo
	s_mov_b32 vcc_lo, s8
	v_div_fmas_f32 v13, v21, v56, v73
	v_fma_f32 v89, -v57, v90, v58
	v_cmp_class_f32_e64 vcc_lo, v9, 0x1f8
	s_delay_alu instid0(VALU_DEP_3) | instskip(NEXT) | instid1(VALU_DEP_3)
	v_div_fixup_f32 v15, v13, v15, 1.0
	v_dual_fmac_f32 v90, v89, v66 :: v_dual_cndmask_b32 v9, 0, v9
	s_mov_b32 vcc_lo, s16
	s_delay_alu instid0(VALU_DEP_1) | instskip(NEXT) | instid1(VALU_DEP_1)
	v_fma_f32 v29, -v57, v90, v58
	v_div_fmas_f32 v16, v29, v66, v90
	v_cmp_class_f32_e64 vcc_lo, v10, 0x1f8
	s_delay_alu instid0(VALU_DEP_2)
	v_div_fixup_f32 v16, v16, v35, 1.0
	v_cndmask_b32_e32 v10, 0, v10, vcc_lo
	v_cmp_class_f32_e64 vcc_lo, v12, 0x1f8
	v_cndmask_b32_e32 v11, 0, v12, vcc_lo
	v_cmp_class_f32_e64 vcc_lo, v14, 0x1f8
	;; [unrolled: 2-line block ×5, first 2 shown]
	v_cndmask_b32_e32 v15, 0, v16, vcc_lo
	s_cbranch_scc1 .LBB309_35
; %bb.4:
	v_lshlrev_b32_e32 v28, 2, v34
	s_clause 0x3
	global_load_b128 v[16:19], v28, s[18:19]
	global_load_b128 v[20:23], v28, s[18:19] offset:16
	global_load_b128 v[24:27], v28, s[18:19] offset:1024
	;; [unrolled: 1-line block ×3, first 2 shown]
	s_waitcnt vmcnt(3)
	v_dual_add_f32 v17, v17, v1 :: v_dual_add_f32 v16, v16, v0
	v_dual_add_f32 v19, v19, v3 :: v_dual_add_f32 v18, v18, v2
	s_waitcnt vmcnt(2)
	v_dual_add_f32 v21, v21, v5 :: v_dual_add_f32 v20, v20, v4
	v_dual_add_f32 v23, v23, v7 :: v_dual_add_f32 v22, v22, v6
	;; [unrolled: 3-line block ×4, first 2 shown]
	s_cbranch_execnz .LBB309_6
.LBB309_5:
	v_dual_mov_b32 v31, v15 :: v_dual_mov_b32 v30, v14
	v_dual_mov_b32 v29, v13 :: v_dual_mov_b32 v28, v12
	;; [unrolled: 1-line block ×8, first 2 shown]
.LBB309_6:
	s_load_b128 s[12:15], s[0:1], 0x30
	v_cmp_eq_u32_e64 s2, 0, v33
	s_mov_b32 s10, 0
	s_waitcnt lgkmcnt(0)
	s_bitcmp1_b32 s15, 0
	s_cselect_b32 vcc_lo, -1, 0
	s_cmp_gt_i32 s12, 0
	s_cselect_b32 s9, -1, 0
	s_cmp_lt_i32 s12, 1
	s_cbranch_scc1 .LBB309_36
; %bb.7:
	v_mbcnt_lo_u32_b32 v36, -1, 0
	s_load_b128 s[16:19], s[0:1], 0x20
	v_mul_lo_u32 v35, v32, s12
	v_mov_b32_e32 v42, v32
	s_delay_alu instid0(VALU_DEP_3)
	v_xor_b32_e32 v37, 16, v36
	v_xor_b32_e32 v38, 8, v36
	v_xor_b32_e32 v39, 4, v36
	v_xor_b32_e32 v40, 2, v36
	v_xor_b32_e32 v41, 1, v36
	v_cmp_gt_i32_e64 s0, 32, v37
	s_delay_alu instid0(VALU_DEP_1) | instskip(SKIP_1) | instid1(VALU_DEP_2)
	v_cndmask_b32_e64 v37, v36, v37, s0
	v_cmp_gt_i32_e64 s0, 32, v38
	v_lshlrev_b32_e32 v37, 2, v37
	s_delay_alu instid0(VALU_DEP_2) | instskip(SKIP_1) | instid1(VALU_DEP_2)
	v_cndmask_b32_e64 v38, v36, v38, s0
	v_cmp_gt_i32_e64 s0, 32, v39
	v_lshlrev_b32_e32 v38, 2, v38
	s_delay_alu instid0(VALU_DEP_2) | instskip(SKIP_1) | instid1(VALU_DEP_2)
	;; [unrolled: 4-line block ×3, first 2 shown]
	v_cndmask_b32_e64 v40, v36, v40, s0
	v_cmp_gt_i32_e64 s0, 32, v41
	v_lshlrev_b32_e32 v40, 2, v40
	s_delay_alu instid0(VALU_DEP_2) | instskip(NEXT) | instid1(VALU_DEP_1)
	v_cndmask_b32_e64 v36, v36, v41, s0
	v_dual_mov_b32 v36, 0 :: v_dual_lshlrev_b32 v41, 2, v36
	s_branch .LBB309_10
.LBB309_8:                              ;   in Loop: Header=BB309_10 Depth=1
	s_or_b32 exec_lo, exec_lo, s1
.LBB309_9:                              ;   in Loop: Header=BB309_10 Depth=1
	v_add_nc_u32_e32 v42, s22, v42
	s_cmp_eq_u32 s12, s10
	s_cbranch_scc1 .LBB309_37
.LBB309_10:                             ; =>This Inner Loop Header: Depth=1
	v_cmp_gt_f32_e64 s0, v17, v16
	s_delay_alu instid0(VALU_DEP_1) | instskip(SKIP_2) | instid1(VALU_DEP_3)
	v_cndmask_b32_e64 v44, v16, v17, s0
	v_cndmask_b32_e64 v43, 0, 1, s0
	;; [unrolled: 1-line block ×3, first 2 shown]
	v_cmp_gt_f32_e64 s1, v18, v44
	s_delay_alu instid0(VALU_DEP_1) | instskip(NEXT) | instid1(VALU_DEP_4)
	v_cndmask_b32_e64 v44, v44, v18, s1
	v_cndmask_b32_e64 v43, v43, 2, s1
	s_delay_alu instid0(VALU_DEP_4) | instskip(NEXT) | instid1(VALU_DEP_3)
	v_cndmask_b32_e64 v45, v45, v2, s1
	v_cmp_gt_f32_e64 s3, v19, v44
	s_delay_alu instid0(VALU_DEP_1) | instskip(NEXT) | instid1(VALU_DEP_4)
	v_cndmask_b32_e64 v44, v44, v19, s3
	v_cndmask_b32_e64 v43, v43, 3, s3
	s_delay_alu instid0(VALU_DEP_4) | instskip(NEXT) | instid1(VALU_DEP_3)
	v_cndmask_b32_e64 v45, v45, v3, s3
	;; [unrolled: 6-line block ×10, first 2 shown]
	v_cmp_gt_f32_e64 s4, v28, v44
	s_delay_alu instid0(VALU_DEP_1) | instskip(NEXT) | instid1(VALU_DEP_4)
	v_cndmask_b32_e64 v44, v44, v28, s4
	v_cndmask_b32_e64 v43, v43, 0x104, s4
	s_delay_alu instid0(VALU_DEP_4) | instskip(SKIP_1) | instid1(VALU_DEP_3)
	v_cndmask_b32_e64 v45, v45, v12, s4
	s_mov_b32 s4, exec_lo
	v_cmp_gt_f32_e64 s0, v29, v44
	s_delay_alu instid0(VALU_DEP_1) | instskip(SKIP_2) | instid1(VALU_DEP_3)
	v_cndmask_b32_e64 v44, v44, v29, s0
	v_cndmask_b32_e64 v43, v43, 0x105, s0
	;; [unrolled: 1-line block ×3, first 2 shown]
	v_cmp_gt_f32_e64 s1, v30, v44
	s_delay_alu instid0(VALU_DEP_1) | instskip(NEXT) | instid1(VALU_DEP_4)
	v_cndmask_b32_e64 v44, v44, v30, s1
	v_cndmask_b32_e64 v43, v43, 0x106, s1
	s_waitcnt lgkmcnt(0)
	v_cndmask_b32_e64 v46, v45, v14, s1
	s_delay_alu instid0(VALU_DEP_3) | instskip(NEXT) | instid1(VALU_DEP_1)
	v_cmp_gt_f32_e64 s0, v31, v44
	v_cndmask_b32_e64 v43, v43, 0x107, s0
	v_cndmask_b32_e64 v45, v44, v31, s0
	s_delay_alu instid0(VALU_DEP_4) | instskip(NEXT) | instid1(VALU_DEP_3)
	v_cndmask_b32_e64 v44, v46, v15, s0
	v_or_b32_e32 v43, v34, v43
	ds_bpermute_b32 v46, v37, v45
	ds_bpermute_b32 v48, v37, v44
	;; [unrolled: 1-line block ×3, first 2 shown]
	s_waitcnt lgkmcnt(0)
	v_cmp_lt_f32_e64 s3, v45, v46
	v_cmpx_nlt_f32_e32 v45, v46
; %bb.11:                               ;   in Loop: Header=BB309_10 Depth=1
	v_cmp_eq_f32_e64 s0, v45, v46
	v_cmp_lt_i32_e64 s1, v47, v43
	s_delay_alu instid0(VALU_DEP_1) | instskip(SKIP_2) | instid1(SALU_CYCLE_1)
	s_and_b32 s0, s0, s1
	s_and_not1_b32 s1, s3, exec_lo
	s_and_b32 s0, s0, exec_lo
	s_or_b32 s3, s1, s0
; %bb.12:                               ;   in Loop: Header=BB309_10 Depth=1
	s_or_b32 exec_lo, exec_lo, s4
	s_and_saveexec_b32 s0, s3
; %bb.13:                               ;   in Loop: Header=BB309_10 Depth=1
	v_dual_mov_b32 v44, v48 :: v_dual_mov_b32 v45, v46
	v_mov_b32_e32 v43, v47
; %bb.14:                               ;   in Loop: Header=BB309_10 Depth=1
	s_or_b32 exec_lo, exec_lo, s0
	ds_bpermute_b32 v46, v38, v45
	ds_bpermute_b32 v48, v38, v44
	;; [unrolled: 1-line block ×3, first 2 shown]
	s_mov_b32 s4, exec_lo
	s_waitcnt lgkmcnt(2)
	v_cmp_lt_f32_e64 s3, v45, v46
	v_cmpx_nlt_f32_e32 v45, v46
	s_cbranch_execz .LBB309_16
; %bb.15:                               ;   in Loop: Header=BB309_10 Depth=1
	v_cmp_eq_f32_e64 s0, v45, v46
	s_waitcnt lgkmcnt(0)
	v_cmp_lt_i32_e64 s1, v47, v43
	s_delay_alu instid0(VALU_DEP_1) | instskip(SKIP_2) | instid1(SALU_CYCLE_1)
	s_and_b32 s0, s0, s1
	s_and_not1_b32 s1, s3, exec_lo
	s_and_b32 s0, s0, exec_lo
	s_or_b32 s3, s1, s0
.LBB309_16:                             ;   in Loop: Header=BB309_10 Depth=1
	s_or_b32 exec_lo, exec_lo, s4
	s_delay_alu instid0(VALU_DEP_2)
	s_and_saveexec_b32 s0, s3
	s_cbranch_execz .LBB309_18
; %bb.17:                               ;   in Loop: Header=BB309_10 Depth=1
	s_waitcnt lgkmcnt(1)
	v_dual_mov_b32 v44, v48 :: v_dual_mov_b32 v45, v46
	s_waitcnt lgkmcnt(0)
	v_mov_b32_e32 v43, v47
.LBB309_18:                             ;   in Loop: Header=BB309_10 Depth=1
	s_or_b32 exec_lo, exec_lo, s0
	ds_bpermute_b32 v46, v39, v45
	s_waitcnt lgkmcnt(2)
	ds_bpermute_b32 v48, v39, v44
	s_waitcnt lgkmcnt(2)
	ds_bpermute_b32 v47, v39, v43
	s_mov_b32 s4, exec_lo
	s_waitcnt lgkmcnt(2)
	v_cmp_lt_f32_e64 s3, v45, v46
	v_cmpx_nlt_f32_e32 v45, v46
	s_cbranch_execz .LBB309_20
; %bb.19:                               ;   in Loop: Header=BB309_10 Depth=1
	v_cmp_eq_f32_e64 s0, v45, v46
	s_waitcnt lgkmcnt(0)
	v_cmp_lt_i32_e64 s1, v47, v43
	s_delay_alu instid0(VALU_DEP_1) | instskip(SKIP_2) | instid1(SALU_CYCLE_1)
	s_and_b32 s0, s0, s1
	s_and_not1_b32 s1, s3, exec_lo
	s_and_b32 s0, s0, exec_lo
	s_or_b32 s3, s1, s0
.LBB309_20:                             ;   in Loop: Header=BB309_10 Depth=1
	s_or_b32 exec_lo, exec_lo, s4
	s_delay_alu instid0(VALU_DEP_2)
	s_and_saveexec_b32 s0, s3
	s_cbranch_execz .LBB309_22
; %bb.21:                               ;   in Loop: Header=BB309_10 Depth=1
	s_waitcnt lgkmcnt(1)
	v_dual_mov_b32 v44, v48 :: v_dual_mov_b32 v45, v46
	s_waitcnt lgkmcnt(0)
	v_mov_b32_e32 v43, v47
.LBB309_22:                             ;   in Loop: Header=BB309_10 Depth=1
	s_or_b32 exec_lo, exec_lo, s0
	ds_bpermute_b32 v46, v40, v45
	s_waitcnt lgkmcnt(2)
	ds_bpermute_b32 v48, v40, v44
	s_waitcnt lgkmcnt(2)
	ds_bpermute_b32 v47, v40, v43
	s_mov_b32 s4, exec_lo
	s_waitcnt lgkmcnt(2)
	v_cmp_lt_f32_e64 s3, v45, v46
	v_cmpx_nlt_f32_e32 v45, v46
	s_cbranch_execz .LBB309_24
; %bb.23:                               ;   in Loop: Header=BB309_10 Depth=1
	v_cmp_eq_f32_e64 s0, v45, v46
	s_waitcnt lgkmcnt(0)
	v_cmp_lt_i32_e64 s1, v47, v43
	s_delay_alu instid0(VALU_DEP_1) | instskip(SKIP_2) | instid1(SALU_CYCLE_1)
	s_and_b32 s0, s0, s1
	s_and_not1_b32 s1, s3, exec_lo
	s_and_b32 s0, s0, exec_lo
	s_or_b32 s3, s1, s0
.LBB309_24:                             ;   in Loop: Header=BB309_10 Depth=1
	s_or_b32 exec_lo, exec_lo, s4
	s_delay_alu instid0(VALU_DEP_2)
	s_and_saveexec_b32 s0, s3
	s_cbranch_execz .LBB309_26
; %bb.25:                               ;   in Loop: Header=BB309_10 Depth=1
	s_waitcnt lgkmcnt(1)
	v_dual_mov_b32 v44, v48 :: v_dual_mov_b32 v45, v46
	s_waitcnt lgkmcnt(0)
	v_mov_b32_e32 v43, v47
.LBB309_26:                             ;   in Loop: Header=BB309_10 Depth=1
	s_or_b32 exec_lo, exec_lo, s0
	s_waitcnt lgkmcnt(1)
	ds_bpermute_b32 v48, v41, v45
	ds_bpermute_b32 v46, v41, v44
	s_waitcnt lgkmcnt(2)
	ds_bpermute_b32 v47, v41, v43
	s_mov_b32 s4, exec_lo
	s_waitcnt lgkmcnt(2)
	v_cmp_lt_f32_e64 s3, v45, v48
	v_cmpx_nlt_f32_e32 v45, v48
	s_cbranch_execnz .LBB309_30
; %bb.27:                               ;   in Loop: Header=BB309_10 Depth=1
	s_or_b32 exec_lo, exec_lo, s4
	s_delay_alu instid0(VALU_DEP_2)
	s_and_saveexec_b32 s0, s3
	s_cbranch_execnz .LBB309_31
.LBB309_28:                             ;   in Loop: Header=BB309_10 Depth=1
	s_or_b32 exec_lo, exec_lo, s0
	s_and_saveexec_b32 s3, s2
	s_cbranch_execnz .LBB309_32
.LBB309_29:                             ;   in Loop: Header=BB309_10 Depth=1
	s_or_b32 exec_lo, exec_lo, s3
	s_add_i32 s10, s10, 1
	s_delay_alu instid0(SALU_CYCLE_1)
	s_cmp_ge_i32 s10, s12
	s_cbranch_scc1 .LBB309_9
	s_branch .LBB309_33
.LBB309_30:                             ;   in Loop: Header=BB309_10 Depth=1
	v_cmp_eq_f32_e64 s0, v45, v48
	s_waitcnt lgkmcnt(0)
	v_cmp_lt_i32_e64 s1, v47, v43
	s_delay_alu instid0(VALU_DEP_1) | instskip(SKIP_2) | instid1(SALU_CYCLE_1)
	s_and_b32 s0, s0, s1
	s_and_not1_b32 s1, s3, exec_lo
	s_and_b32 s0, s0, exec_lo
	s_or_b32 s3, s1, s0
	s_or_b32 exec_lo, exec_lo, s4
	s_and_saveexec_b32 s0, s3
	s_cbranch_execz .LBB309_28
.LBB309_31:                             ;   in Loop: Header=BB309_10 Depth=1
	s_waitcnt lgkmcnt(0)
	v_dual_mov_b32 v43, v47 :: v_dual_mov_b32 v44, v46
	s_or_b32 exec_lo, exec_lo, s0
	s_and_saveexec_b32 s3, s2
	s_cbranch_execz .LBB309_29
.LBB309_32:                             ;   in Loop: Header=BB309_10 Depth=1
	s_delay_alu instid0(VALU_DEP_1)
	v_add_f32_e32 v53, v36, v44
	v_add_nc_u32_e32 v45, s10, v35
	v_subrev_nc_u32_e32 v49, s13, v43
	v_cmp_le_i32_e64 s0, s13, v43
	v_cmp_gt_i32_e64 s1, s14, v43
	v_cndmask_b32_e32 v36, v36, v53, vcc_lo
	s_waitcnt lgkmcnt(1)
	v_ashrrev_i32_e32 v46, 31, v45
	v_ashrrev_i32_e32 v50, 31, v49
	s_and_b32 s0, s0, s1
	s_waitcnt lgkmcnt(0)
	s_delay_alu instid0(VALU_DEP_2) | instskip(SKIP_2) | instid1(SALU_CYCLE_1)
	v_lshlrev_b64 v[47:48], 2, v[45:46]
	v_lshlrev_b64 v[45:46], 3, v[45:46]
	s_and_b32 s0, s23, s0
	v_cndmask_b32_e64 v50, 0, v50, s0
	v_cndmask_b32_e64 v49, 0x200, v49, s0
	s_delay_alu instid0(VALU_DEP_4) | instskip(NEXT) | instid1(VALU_DEP_1)
	v_add_co_u32 v51, s0, s20, v47
	v_add_co_ci_u32_e64 v52, s0, s21, v48, s0
	v_add_co_u32 v45, s0, s16, v45
	s_delay_alu instid0(VALU_DEP_1) | instskip(SKIP_1) | instid1(VALU_DEP_1)
	v_add_co_ci_u32_e64 v46, s0, s17, v46, s0
	v_add_co_u32 v47, s0, s18, v47
	v_add_co_ci_u32_e64 v48, s0, s19, v48, s0
	global_store_b32 v[51:52], v44, off
	global_store_b64 v[45:46], v[49:50], off
	global_store_b32 v[47:48], v42, off
	s_or_b32 exec_lo, exec_lo, s3
	s_add_i32 s10, s10, 1
	s_delay_alu instid0(SALU_CYCLE_1)
	s_cmp_ge_i32 s10, s12
	s_cbranch_scc1 .LBB309_9
.LBB309_33:                             ;   in Loop: Header=BB309_10 Depth=1
	v_ashrrev_i32_e32 v44, 31, v43
	s_mov_b32 s1, exec_lo
	s_delay_alu instid0(VALU_DEP_1) | instskip(NEXT) | instid1(VALU_DEP_1)
	v_lshrrev_b32_e32 v45, 29, v44
	v_add_nc_u32_e32 v45, v43, v45
	s_waitcnt lgkmcnt(1)
	s_delay_alu instid0(VALU_DEP_1) | instskip(SKIP_1) | instid1(VALU_DEP_2)
	v_ashrrev_i32_e32 v46, 31, v45
	v_ashrrev_i32_e32 v45, 3, v45
	v_lshrrev_b32_e32 v46, 27, v46
	s_delay_alu instid0(VALU_DEP_1) | instskip(NEXT) | instid1(VALU_DEP_1)
	v_add_nc_u32_e32 v46, v45, v46
	v_and_b32_e32 v46, 0xffffffe0, v46
	s_delay_alu instid0(VALU_DEP_1) | instskip(NEXT) | instid1(VALU_DEP_1)
	v_sub_nc_u32_e32 v46, v45, v46
	v_cmpx_eq_u32_e64 v33, v46
	s_cbranch_execz .LBB309_8
; %bb.34:                               ;   in Loop: Header=BB309_10 Depth=1
	v_lshrrev_b32_e32 v44, 24, v44
	v_lshlrev_b32_e32 v45, 3, v45
	s_delay_alu instid0(VALU_DEP_2) | instskip(NEXT) | instid1(VALU_DEP_2)
	v_add_nc_u32_e32 v44, v43, v44
	v_sub_nc_u32_e32 v43, v43, v45
	s_delay_alu instid0(VALU_DEP_2) | instskip(NEXT) | instid1(VALU_DEP_1)
	v_ashrrev_i32_e32 v44, 8, v44
	v_lshl_add_u32 v43, v44, 3, v43
	s_delay_alu instid0(VALU_DEP_1) | instskip(NEXT) | instid1(VALU_DEP_1)
	v_cmp_ne_u32_e64 s0, 15, v43
	v_cndmask_b32_e64 v31, 0xc61c4000, v31, s0
	v_cmp_ne_u32_e64 s0, 14, v43
	s_delay_alu instid0(VALU_DEP_1) | instskip(SKIP_1) | instid1(VALU_DEP_1)
	v_cndmask_b32_e64 v30, 0xc61c4000, v30, s0
	v_cmp_ne_u32_e64 s0, 13, v43
	v_cndmask_b32_e64 v29, 0xc61c4000, v29, s0
	v_cmp_ne_u32_e64 s0, 12, v43
	s_delay_alu instid0(VALU_DEP_1) | instskip(SKIP_1) | instid1(VALU_DEP_1)
	v_cndmask_b32_e64 v28, 0xc61c4000, v28, s0
	;; [unrolled: 5-line block ×7, first 2 shown]
	v_cmp_ne_u32_e64 s0, 1, v43
	v_cndmask_b32_e64 v17, 0xc61c4000, v17, s0
	v_cmp_ne_u32_e64 s0, 0, v43
	s_delay_alu instid0(VALU_DEP_1)
	v_cndmask_b32_e64 v16, 0xc61c4000, v16, s0
	s_branch .LBB309_8
.LBB309_35:
                                        ; implicit-def: $vgpr16_vgpr17_vgpr18_vgpr19_vgpr20_vgpr21_vgpr22_vgpr23_vgpr24_vgpr25_vgpr26_vgpr27_vgpr28_vgpr29_vgpr30_vgpr31
	s_and_not1_b32 vcc_lo, exec_lo, s17
	s_cbranch_vccz .LBB309_5
	s_branch .LBB309_6
.LBB309_36:
	v_mov_b32_e32 v36, 0
.LBB309_37:
	v_cmp_eq_u32_e64 s0, 0, v33
	s_delay_alu instid0(VALU_DEP_1) | instskip(NEXT) | instid1(SALU_CYCLE_1)
	s_and_b32 s0, s0, vcc_lo
	s_and_b32 exec_lo, exec_lo, s0
	s_cbranch_execz .LBB309_41
; %bb.38:
	s_and_not1_b32 vcc_lo, exec_lo, s9
	s_cbranch_vccnz .LBB309_41
; %bb.39:
	v_mul_lo_u32 v0, v32, s12
	v_cmp_lt_f32_e32 vcc_lo, 0, v36
	v_cndmask_b32_e32 v2, 1.0, v36, vcc_lo
	s_delay_alu instid0(VALU_DEP_3) | instskip(NEXT) | instid1(VALU_DEP_1)
	v_ashrrev_i32_e32 v1, 31, v0
	v_lshlrev_b64 v[0:1], 2, v[0:1]
	s_delay_alu instid0(VALU_DEP_1) | instskip(NEXT) | instid1(VALU_DEP_2)
	v_add_co_u32 v0, vcc_lo, s20, v0
	v_add_co_ci_u32_e32 v1, vcc_lo, s21, v1, vcc_lo
	.p2align	6
.LBB309_40:                             ; =>This Inner Loop Header: Depth=1
	global_load_b32 v3, v[0:1], off
	s_add_i32 s12, s12, -1
	s_delay_alu instid0(SALU_CYCLE_1) | instskip(SKIP_3) | instid1(VALU_DEP_2)
	s_cmp_lg_u32 s12, 0
	s_waitcnt vmcnt(0)
	v_div_scale_f32 v4, null, v2, v2, v3
	v_div_scale_f32 v7, vcc_lo, v3, v2, v3
	v_rcp_f32_e32 v5, v4
	s_waitcnt_depctr 0xfff
	v_fma_f32 v6, -v4, v5, 1.0
	s_delay_alu instid0(VALU_DEP_1) | instskip(NEXT) | instid1(VALU_DEP_1)
	v_fmac_f32_e32 v5, v6, v5
	v_mul_f32_e32 v6, v7, v5
	s_delay_alu instid0(VALU_DEP_1) | instskip(NEXT) | instid1(VALU_DEP_1)
	v_fma_f32 v8, -v4, v6, v7
	v_fmac_f32_e32 v6, v8, v5
	s_delay_alu instid0(VALU_DEP_1) | instskip(NEXT) | instid1(VALU_DEP_1)
	v_fma_f32 v4, -v4, v6, v7
	v_div_fmas_f32 v4, v4, v5, v6
	s_delay_alu instid0(VALU_DEP_1)
	v_div_fixup_f32 v3, v4, v2, v3
	global_store_b32 v[0:1], v3, off
	v_add_co_u32 v0, vcc_lo, v0, 4
	v_add_co_ci_u32_e32 v1, vcc_lo, 0, v1, vcc_lo
	s_cbranch_scc1 .LBB309_40
.LBB309_41:
	s_nop 0
	s_sendmsg sendmsg(MSG_DEALLOC_VGPRS)
	s_endpgm
	.section	.rodata,"a",@progbits
	.p2align	6, 0x0
	.amdhsa_kernel _ZN4vllm3moe10topkGatingILi16ELi512ELi4ELi16ELi32El6__halfLNS0_11ScoringFuncE1EEEvPKT5_PKbPfiPT4_PiiiibPKf
		.amdhsa_group_segment_fixed_size 0
		.amdhsa_private_segment_fixed_size 0
		.amdhsa_kernarg_size 72
		.amdhsa_user_sgpr_count 15
		.amdhsa_user_sgpr_dispatch_ptr 0
		.amdhsa_user_sgpr_queue_ptr 0
		.amdhsa_user_sgpr_kernarg_segment_ptr 1
		.amdhsa_user_sgpr_dispatch_id 0
		.amdhsa_user_sgpr_private_segment_size 0
		.amdhsa_wavefront_size32 1
		.amdhsa_uses_dynamic_stack 0
		.amdhsa_enable_private_segment 0
		.amdhsa_system_sgpr_workgroup_id_x 1
		.amdhsa_system_sgpr_workgroup_id_y 0
		.amdhsa_system_sgpr_workgroup_id_z 0
		.amdhsa_system_sgpr_workgroup_info 0
		.amdhsa_system_vgpr_workitem_id 1
		.amdhsa_next_free_vgpr 91
		.amdhsa_next_free_sgpr 24
		.amdhsa_reserve_vcc 1
		.amdhsa_float_round_mode_32 0
		.amdhsa_float_round_mode_16_64 0
		.amdhsa_float_denorm_mode_32 3
		.amdhsa_float_denorm_mode_16_64 3
		.amdhsa_dx10_clamp 1
		.amdhsa_ieee_mode 1
		.amdhsa_fp16_overflow 0
		.amdhsa_workgroup_processor_mode 1
		.amdhsa_memory_ordered 1
		.amdhsa_forward_progress 0
		.amdhsa_shared_vgpr_count 0
		.amdhsa_exception_fp_ieee_invalid_op 0
		.amdhsa_exception_fp_denorm_src 0
		.amdhsa_exception_fp_ieee_div_zero 0
		.amdhsa_exception_fp_ieee_overflow 0
		.amdhsa_exception_fp_ieee_underflow 0
		.amdhsa_exception_fp_ieee_inexact 0
		.amdhsa_exception_int_div_zero 0
	.end_amdhsa_kernel
	.section	.text._ZN4vllm3moe10topkGatingILi16ELi512ELi4ELi16ELi32El6__halfLNS0_11ScoringFuncE1EEEvPKT5_PKbPfiPT4_PiiiibPKf,"axG",@progbits,_ZN4vllm3moe10topkGatingILi16ELi512ELi4ELi16ELi32El6__halfLNS0_11ScoringFuncE1EEEvPKT5_PKbPfiPT4_PiiiibPKf,comdat
.Lfunc_end309:
	.size	_ZN4vllm3moe10topkGatingILi16ELi512ELi4ELi16ELi32El6__halfLNS0_11ScoringFuncE1EEEvPKT5_PKbPfiPT4_PiiiibPKf, .Lfunc_end309-_ZN4vllm3moe10topkGatingILi16ELi512ELi4ELi16ELi32El6__halfLNS0_11ScoringFuncE1EEEvPKT5_PKbPfiPT4_PiiiibPKf
                                        ; -- End function
	.section	.AMDGPU.csdata,"",@progbits
; Kernel info:
; codeLenInByte = 4828
; NumSgprs: 26
; NumVgprs: 91
; ScratchSize: 0
; MemoryBound: 0
; FloatMode: 240
; IeeeMode: 1
; LDSByteSize: 0 bytes/workgroup (compile time only)
; SGPRBlocks: 3
; VGPRBlocks: 11
; NumSGPRsForWavesPerEU: 26
; NumVGPRsForWavesPerEU: 91
; Occupancy: 16
; WaveLimiterHint : 1
; COMPUTE_PGM_RSRC2:SCRATCH_EN: 0
; COMPUTE_PGM_RSRC2:USER_SGPR: 15
; COMPUTE_PGM_RSRC2:TRAP_HANDLER: 0
; COMPUTE_PGM_RSRC2:TGID_X_EN: 1
; COMPUTE_PGM_RSRC2:TGID_Y_EN: 0
; COMPUTE_PGM_RSRC2:TGID_Z_EN: 0
; COMPUTE_PGM_RSRC2:TIDIG_COMP_CNT: 1
	.section	.text._ZN4vllm3moe10topkGatingILi1ELi1ELi4ELi2ELi64Ei14__hip_bfloat16LNS0_11ScoringFuncE1EEEvPKT5_PKbPfiPT4_PiiiibPKf,"axG",@progbits,_ZN4vllm3moe10topkGatingILi1ELi1ELi4ELi2ELi64Ei14__hip_bfloat16LNS0_11ScoringFuncE1EEEvPKT5_PKbPfiPT4_PiiiibPKf,comdat
	.protected	_ZN4vllm3moe10topkGatingILi1ELi1ELi4ELi2ELi64Ei14__hip_bfloat16LNS0_11ScoringFuncE1EEEvPKT5_PKbPfiPT4_PiiiibPKf ; -- Begin function _ZN4vllm3moe10topkGatingILi1ELi1ELi4ELi2ELi64Ei14__hip_bfloat16LNS0_11ScoringFuncE1EEEvPKT5_PKbPfiPT4_PiiiibPKf
	.globl	_ZN4vllm3moe10topkGatingILi1ELi1ELi4ELi2ELi64Ei14__hip_bfloat16LNS0_11ScoringFuncE1EEEvPKT5_PKbPfiPT4_PiiiibPKf
	.p2align	8
	.type	_ZN4vllm3moe10topkGatingILi1ELi1ELi4ELi2ELi64Ei14__hip_bfloat16LNS0_11ScoringFuncE1EEEvPKT5_PKbPfiPT4_PiiiibPKf,@function
_ZN4vllm3moe10topkGatingILi1ELi1ELi4ELi2ELi64Ei14__hip_bfloat16LNS0_11ScoringFuncE1EEEvPKT5_PKbPfiPT4_PiiiibPKf: ; @_ZN4vllm3moe10topkGatingILi1ELi1ELi4ELi2ELi64Ei14__hip_bfloat16LNS0_11ScoringFuncE1EEEvPKT5_PKbPfiPT4_PiiiibPKf
; %bb.0:
	s_load_b32 s3, s[0:1], 0x18
	v_bfe_u32 v1, v0, 10, 10
	v_and_b32_e32 v0, 0x3ff, v0
	s_lshl_b32 s2, s15, 8
	s_delay_alu instid0(VALU_DEP_2) | instskip(NEXT) | instid1(VALU_DEP_1)
	v_lshlrev_b32_e32 v1, 6, v1
	v_add3_u32 v0, v1, v0, s2
	s_mov_b32 s2, exec_lo
	s_waitcnt lgkmcnt(0)
	s_delay_alu instid0(VALU_DEP_1)
	v_cmpx_gt_i32_e64 s3, v0
	s_cbranch_execz .LBB310_12
; %bb.1:
	s_clause 0x1
	s_load_b128 s[8:11], s[0:1], 0x0
	s_load_b64 s[12:13], s[0:1], 0x10
	v_ashrrev_i32_e32 v1, 31, v0
	s_waitcnt lgkmcnt(0)
	s_cmp_eq_u64 s[10:11], 0
	s_cbranch_scc1 .LBB310_3
; %bb.2:
	v_add_co_u32 v2, vcc_lo, s10, v0
	v_add_co_ci_u32_e32 v3, vcc_lo, s11, v1, vcc_lo
	global_load_u8 v2, v[2:3], off
	s_waitcnt vmcnt(0)
	v_and_b32_e32 v2, 1, v2
	s_delay_alu instid0(VALU_DEP_1) | instskip(SKIP_1) | instid1(SALU_CYCLE_1)
	v_cmp_eq_u32_e32 vcc_lo, 1, v2
	s_xor_b32 s2, vcc_lo, -1
	s_or_not1_b32 s10, s2, exec_lo
	s_branch .LBB310_4
.LBB310_3:
	s_mov_b32 s10, -1
.LBB310_4:
	s_load_b128 s[4:7], s[0:1], 0x30
	s_waitcnt lgkmcnt(0)
	s_bitcmp1_b32 s7, 0
	s_cselect_b32 s2, -1, 0
	s_cmp_gt_i32 s4, 0
	s_cselect_b32 s7, -1, 0
	s_cmp_lt_i32 s4, 1
	s_cbranch_scc1 .LBB310_8
; %bb.5:
	v_lshlrev_b64 v[1:2], 1, v[0:1]
	s_load_b128 s[16:19], s[0:1], 0x20
	s_cmp_lt_i32 s5, 1
	v_mov_b32_e32 v7, 0
	s_cselect_b32 s0, -1, 0
	s_cmp_gt_i32 s6, 0
	v_add_co_u32 v1, vcc_lo, s8, v1
	v_add_co_ci_u32_e32 v2, vcc_lo, s9, v2, vcc_lo
	s_cselect_b32 s1, -1, 0
	s_delay_alu instid0(SALU_CYCLE_1) | instskip(SKIP_3) | instid1(SALU_CYCLE_1)
	s_and_b32 s0, s0, s1
	global_load_u16 v1, v[1:2], off
	s_sub_i32 s1, 0, s5
	s_and_b32 s0, s10, s0
	v_cndmask_b32_e64 v8, 1, s1, s0
	s_waitcnt vmcnt(0)
	v_lshlrev_b32_e32 v1, 16, v1
	s_delay_alu instid0(VALU_DEP_1) | instskip(NEXT) | instid1(VALU_DEP_1)
	v_mul_f32_e32 v1, 0xbfb8aa3b, v1
	v_exp_f32_e32 v1, v1
	s_waitcnt_depctr 0xfff
	v_add_f32_e32 v9, 1.0, v1
	s_delay_alu instid0(VALU_DEP_1) | instskip(NEXT) | instid1(VALU_DEP_1)
	v_div_scale_f32 v3, null, v9, v9, 1.0
	v_rcp_f32_e32 v4, v3
	s_waitcnt_depctr 0xfff
	v_fma_f32 v1, -v3, v4, 1.0
	s_delay_alu instid0(VALU_DEP_1) | instskip(SKIP_2) | instid1(VALU_DEP_2)
	v_fmac_f32_e32 v4, v1, v4
	v_div_scale_f32 v10, vcc_lo, 1.0, v9, 1.0
	v_mul_lo_u32 v1, v0, s4
	v_mul_f32_e32 v11, v10, v4
	s_delay_alu instid0(VALU_DEP_2) | instskip(NEXT) | instid1(VALU_DEP_2)
	v_ashrrev_i32_e32 v2, 31, v1
	v_fma_f32 v5, -v3, v11, v10
	s_delay_alu instid0(VALU_DEP_1) | instskip(NEXT) | instid1(VALU_DEP_3)
	v_fmac_f32_e32 v11, v5, v4
	v_lshlrev_b64 v[5:6], 2, v[1:2]
	s_delay_alu instid0(VALU_DEP_2) | instskip(NEXT) | instid1(VALU_DEP_2)
	v_fma_f32 v3, -v3, v11, v10
	v_add_co_u32 v1, s0, s12, v5
	s_delay_alu instid0(VALU_DEP_1) | instskip(NEXT) | instid1(VALU_DEP_3)
	v_add_co_ci_u32_e64 v2, s0, s13, v6, s0
	v_div_fmas_f32 v10, v3, v4, v11
	s_waitcnt lgkmcnt(0)
	v_add_co_u32 v3, vcc_lo, s16, v5
	v_add_co_ci_u32_e32 v4, vcc_lo, s17, v6, vcc_lo
	s_delay_alu instid0(VALU_DEP_3) | instskip(SKIP_2) | instid1(VALU_DEP_3)
	v_div_fixup_f32 v9, v10, v9, 1.0
	v_add_co_u32 v5, vcc_lo, s18, v5
	v_add_co_ci_u32_e32 v6, vcc_lo, s19, v6, vcc_lo
	v_cmp_class_f32_e64 vcc_lo, v9, 0x1f8
	v_mov_b32_e32 v10, v0
	s_mov_b32 s0, s4
	v_cndmask_b32_e32 v9, 0, v9, vcc_lo
	.p2align	6
.LBB310_6:                              ; =>This Inner Loop Header: Depth=1
	global_store_b32 v[1:2], v9, off
	global_store_b32 v[3:4], v8, off
	;; [unrolled: 1-line block ×3, first 2 shown]
	v_add_co_u32 v1, vcc_lo, v1, 4
	v_add_co_ci_u32_e32 v2, vcc_lo, 0, v2, vcc_lo
	v_dual_add_f32 v11, v7, v9 :: v_dual_add_nc_u32 v10, s3, v10
	v_add_co_u32 v3, vcc_lo, v3, 4
	v_add_co_ci_u32_e32 v4, vcc_lo, 0, v4, vcc_lo
	v_add_co_u32 v5, vcc_lo, v5, 4
	s_delay_alu instid0(VALU_DEP_4) | instskip(SKIP_2) | instid1(SALU_CYCLE_1)
	v_cndmask_b32_e64 v7, v7, v11, s2
	v_add_co_ci_u32_e32 v6, vcc_lo, 0, v6, vcc_lo
	s_add_i32 s0, s0, -1
	s_cmp_lg_u32 s0, 0
	s_cbranch_scc1 .LBB310_6
; %bb.7:
	s_and_not1_b32 vcc_lo, exec_lo, s2
	s_cbranch_vccz .LBB310_9
	s_branch .LBB310_12
.LBB310_8:
	v_mov_b32_e32 v7, 0
	s_and_not1_b32 vcc_lo, exec_lo, s2
	s_cbranch_vccnz .LBB310_12
.LBB310_9:
	s_and_not1_b32 vcc_lo, exec_lo, s7
	s_cbranch_vccnz .LBB310_12
; %bb.10:
	v_mul_lo_u32 v0, v0, s4
	v_cmp_lt_f32_e32 vcc_lo, 0, v7
	v_cndmask_b32_e32 v2, 1.0, v7, vcc_lo
	s_delay_alu instid0(VALU_DEP_3) | instskip(NEXT) | instid1(VALU_DEP_1)
	v_ashrrev_i32_e32 v1, 31, v0
	v_lshlrev_b64 v[0:1], 2, v[0:1]
	s_delay_alu instid0(VALU_DEP_1) | instskip(NEXT) | instid1(VALU_DEP_2)
	v_add_co_u32 v0, vcc_lo, s12, v0
	v_add_co_ci_u32_e32 v1, vcc_lo, s13, v1, vcc_lo
	.p2align	6
.LBB310_11:                             ; =>This Inner Loop Header: Depth=1
	global_load_b32 v3, v[0:1], off
	s_add_i32 s4, s4, -1
	s_delay_alu instid0(SALU_CYCLE_1) | instskip(SKIP_3) | instid1(VALU_DEP_2)
	s_cmp_lg_u32 s4, 0
	s_waitcnt vmcnt(0)
	v_div_scale_f32 v4, null, v2, v2, v3
	v_div_scale_f32 v7, vcc_lo, v3, v2, v3
	v_rcp_f32_e32 v5, v4
	s_waitcnt_depctr 0xfff
	v_fma_f32 v6, -v4, v5, 1.0
	s_delay_alu instid0(VALU_DEP_1) | instskip(NEXT) | instid1(VALU_DEP_1)
	v_fmac_f32_e32 v5, v6, v5
	v_mul_f32_e32 v6, v7, v5
	s_delay_alu instid0(VALU_DEP_1) | instskip(NEXT) | instid1(VALU_DEP_1)
	v_fma_f32 v8, -v4, v6, v7
	v_fmac_f32_e32 v6, v8, v5
	s_delay_alu instid0(VALU_DEP_1) | instskip(NEXT) | instid1(VALU_DEP_1)
	v_fma_f32 v4, -v4, v6, v7
	v_div_fmas_f32 v4, v4, v5, v6
	s_delay_alu instid0(VALU_DEP_1)
	v_div_fixup_f32 v3, v4, v2, v3
	global_store_b32 v[0:1], v3, off
	v_add_co_u32 v0, vcc_lo, v0, 4
	v_add_co_ci_u32_e32 v1, vcc_lo, 0, v1, vcc_lo
	s_cbranch_scc1 .LBB310_11
.LBB310_12:
	s_nop 0
	s_sendmsg sendmsg(MSG_DEALLOC_VGPRS)
	s_endpgm
	.section	.rodata,"a",@progbits
	.p2align	6, 0x0
	.amdhsa_kernel _ZN4vllm3moe10topkGatingILi1ELi1ELi4ELi2ELi64Ei14__hip_bfloat16LNS0_11ScoringFuncE1EEEvPKT5_PKbPfiPT4_PiiiibPKf
		.amdhsa_group_segment_fixed_size 0
		.amdhsa_private_segment_fixed_size 0
		.amdhsa_kernarg_size 72
		.amdhsa_user_sgpr_count 15
		.amdhsa_user_sgpr_dispatch_ptr 0
		.amdhsa_user_sgpr_queue_ptr 0
		.amdhsa_user_sgpr_kernarg_segment_ptr 1
		.amdhsa_user_sgpr_dispatch_id 0
		.amdhsa_user_sgpr_private_segment_size 0
		.amdhsa_wavefront_size32 1
		.amdhsa_uses_dynamic_stack 0
		.amdhsa_enable_private_segment 0
		.amdhsa_system_sgpr_workgroup_id_x 1
		.amdhsa_system_sgpr_workgroup_id_y 0
		.amdhsa_system_sgpr_workgroup_id_z 0
		.amdhsa_system_sgpr_workgroup_info 0
		.amdhsa_system_vgpr_workitem_id 1
		.amdhsa_next_free_vgpr 12
		.amdhsa_next_free_sgpr 20
		.amdhsa_reserve_vcc 1
		.amdhsa_float_round_mode_32 0
		.amdhsa_float_round_mode_16_64 0
		.amdhsa_float_denorm_mode_32 3
		.amdhsa_float_denorm_mode_16_64 3
		.amdhsa_dx10_clamp 1
		.amdhsa_ieee_mode 1
		.amdhsa_fp16_overflow 0
		.amdhsa_workgroup_processor_mode 1
		.amdhsa_memory_ordered 1
		.amdhsa_forward_progress 0
		.amdhsa_shared_vgpr_count 0
		.amdhsa_exception_fp_ieee_invalid_op 0
		.amdhsa_exception_fp_denorm_src 0
		.amdhsa_exception_fp_ieee_div_zero 0
		.amdhsa_exception_fp_ieee_overflow 0
		.amdhsa_exception_fp_ieee_underflow 0
		.amdhsa_exception_fp_ieee_inexact 0
		.amdhsa_exception_int_div_zero 0
	.end_amdhsa_kernel
	.section	.text._ZN4vllm3moe10topkGatingILi1ELi1ELi4ELi2ELi64Ei14__hip_bfloat16LNS0_11ScoringFuncE1EEEvPKT5_PKbPfiPT4_PiiiibPKf,"axG",@progbits,_ZN4vllm3moe10topkGatingILi1ELi1ELi4ELi2ELi64Ei14__hip_bfloat16LNS0_11ScoringFuncE1EEEvPKT5_PKbPfiPT4_PiiiibPKf,comdat
.Lfunc_end310:
	.size	_ZN4vllm3moe10topkGatingILi1ELi1ELi4ELi2ELi64Ei14__hip_bfloat16LNS0_11ScoringFuncE1EEEvPKT5_PKbPfiPT4_PiiiibPKf, .Lfunc_end310-_ZN4vllm3moe10topkGatingILi1ELi1ELi4ELi2ELi64Ei14__hip_bfloat16LNS0_11ScoringFuncE1EEEvPKT5_PKbPfiPT4_PiiiibPKf
                                        ; -- End function
	.section	.AMDGPU.csdata,"",@progbits
; Kernel info:
; codeLenInByte = 820
; NumSgprs: 22
; NumVgprs: 12
; ScratchSize: 0
; MemoryBound: 0
; FloatMode: 240
; IeeeMode: 1
; LDSByteSize: 0 bytes/workgroup (compile time only)
; SGPRBlocks: 2
; VGPRBlocks: 1
; NumSGPRsForWavesPerEU: 22
; NumVGPRsForWavesPerEU: 12
; Occupancy: 16
; WaveLimiterHint : 0
; COMPUTE_PGM_RSRC2:SCRATCH_EN: 0
; COMPUTE_PGM_RSRC2:USER_SGPR: 15
; COMPUTE_PGM_RSRC2:TRAP_HANDLER: 0
; COMPUTE_PGM_RSRC2:TGID_X_EN: 1
; COMPUTE_PGM_RSRC2:TGID_Y_EN: 0
; COMPUTE_PGM_RSRC2:TGID_Z_EN: 0
; COMPUTE_PGM_RSRC2:TIDIG_COMP_CNT: 1
	.section	.text._ZN4vllm3moe10topkGatingILi1ELi1ELi4ELi2ELi32Ei14__hip_bfloat16LNS0_11ScoringFuncE1EEEvPKT5_PKbPfiPT4_PiiiibPKf,"axG",@progbits,_ZN4vllm3moe10topkGatingILi1ELi1ELi4ELi2ELi32Ei14__hip_bfloat16LNS0_11ScoringFuncE1EEEvPKT5_PKbPfiPT4_PiiiibPKf,comdat
	.protected	_ZN4vllm3moe10topkGatingILi1ELi1ELi4ELi2ELi32Ei14__hip_bfloat16LNS0_11ScoringFuncE1EEEvPKT5_PKbPfiPT4_PiiiibPKf ; -- Begin function _ZN4vllm3moe10topkGatingILi1ELi1ELi4ELi2ELi32Ei14__hip_bfloat16LNS0_11ScoringFuncE1EEEvPKT5_PKbPfiPT4_PiiiibPKf
	.globl	_ZN4vllm3moe10topkGatingILi1ELi1ELi4ELi2ELi32Ei14__hip_bfloat16LNS0_11ScoringFuncE1EEEvPKT5_PKbPfiPT4_PiiiibPKf
	.p2align	8
	.type	_ZN4vllm3moe10topkGatingILi1ELi1ELi4ELi2ELi32Ei14__hip_bfloat16LNS0_11ScoringFuncE1EEEvPKT5_PKbPfiPT4_PiiiibPKf,@function
_ZN4vllm3moe10topkGatingILi1ELi1ELi4ELi2ELi32Ei14__hip_bfloat16LNS0_11ScoringFuncE1EEEvPKT5_PKbPfiPT4_PiiiibPKf: ; @_ZN4vllm3moe10topkGatingILi1ELi1ELi4ELi2ELi32Ei14__hip_bfloat16LNS0_11ScoringFuncE1EEEvPKT5_PKbPfiPT4_PiiiibPKf
; %bb.0:
	s_load_b32 s3, s[0:1], 0x18
	v_bfe_u32 v1, v0, 10, 10
	v_and_b32_e32 v0, 0x3ff, v0
	s_lshl_b32 s2, s15, 7
	s_delay_alu instid0(VALU_DEP_2) | instskip(NEXT) | instid1(VALU_DEP_1)
	v_lshlrev_b32_e32 v1, 5, v1
	v_add3_u32 v0, v1, v0, s2
	s_mov_b32 s2, exec_lo
	s_waitcnt lgkmcnt(0)
	s_delay_alu instid0(VALU_DEP_1)
	v_cmpx_gt_i32_e64 s3, v0
	s_cbranch_execz .LBB311_12
; %bb.1:
	s_clause 0x1
	s_load_b128 s[8:11], s[0:1], 0x0
	s_load_b64 s[12:13], s[0:1], 0x10
	v_ashrrev_i32_e32 v1, 31, v0
	s_waitcnt lgkmcnt(0)
	s_cmp_eq_u64 s[10:11], 0
	s_cbranch_scc1 .LBB311_3
; %bb.2:
	v_add_co_u32 v2, vcc_lo, s10, v0
	v_add_co_ci_u32_e32 v3, vcc_lo, s11, v1, vcc_lo
	global_load_u8 v2, v[2:3], off
	s_waitcnt vmcnt(0)
	v_and_b32_e32 v2, 1, v2
	s_delay_alu instid0(VALU_DEP_1) | instskip(SKIP_1) | instid1(SALU_CYCLE_1)
	v_cmp_eq_u32_e32 vcc_lo, 1, v2
	s_xor_b32 s2, vcc_lo, -1
	s_or_not1_b32 s10, s2, exec_lo
	s_branch .LBB311_4
.LBB311_3:
	s_mov_b32 s10, -1
.LBB311_4:
	s_load_b128 s[4:7], s[0:1], 0x30
	s_waitcnt lgkmcnt(0)
	s_bitcmp1_b32 s7, 0
	s_cselect_b32 s2, -1, 0
	s_cmp_gt_i32 s4, 0
	s_cselect_b32 s7, -1, 0
	s_cmp_lt_i32 s4, 1
	s_cbranch_scc1 .LBB311_8
; %bb.5:
	v_lshlrev_b64 v[1:2], 1, v[0:1]
	s_load_b128 s[16:19], s[0:1], 0x20
	s_cmp_lt_i32 s5, 1
	v_mov_b32_e32 v7, 0
	s_cselect_b32 s0, -1, 0
	s_cmp_gt_i32 s6, 0
	v_add_co_u32 v1, vcc_lo, s8, v1
	v_add_co_ci_u32_e32 v2, vcc_lo, s9, v2, vcc_lo
	s_cselect_b32 s1, -1, 0
	s_delay_alu instid0(SALU_CYCLE_1) | instskip(SKIP_3) | instid1(SALU_CYCLE_1)
	s_and_b32 s0, s0, s1
	global_load_u16 v1, v[1:2], off
	s_sub_i32 s1, 0, s5
	s_and_b32 s0, s10, s0
	v_cndmask_b32_e64 v8, 1, s1, s0
	s_waitcnt vmcnt(0)
	v_lshlrev_b32_e32 v1, 16, v1
	s_delay_alu instid0(VALU_DEP_1) | instskip(NEXT) | instid1(VALU_DEP_1)
	v_mul_f32_e32 v1, 0xbfb8aa3b, v1
	v_exp_f32_e32 v1, v1
	s_waitcnt_depctr 0xfff
	v_add_f32_e32 v9, 1.0, v1
	s_delay_alu instid0(VALU_DEP_1) | instskip(NEXT) | instid1(VALU_DEP_1)
	v_div_scale_f32 v3, null, v9, v9, 1.0
	v_rcp_f32_e32 v4, v3
	s_waitcnt_depctr 0xfff
	v_fma_f32 v1, -v3, v4, 1.0
	s_delay_alu instid0(VALU_DEP_1) | instskip(SKIP_2) | instid1(VALU_DEP_2)
	v_fmac_f32_e32 v4, v1, v4
	v_div_scale_f32 v10, vcc_lo, 1.0, v9, 1.0
	v_mul_lo_u32 v1, v0, s4
	v_mul_f32_e32 v11, v10, v4
	s_delay_alu instid0(VALU_DEP_2) | instskip(NEXT) | instid1(VALU_DEP_2)
	v_ashrrev_i32_e32 v2, 31, v1
	v_fma_f32 v5, -v3, v11, v10
	s_delay_alu instid0(VALU_DEP_1) | instskip(NEXT) | instid1(VALU_DEP_3)
	v_fmac_f32_e32 v11, v5, v4
	v_lshlrev_b64 v[5:6], 2, v[1:2]
	s_delay_alu instid0(VALU_DEP_2) | instskip(NEXT) | instid1(VALU_DEP_2)
	v_fma_f32 v3, -v3, v11, v10
	v_add_co_u32 v1, s0, s12, v5
	s_delay_alu instid0(VALU_DEP_1) | instskip(NEXT) | instid1(VALU_DEP_3)
	v_add_co_ci_u32_e64 v2, s0, s13, v6, s0
	v_div_fmas_f32 v10, v3, v4, v11
	s_waitcnt lgkmcnt(0)
	v_add_co_u32 v3, vcc_lo, s16, v5
	v_add_co_ci_u32_e32 v4, vcc_lo, s17, v6, vcc_lo
	s_delay_alu instid0(VALU_DEP_3) | instskip(SKIP_2) | instid1(VALU_DEP_3)
	v_div_fixup_f32 v9, v10, v9, 1.0
	v_add_co_u32 v5, vcc_lo, s18, v5
	v_add_co_ci_u32_e32 v6, vcc_lo, s19, v6, vcc_lo
	v_cmp_class_f32_e64 vcc_lo, v9, 0x1f8
	v_mov_b32_e32 v10, v0
	s_mov_b32 s0, s4
	v_cndmask_b32_e32 v9, 0, v9, vcc_lo
	.p2align	6
.LBB311_6:                              ; =>This Inner Loop Header: Depth=1
	global_store_b32 v[1:2], v9, off
	global_store_b32 v[3:4], v8, off
	;; [unrolled: 1-line block ×3, first 2 shown]
	v_add_co_u32 v1, vcc_lo, v1, 4
	v_add_co_ci_u32_e32 v2, vcc_lo, 0, v2, vcc_lo
	v_dual_add_f32 v11, v7, v9 :: v_dual_add_nc_u32 v10, s3, v10
	v_add_co_u32 v3, vcc_lo, v3, 4
	v_add_co_ci_u32_e32 v4, vcc_lo, 0, v4, vcc_lo
	v_add_co_u32 v5, vcc_lo, v5, 4
	s_delay_alu instid0(VALU_DEP_4) | instskip(SKIP_2) | instid1(SALU_CYCLE_1)
	v_cndmask_b32_e64 v7, v7, v11, s2
	v_add_co_ci_u32_e32 v6, vcc_lo, 0, v6, vcc_lo
	s_add_i32 s0, s0, -1
	s_cmp_lg_u32 s0, 0
	s_cbranch_scc1 .LBB311_6
; %bb.7:
	s_and_not1_b32 vcc_lo, exec_lo, s2
	s_cbranch_vccz .LBB311_9
	s_branch .LBB311_12
.LBB311_8:
	v_mov_b32_e32 v7, 0
	s_and_not1_b32 vcc_lo, exec_lo, s2
	s_cbranch_vccnz .LBB311_12
.LBB311_9:
	s_and_not1_b32 vcc_lo, exec_lo, s7
	s_cbranch_vccnz .LBB311_12
; %bb.10:
	v_mul_lo_u32 v0, v0, s4
	v_cmp_lt_f32_e32 vcc_lo, 0, v7
	v_cndmask_b32_e32 v2, 1.0, v7, vcc_lo
	s_delay_alu instid0(VALU_DEP_3) | instskip(NEXT) | instid1(VALU_DEP_1)
	v_ashrrev_i32_e32 v1, 31, v0
	v_lshlrev_b64 v[0:1], 2, v[0:1]
	s_delay_alu instid0(VALU_DEP_1) | instskip(NEXT) | instid1(VALU_DEP_2)
	v_add_co_u32 v0, vcc_lo, s12, v0
	v_add_co_ci_u32_e32 v1, vcc_lo, s13, v1, vcc_lo
	.p2align	6
.LBB311_11:                             ; =>This Inner Loop Header: Depth=1
	global_load_b32 v3, v[0:1], off
	s_add_i32 s4, s4, -1
	s_delay_alu instid0(SALU_CYCLE_1) | instskip(SKIP_3) | instid1(VALU_DEP_2)
	s_cmp_lg_u32 s4, 0
	s_waitcnt vmcnt(0)
	v_div_scale_f32 v4, null, v2, v2, v3
	v_div_scale_f32 v7, vcc_lo, v3, v2, v3
	v_rcp_f32_e32 v5, v4
	s_waitcnt_depctr 0xfff
	v_fma_f32 v6, -v4, v5, 1.0
	s_delay_alu instid0(VALU_DEP_1) | instskip(NEXT) | instid1(VALU_DEP_1)
	v_fmac_f32_e32 v5, v6, v5
	v_mul_f32_e32 v6, v7, v5
	s_delay_alu instid0(VALU_DEP_1) | instskip(NEXT) | instid1(VALU_DEP_1)
	v_fma_f32 v8, -v4, v6, v7
	v_fmac_f32_e32 v6, v8, v5
	s_delay_alu instid0(VALU_DEP_1) | instskip(NEXT) | instid1(VALU_DEP_1)
	v_fma_f32 v4, -v4, v6, v7
	v_div_fmas_f32 v4, v4, v5, v6
	s_delay_alu instid0(VALU_DEP_1)
	v_div_fixup_f32 v3, v4, v2, v3
	global_store_b32 v[0:1], v3, off
	v_add_co_u32 v0, vcc_lo, v0, 4
	v_add_co_ci_u32_e32 v1, vcc_lo, 0, v1, vcc_lo
	s_cbranch_scc1 .LBB311_11
.LBB311_12:
	s_nop 0
	s_sendmsg sendmsg(MSG_DEALLOC_VGPRS)
	s_endpgm
	.section	.rodata,"a",@progbits
	.p2align	6, 0x0
	.amdhsa_kernel _ZN4vllm3moe10topkGatingILi1ELi1ELi4ELi2ELi32Ei14__hip_bfloat16LNS0_11ScoringFuncE1EEEvPKT5_PKbPfiPT4_PiiiibPKf
		.amdhsa_group_segment_fixed_size 0
		.amdhsa_private_segment_fixed_size 0
		.amdhsa_kernarg_size 72
		.amdhsa_user_sgpr_count 15
		.amdhsa_user_sgpr_dispatch_ptr 0
		.amdhsa_user_sgpr_queue_ptr 0
		.amdhsa_user_sgpr_kernarg_segment_ptr 1
		.amdhsa_user_sgpr_dispatch_id 0
		.amdhsa_user_sgpr_private_segment_size 0
		.amdhsa_wavefront_size32 1
		.amdhsa_uses_dynamic_stack 0
		.amdhsa_enable_private_segment 0
		.amdhsa_system_sgpr_workgroup_id_x 1
		.amdhsa_system_sgpr_workgroup_id_y 0
		.amdhsa_system_sgpr_workgroup_id_z 0
		.amdhsa_system_sgpr_workgroup_info 0
		.amdhsa_system_vgpr_workitem_id 1
		.amdhsa_next_free_vgpr 12
		.amdhsa_next_free_sgpr 20
		.amdhsa_reserve_vcc 1
		.amdhsa_float_round_mode_32 0
		.amdhsa_float_round_mode_16_64 0
		.amdhsa_float_denorm_mode_32 3
		.amdhsa_float_denorm_mode_16_64 3
		.amdhsa_dx10_clamp 1
		.amdhsa_ieee_mode 1
		.amdhsa_fp16_overflow 0
		.amdhsa_workgroup_processor_mode 1
		.amdhsa_memory_ordered 1
		.amdhsa_forward_progress 0
		.amdhsa_shared_vgpr_count 0
		.amdhsa_exception_fp_ieee_invalid_op 0
		.amdhsa_exception_fp_denorm_src 0
		.amdhsa_exception_fp_ieee_div_zero 0
		.amdhsa_exception_fp_ieee_overflow 0
		.amdhsa_exception_fp_ieee_underflow 0
		.amdhsa_exception_fp_ieee_inexact 0
		.amdhsa_exception_int_div_zero 0
	.end_amdhsa_kernel
	.section	.text._ZN4vllm3moe10topkGatingILi1ELi1ELi4ELi2ELi32Ei14__hip_bfloat16LNS0_11ScoringFuncE1EEEvPKT5_PKbPfiPT4_PiiiibPKf,"axG",@progbits,_ZN4vllm3moe10topkGatingILi1ELi1ELi4ELi2ELi32Ei14__hip_bfloat16LNS0_11ScoringFuncE1EEEvPKT5_PKbPfiPT4_PiiiibPKf,comdat
.Lfunc_end311:
	.size	_ZN4vllm3moe10topkGatingILi1ELi1ELi4ELi2ELi32Ei14__hip_bfloat16LNS0_11ScoringFuncE1EEEvPKT5_PKbPfiPT4_PiiiibPKf, .Lfunc_end311-_ZN4vllm3moe10topkGatingILi1ELi1ELi4ELi2ELi32Ei14__hip_bfloat16LNS0_11ScoringFuncE1EEEvPKT5_PKbPfiPT4_PiiiibPKf
                                        ; -- End function
	.section	.AMDGPU.csdata,"",@progbits
; Kernel info:
; codeLenInByte = 820
; NumSgprs: 22
; NumVgprs: 12
; ScratchSize: 0
; MemoryBound: 0
; FloatMode: 240
; IeeeMode: 1
; LDSByteSize: 0 bytes/workgroup (compile time only)
; SGPRBlocks: 2
; VGPRBlocks: 1
; NumSGPRsForWavesPerEU: 22
; NumVGPRsForWavesPerEU: 12
; Occupancy: 16
; WaveLimiterHint : 0
; COMPUTE_PGM_RSRC2:SCRATCH_EN: 0
; COMPUTE_PGM_RSRC2:USER_SGPR: 15
; COMPUTE_PGM_RSRC2:TRAP_HANDLER: 0
; COMPUTE_PGM_RSRC2:TGID_X_EN: 1
; COMPUTE_PGM_RSRC2:TGID_Y_EN: 0
; COMPUTE_PGM_RSRC2:TGID_Z_EN: 0
; COMPUTE_PGM_RSRC2:TIDIG_COMP_CNT: 1
	.section	.text._ZN4vllm3moe10topkGatingILi2ELi2ELi4ELi4ELi64Ei14__hip_bfloat16LNS0_11ScoringFuncE1EEEvPKT5_PKbPfiPT4_PiiiibPKf,"axG",@progbits,_ZN4vllm3moe10topkGatingILi2ELi2ELi4ELi4ELi64Ei14__hip_bfloat16LNS0_11ScoringFuncE1EEEvPKT5_PKbPfiPT4_PiiiibPKf,comdat
	.protected	_ZN4vllm3moe10topkGatingILi2ELi2ELi4ELi4ELi64Ei14__hip_bfloat16LNS0_11ScoringFuncE1EEEvPKT5_PKbPfiPT4_PiiiibPKf ; -- Begin function _ZN4vllm3moe10topkGatingILi2ELi2ELi4ELi4ELi64Ei14__hip_bfloat16LNS0_11ScoringFuncE1EEEvPKT5_PKbPfiPT4_PiiiibPKf
	.globl	_ZN4vllm3moe10topkGatingILi2ELi2ELi4ELi4ELi64Ei14__hip_bfloat16LNS0_11ScoringFuncE1EEEvPKT5_PKbPfiPT4_PiiiibPKf
	.p2align	8
	.type	_ZN4vllm3moe10topkGatingILi2ELi2ELi4ELi4ELi64Ei14__hip_bfloat16LNS0_11ScoringFuncE1EEEvPKT5_PKbPfiPT4_PiiiibPKf,@function
_ZN4vllm3moe10topkGatingILi2ELi2ELi4ELi4ELi64Ei14__hip_bfloat16LNS0_11ScoringFuncE1EEEvPKT5_PKbPfiPT4_PiiiibPKf: ; @_ZN4vllm3moe10topkGatingILi2ELi2ELi4ELi4ELi64Ei14__hip_bfloat16LNS0_11ScoringFuncE1EEEvPKT5_PKbPfiPT4_PiiiibPKf
; %bb.0:
	s_load_b32 s3, s[0:1], 0x18
	v_bfe_u32 v1, v0, 10, 10
	v_and_b32_e32 v0, 0x3ff, v0
	s_lshl_b32 s2, s15, 8
	s_delay_alu instid0(VALU_DEP_2) | instskip(NEXT) | instid1(VALU_DEP_1)
	v_lshlrev_b32_e32 v1, 6, v1
	v_add3_u32 v10, v1, v0, s2
	s_mov_b32 s2, exec_lo
	s_waitcnt lgkmcnt(0)
	s_delay_alu instid0(VALU_DEP_1)
	v_cmpx_gt_i32_e64 s3, v10
	s_cbranch_execz .LBB312_14
; %bb.1:
	s_clause 0x1
	s_load_b128 s[4:7], s[0:1], 0x0
	s_load_b64 s[8:9], s[0:1], 0x10
	s_waitcnt lgkmcnt(0)
	s_cmp_eq_u64 s[6:7], 0
	s_cbranch_scc1 .LBB312_3
; %bb.2:
	v_ashrrev_i32_e32 v1, 31, v10
	v_add_co_u32 v0, vcc_lo, s6, v10
	s_delay_alu instid0(VALU_DEP_2) | instskip(SKIP_3) | instid1(VALU_DEP_1)
	v_add_co_ci_u32_e32 v1, vcc_lo, s7, v1, vcc_lo
	global_load_u8 v0, v[0:1], off
	s_waitcnt vmcnt(0)
	v_and_b32_e32 v0, 1, v0
	v_cmp_eq_u32_e32 vcc_lo, 1, v0
	s_xor_b32 s2, vcc_lo, -1
	s_delay_alu instid0(SALU_CYCLE_1)
	s_or_not1_b32 s10, s2, exec_lo
	s_branch .LBB312_4
.LBB312_3:
	s_mov_b32 s10, -1
.LBB312_4:
	v_lshlrev_b32_e32 v0, 1, v10
	s_delay_alu instid0(VALU_DEP_1) | instskip(NEXT) | instid1(VALU_DEP_1)
	v_ashrrev_i32_e32 v1, 31, v0
	v_lshlrev_b64 v[0:1], 1, v[0:1]
	s_delay_alu instid0(VALU_DEP_1) | instskip(NEXT) | instid1(VALU_DEP_2)
	v_add_co_u32 v0, vcc_lo, s4, v0
	v_add_co_ci_u32_e32 v1, vcc_lo, s5, v1, vcc_lo
	s_load_b64 s[4:5], s[0:1], 0x40
	global_load_b32 v0, v[0:1], off
	s_waitcnt lgkmcnt(0)
	s_cmp_eq_u64 s[4:5], 0
	s_waitcnt vmcnt(0)
	v_lshlrev_b32_e32 v1, 16, v0
	s_delay_alu instid0(VALU_DEP_1) | instskip(NEXT) | instid1(VALU_DEP_1)
	v_mul_f32_e32 v1, 0xbfb8aa3b, v1
	v_exp_f32_e32 v1, v1
	s_waitcnt_depctr 0xfff
	v_dual_add_f32 v1, 1.0, v1 :: v_dual_and_b32 v0, 0xffff0000, v0
	s_delay_alu instid0(VALU_DEP_1) | instskip(NEXT) | instid1(VALU_DEP_2)
	v_mul_f32_e32 v0, 0xbfb8aa3b, v0
	v_div_scale_f32 v2, null, v1, v1, 1.0
	s_delay_alu instid0(VALU_DEP_2) | instskip(SKIP_1) | instid1(VALU_DEP_2)
	v_exp_f32_e32 v0, v0
	v_div_scale_f32 v8, vcc_lo, 1.0, v1, 1.0
	v_rcp_f32_e32 v4, v2
	s_waitcnt_depctr 0xfff
	v_add_f32_e32 v0, 1.0, v0
	v_fma_f32 v6, -v2, v4, 1.0
	s_delay_alu instid0(VALU_DEP_2) | instskip(NEXT) | instid1(VALU_DEP_1)
	v_div_scale_f32 v3, null, v0, v0, 1.0
	v_rcp_f32_e32 v5, v3
	s_waitcnt_depctr 0xfff
	v_fma_f32 v7, -v3, v5, 1.0
	s_delay_alu instid0(VALU_DEP_1) | instskip(SKIP_1) | instid1(VALU_DEP_1)
	v_dual_fmac_f32 v5, v7, v5 :: v_dual_fmac_f32 v4, v6, v4
	v_div_scale_f32 v6, s2, 1.0, v0, 1.0
	v_mul_f32_e32 v9, v6, v5
	s_delay_alu instid0(VALU_DEP_1) | instskip(NEXT) | instid1(VALU_DEP_1)
	v_fma_f32 v12, -v3, v9, v6
	v_fmac_f32_e32 v9, v12, v5
	v_mul_f32_e32 v7, v8, v4
	s_delay_alu instid0(VALU_DEP_2) | instskip(NEXT) | instid1(VALU_DEP_2)
	v_fma_f32 v3, -v3, v9, v6
	v_fma_f32 v11, -v2, v7, v8
	s_delay_alu instid0(VALU_DEP_1) | instskip(NEXT) | instid1(VALU_DEP_1)
	v_fmac_f32_e32 v7, v11, v4
	v_fma_f32 v2, -v2, v7, v8
	s_delay_alu instid0(VALU_DEP_1) | instskip(SKIP_2) | instid1(VALU_DEP_2)
	v_div_fmas_f32 v2, v2, v4, v7
	s_mov_b32 vcc_lo, s2
	v_div_fmas_f32 v3, v3, v5, v9
	v_div_fixup_f32 v1, v2, v1, 1.0
	s_delay_alu instid0(VALU_DEP_2) | instskip(NEXT) | instid1(VALU_DEP_2)
	v_div_fixup_f32 v2, v3, v0, 1.0
	v_cmp_class_f32_e64 vcc_lo, v1, 0x1f8
	v_cndmask_b32_e32 v0, 0, v1, vcc_lo
	s_delay_alu instid0(VALU_DEP_3) | instskip(SKIP_1) | instid1(VALU_DEP_1)
	v_cmp_class_f32_e64 vcc_lo, v2, 0x1f8
	v_cndmask_b32_e32 v1, 0, v2, vcc_lo
	v_dual_mov_b32 v3, v1 :: v_dual_mov_b32 v2, v0
	s_cbranch_scc1 .LBB312_6
; %bb.5:
	s_load_b64 s[4:5], s[4:5], 0x0
	s_waitcnt lgkmcnt(0)
	v_dual_add_f32 v2, s4, v0 :: v_dual_add_f32 v3, s5, v1
.LBB312_6:
	s_load_b128 s[4:7], s[0:1], 0x30
	s_waitcnt lgkmcnt(0)
	s_bitcmp1_b32 s7, 0
	s_cselect_b32 vcc_lo, -1, 0
	s_cmp_gt_i32 s4, 0
	s_cselect_b32 s7, -1, 0
	s_cmp_lt_i32 s4, 1
	s_cbranch_scc1 .LBB312_10
; %bb.7:
	v_mul_lo_u32 v4, v10, s4
	s_load_b128 s[12:15], s[0:1], 0x20
	v_dual_mov_b32 v11, 0 :: v_dual_mov_b32 v12, v10
	s_mov_b32 s11, 0
	s_delay_alu instid0(VALU_DEP_2) | instskip(NEXT) | instid1(VALU_DEP_1)
	v_ashrrev_i32_e32 v5, 31, v4
	v_lshlrev_b64 v[8:9], 2, v[4:5]
	s_delay_alu instid0(VALU_DEP_1) | instskip(NEXT) | instid1(VALU_DEP_1)
	v_add_co_u32 v4, s0, s8, v8
	v_add_co_ci_u32_e64 v5, s0, s9, v9, s0
	s_waitcnt lgkmcnt(0)
	v_add_co_u32 v6, s0, s12, v8
	s_delay_alu instid0(VALU_DEP_1) | instskip(SKIP_1) | instid1(VALU_DEP_1)
	v_add_co_ci_u32_e64 v7, s0, s13, v9, s0
	v_add_co_u32 v8, s0, s14, v8
	v_add_co_ci_u32_e64 v9, s0, s15, v9, s0
.LBB312_8:                              ; =>This Inner Loop Header: Depth=1
	v_cmp_gt_f32_e64 s0, v3, v2
	s_add_i32 s11, s11, 1
	s_delay_alu instid0(VALU_DEP_1) | instskip(SKIP_3) | instid1(VALU_DEP_4)
	v_cndmask_b32_e64 v13, 0, 1, s0
	v_cndmask_b32_e64 v14, v0, v1, s0
	v_cndmask_b32_e64 v15, 0xc61c4000, v2, s0
	v_cndmask_b32_e64 v17, v3, 0xc61c4000, s0
	v_cmp_le_i32_e64 s1, s5, v13
	v_cmp_gt_i32_e64 s2, s6, v13
	v_subrev_nc_u32_e32 v13, s5, v13
	global_store_b32 v[4:5], v14, off
	v_add_f32_e32 v16, v11, v14
	s_and_b32 s1, s1, s2
	s_delay_alu instid0(SALU_CYCLE_1)
	s_and_b32 s1, s10, s1
	s_cmp_lt_i32 s11, s4
	v_cndmask_b32_e64 v13, 2, v13, s1
	s_cselect_b32 s0, -1, 0
	v_cndmask_b32_e32 v11, v11, v16, vcc_lo
	v_cndmask_b32_e64 v3, v3, v17, s0
	v_cndmask_b32_e64 v2, v2, v15, s0
	v_add_co_u32 v4, s0, v4, 4
	s_delay_alu instid0(VALU_DEP_1) | instskip(SKIP_3) | instid1(VALU_DEP_1)
	v_add_co_ci_u32_e64 v5, s0, 0, v5, s0
	global_store_b32 v[6:7], v13, off
	global_store_b32 v[8:9], v12, off
	v_add_co_u32 v6, s0, v6, 4
	v_add_co_ci_u32_e64 v7, s0, 0, v7, s0
	v_add_co_u32 v8, s0, v8, 4
	v_add_nc_u32_e32 v12, s3, v12
	v_add_co_ci_u32_e64 v9, s0, 0, v9, s0
	s_cmp_eq_u32 s4, s11
	s_cbranch_scc0 .LBB312_8
; %bb.9:
	s_and_b32 vcc_lo, exec_lo, vcc_lo
	s_cbranch_vccnz .LBB312_11
	s_branch .LBB312_14
.LBB312_10:
	v_mov_b32_e32 v11, 0
	s_and_b32 vcc_lo, exec_lo, vcc_lo
	s_cbranch_vccz .LBB312_14
.LBB312_11:
	s_and_not1_b32 vcc_lo, exec_lo, s7
	s_cbranch_vccnz .LBB312_14
; %bb.12:
	v_mul_lo_u32 v0, v10, s4
	v_cmp_lt_f32_e32 vcc_lo, 0, v11
	v_cndmask_b32_e32 v2, 1.0, v11, vcc_lo
	s_delay_alu instid0(VALU_DEP_3) | instskip(NEXT) | instid1(VALU_DEP_1)
	v_ashrrev_i32_e32 v1, 31, v0
	v_lshlrev_b64 v[0:1], 2, v[0:1]
	s_delay_alu instid0(VALU_DEP_1) | instskip(NEXT) | instid1(VALU_DEP_2)
	v_add_co_u32 v0, vcc_lo, s8, v0
	v_add_co_ci_u32_e32 v1, vcc_lo, s9, v1, vcc_lo
	.p2align	6
.LBB312_13:                             ; =>This Inner Loop Header: Depth=1
	global_load_b32 v3, v[0:1], off
	s_add_i32 s4, s4, -1
	s_delay_alu instid0(SALU_CYCLE_1) | instskip(SKIP_3) | instid1(VALU_DEP_2)
	s_cmp_lg_u32 s4, 0
	s_waitcnt vmcnt(0)
	v_div_scale_f32 v4, null, v2, v2, v3
	v_div_scale_f32 v7, vcc_lo, v3, v2, v3
	v_rcp_f32_e32 v5, v4
	s_waitcnt_depctr 0xfff
	v_fma_f32 v6, -v4, v5, 1.0
	s_delay_alu instid0(VALU_DEP_1) | instskip(NEXT) | instid1(VALU_DEP_1)
	v_fmac_f32_e32 v5, v6, v5
	v_mul_f32_e32 v6, v7, v5
	s_delay_alu instid0(VALU_DEP_1) | instskip(NEXT) | instid1(VALU_DEP_1)
	v_fma_f32 v8, -v4, v6, v7
	v_fmac_f32_e32 v6, v8, v5
	s_delay_alu instid0(VALU_DEP_1) | instskip(NEXT) | instid1(VALU_DEP_1)
	v_fma_f32 v4, -v4, v6, v7
	v_div_fmas_f32 v4, v4, v5, v6
	s_delay_alu instid0(VALU_DEP_1)
	v_div_fixup_f32 v3, v4, v2, v3
	global_store_b32 v[0:1], v3, off
	v_add_co_u32 v0, vcc_lo, v0, 4
	v_add_co_ci_u32_e32 v1, vcc_lo, 0, v1, vcc_lo
	s_cbranch_scc1 .LBB312_13
.LBB312_14:
	s_nop 0
	s_sendmsg sendmsg(MSG_DEALLOC_VGPRS)
	s_endpgm
	.section	.rodata,"a",@progbits
	.p2align	6, 0x0
	.amdhsa_kernel _ZN4vllm3moe10topkGatingILi2ELi2ELi4ELi4ELi64Ei14__hip_bfloat16LNS0_11ScoringFuncE1EEEvPKT5_PKbPfiPT4_PiiiibPKf
		.amdhsa_group_segment_fixed_size 0
		.amdhsa_private_segment_fixed_size 0
		.amdhsa_kernarg_size 72
		.amdhsa_user_sgpr_count 15
		.amdhsa_user_sgpr_dispatch_ptr 0
		.amdhsa_user_sgpr_queue_ptr 0
		.amdhsa_user_sgpr_kernarg_segment_ptr 1
		.amdhsa_user_sgpr_dispatch_id 0
		.amdhsa_user_sgpr_private_segment_size 0
		.amdhsa_wavefront_size32 1
		.amdhsa_uses_dynamic_stack 0
		.amdhsa_enable_private_segment 0
		.amdhsa_system_sgpr_workgroup_id_x 1
		.amdhsa_system_sgpr_workgroup_id_y 0
		.amdhsa_system_sgpr_workgroup_id_z 0
		.amdhsa_system_sgpr_workgroup_info 0
		.amdhsa_system_vgpr_workitem_id 1
		.amdhsa_next_free_vgpr 18
		.amdhsa_next_free_sgpr 16
		.amdhsa_reserve_vcc 1
		.amdhsa_float_round_mode_32 0
		.amdhsa_float_round_mode_16_64 0
		.amdhsa_float_denorm_mode_32 3
		.amdhsa_float_denorm_mode_16_64 3
		.amdhsa_dx10_clamp 1
		.amdhsa_ieee_mode 1
		.amdhsa_fp16_overflow 0
		.amdhsa_workgroup_processor_mode 1
		.amdhsa_memory_ordered 1
		.amdhsa_forward_progress 0
		.amdhsa_shared_vgpr_count 0
		.amdhsa_exception_fp_ieee_invalid_op 0
		.amdhsa_exception_fp_denorm_src 0
		.amdhsa_exception_fp_ieee_div_zero 0
		.amdhsa_exception_fp_ieee_overflow 0
		.amdhsa_exception_fp_ieee_underflow 0
		.amdhsa_exception_fp_ieee_inexact 0
		.amdhsa_exception_int_div_zero 0
	.end_amdhsa_kernel
	.section	.text._ZN4vllm3moe10topkGatingILi2ELi2ELi4ELi4ELi64Ei14__hip_bfloat16LNS0_11ScoringFuncE1EEEvPKT5_PKbPfiPT4_PiiiibPKf,"axG",@progbits,_ZN4vllm3moe10topkGatingILi2ELi2ELi4ELi4ELi64Ei14__hip_bfloat16LNS0_11ScoringFuncE1EEEvPKT5_PKbPfiPT4_PiiiibPKf,comdat
.Lfunc_end312:
	.size	_ZN4vllm3moe10topkGatingILi2ELi2ELi4ELi4ELi64Ei14__hip_bfloat16LNS0_11ScoringFuncE1EEEvPKT5_PKbPfiPT4_PiiiibPKf, .Lfunc_end312-_ZN4vllm3moe10topkGatingILi2ELi2ELi4ELi4ELi64Ei14__hip_bfloat16LNS0_11ScoringFuncE1EEEvPKT5_PKbPfiPT4_PiiiibPKf
                                        ; -- End function
	.section	.AMDGPU.csdata,"",@progbits
; Kernel info:
; codeLenInByte = 1124
; NumSgprs: 18
; NumVgprs: 18
; ScratchSize: 0
; MemoryBound: 0
; FloatMode: 240
; IeeeMode: 1
; LDSByteSize: 0 bytes/workgroup (compile time only)
; SGPRBlocks: 2
; VGPRBlocks: 2
; NumSGPRsForWavesPerEU: 18
; NumVGPRsForWavesPerEU: 18
; Occupancy: 16
; WaveLimiterHint : 0
; COMPUTE_PGM_RSRC2:SCRATCH_EN: 0
; COMPUTE_PGM_RSRC2:USER_SGPR: 15
; COMPUTE_PGM_RSRC2:TRAP_HANDLER: 0
; COMPUTE_PGM_RSRC2:TGID_X_EN: 1
; COMPUTE_PGM_RSRC2:TGID_Y_EN: 0
; COMPUTE_PGM_RSRC2:TGID_Z_EN: 0
; COMPUTE_PGM_RSRC2:TIDIG_COMP_CNT: 1
	.section	.text._ZN4vllm3moe10topkGatingILi2ELi2ELi4ELi4ELi32Ei14__hip_bfloat16LNS0_11ScoringFuncE1EEEvPKT5_PKbPfiPT4_PiiiibPKf,"axG",@progbits,_ZN4vllm3moe10topkGatingILi2ELi2ELi4ELi4ELi32Ei14__hip_bfloat16LNS0_11ScoringFuncE1EEEvPKT5_PKbPfiPT4_PiiiibPKf,comdat
	.protected	_ZN4vllm3moe10topkGatingILi2ELi2ELi4ELi4ELi32Ei14__hip_bfloat16LNS0_11ScoringFuncE1EEEvPKT5_PKbPfiPT4_PiiiibPKf ; -- Begin function _ZN4vllm3moe10topkGatingILi2ELi2ELi4ELi4ELi32Ei14__hip_bfloat16LNS0_11ScoringFuncE1EEEvPKT5_PKbPfiPT4_PiiiibPKf
	.globl	_ZN4vllm3moe10topkGatingILi2ELi2ELi4ELi4ELi32Ei14__hip_bfloat16LNS0_11ScoringFuncE1EEEvPKT5_PKbPfiPT4_PiiiibPKf
	.p2align	8
	.type	_ZN4vllm3moe10topkGatingILi2ELi2ELi4ELi4ELi32Ei14__hip_bfloat16LNS0_11ScoringFuncE1EEEvPKT5_PKbPfiPT4_PiiiibPKf,@function
_ZN4vllm3moe10topkGatingILi2ELi2ELi4ELi4ELi32Ei14__hip_bfloat16LNS0_11ScoringFuncE1EEEvPKT5_PKbPfiPT4_PiiiibPKf: ; @_ZN4vllm3moe10topkGatingILi2ELi2ELi4ELi4ELi32Ei14__hip_bfloat16LNS0_11ScoringFuncE1EEEvPKT5_PKbPfiPT4_PiiiibPKf
; %bb.0:
	s_load_b32 s3, s[0:1], 0x18
	v_bfe_u32 v1, v0, 10, 10
	v_and_b32_e32 v0, 0x3ff, v0
	s_lshl_b32 s2, s15, 7
	s_delay_alu instid0(VALU_DEP_2) | instskip(NEXT) | instid1(VALU_DEP_1)
	v_lshlrev_b32_e32 v1, 5, v1
	v_add3_u32 v10, v1, v0, s2
	s_mov_b32 s2, exec_lo
	s_waitcnt lgkmcnt(0)
	s_delay_alu instid0(VALU_DEP_1)
	v_cmpx_gt_i32_e64 s3, v10
	s_cbranch_execz .LBB313_14
; %bb.1:
	s_clause 0x1
	s_load_b128 s[4:7], s[0:1], 0x0
	s_load_b64 s[8:9], s[0:1], 0x10
	s_waitcnt lgkmcnt(0)
	s_cmp_eq_u64 s[6:7], 0
	s_cbranch_scc1 .LBB313_3
; %bb.2:
	v_ashrrev_i32_e32 v1, 31, v10
	v_add_co_u32 v0, vcc_lo, s6, v10
	s_delay_alu instid0(VALU_DEP_2) | instskip(SKIP_3) | instid1(VALU_DEP_1)
	v_add_co_ci_u32_e32 v1, vcc_lo, s7, v1, vcc_lo
	global_load_u8 v0, v[0:1], off
	s_waitcnt vmcnt(0)
	v_and_b32_e32 v0, 1, v0
	v_cmp_eq_u32_e32 vcc_lo, 1, v0
	s_xor_b32 s2, vcc_lo, -1
	s_delay_alu instid0(SALU_CYCLE_1)
	s_or_not1_b32 s10, s2, exec_lo
	s_branch .LBB313_4
.LBB313_3:
	s_mov_b32 s10, -1
.LBB313_4:
	v_lshlrev_b32_e32 v0, 1, v10
	s_delay_alu instid0(VALU_DEP_1) | instskip(NEXT) | instid1(VALU_DEP_1)
	v_ashrrev_i32_e32 v1, 31, v0
	v_lshlrev_b64 v[0:1], 1, v[0:1]
	s_delay_alu instid0(VALU_DEP_1) | instskip(NEXT) | instid1(VALU_DEP_2)
	v_add_co_u32 v0, vcc_lo, s4, v0
	v_add_co_ci_u32_e32 v1, vcc_lo, s5, v1, vcc_lo
	s_load_b64 s[4:5], s[0:1], 0x40
	global_load_b32 v0, v[0:1], off
	s_waitcnt lgkmcnt(0)
	s_cmp_eq_u64 s[4:5], 0
	s_waitcnt vmcnt(0)
	v_lshlrev_b32_e32 v1, 16, v0
	s_delay_alu instid0(VALU_DEP_1) | instskip(NEXT) | instid1(VALU_DEP_1)
	v_mul_f32_e32 v1, 0xbfb8aa3b, v1
	v_exp_f32_e32 v1, v1
	s_waitcnt_depctr 0xfff
	v_dual_add_f32 v1, 1.0, v1 :: v_dual_and_b32 v0, 0xffff0000, v0
	s_delay_alu instid0(VALU_DEP_1) | instskip(NEXT) | instid1(VALU_DEP_2)
	v_mul_f32_e32 v0, 0xbfb8aa3b, v0
	v_div_scale_f32 v2, null, v1, v1, 1.0
	s_delay_alu instid0(VALU_DEP_2) | instskip(SKIP_1) | instid1(VALU_DEP_2)
	v_exp_f32_e32 v0, v0
	v_div_scale_f32 v8, vcc_lo, 1.0, v1, 1.0
	v_rcp_f32_e32 v4, v2
	s_waitcnt_depctr 0xfff
	v_add_f32_e32 v0, 1.0, v0
	v_fma_f32 v6, -v2, v4, 1.0
	s_delay_alu instid0(VALU_DEP_2) | instskip(NEXT) | instid1(VALU_DEP_1)
	v_div_scale_f32 v3, null, v0, v0, 1.0
	v_rcp_f32_e32 v5, v3
	s_waitcnt_depctr 0xfff
	v_fma_f32 v7, -v3, v5, 1.0
	s_delay_alu instid0(VALU_DEP_1) | instskip(SKIP_1) | instid1(VALU_DEP_1)
	v_dual_fmac_f32 v5, v7, v5 :: v_dual_fmac_f32 v4, v6, v4
	v_div_scale_f32 v6, s2, 1.0, v0, 1.0
	v_mul_f32_e32 v9, v6, v5
	s_delay_alu instid0(VALU_DEP_1) | instskip(NEXT) | instid1(VALU_DEP_1)
	v_fma_f32 v12, -v3, v9, v6
	v_fmac_f32_e32 v9, v12, v5
	v_mul_f32_e32 v7, v8, v4
	s_delay_alu instid0(VALU_DEP_2) | instskip(NEXT) | instid1(VALU_DEP_2)
	v_fma_f32 v3, -v3, v9, v6
	v_fma_f32 v11, -v2, v7, v8
	s_delay_alu instid0(VALU_DEP_1) | instskip(NEXT) | instid1(VALU_DEP_1)
	v_fmac_f32_e32 v7, v11, v4
	v_fma_f32 v2, -v2, v7, v8
	s_delay_alu instid0(VALU_DEP_1) | instskip(SKIP_2) | instid1(VALU_DEP_2)
	v_div_fmas_f32 v2, v2, v4, v7
	s_mov_b32 vcc_lo, s2
	v_div_fmas_f32 v3, v3, v5, v9
	v_div_fixup_f32 v1, v2, v1, 1.0
	s_delay_alu instid0(VALU_DEP_2) | instskip(NEXT) | instid1(VALU_DEP_2)
	v_div_fixup_f32 v2, v3, v0, 1.0
	v_cmp_class_f32_e64 vcc_lo, v1, 0x1f8
	v_cndmask_b32_e32 v0, 0, v1, vcc_lo
	s_delay_alu instid0(VALU_DEP_3) | instskip(SKIP_1) | instid1(VALU_DEP_1)
	v_cmp_class_f32_e64 vcc_lo, v2, 0x1f8
	v_cndmask_b32_e32 v1, 0, v2, vcc_lo
	v_dual_mov_b32 v3, v1 :: v_dual_mov_b32 v2, v0
	s_cbranch_scc1 .LBB313_6
; %bb.5:
	s_load_b64 s[4:5], s[4:5], 0x0
	s_waitcnt lgkmcnt(0)
	v_dual_add_f32 v2, s4, v0 :: v_dual_add_f32 v3, s5, v1
.LBB313_6:
	s_load_b128 s[4:7], s[0:1], 0x30
	s_waitcnt lgkmcnt(0)
	s_bitcmp1_b32 s7, 0
	s_cselect_b32 vcc_lo, -1, 0
	s_cmp_gt_i32 s4, 0
	s_cselect_b32 s7, -1, 0
	s_cmp_lt_i32 s4, 1
	s_cbranch_scc1 .LBB313_10
; %bb.7:
	v_mul_lo_u32 v4, v10, s4
	s_load_b128 s[12:15], s[0:1], 0x20
	v_dual_mov_b32 v11, 0 :: v_dual_mov_b32 v12, v10
	s_mov_b32 s11, 0
	s_delay_alu instid0(VALU_DEP_2) | instskip(NEXT) | instid1(VALU_DEP_1)
	v_ashrrev_i32_e32 v5, 31, v4
	v_lshlrev_b64 v[8:9], 2, v[4:5]
	s_delay_alu instid0(VALU_DEP_1) | instskip(NEXT) | instid1(VALU_DEP_1)
	v_add_co_u32 v4, s0, s8, v8
	v_add_co_ci_u32_e64 v5, s0, s9, v9, s0
	s_waitcnt lgkmcnt(0)
	v_add_co_u32 v6, s0, s12, v8
	s_delay_alu instid0(VALU_DEP_1) | instskip(SKIP_1) | instid1(VALU_DEP_1)
	v_add_co_ci_u32_e64 v7, s0, s13, v9, s0
	v_add_co_u32 v8, s0, s14, v8
	v_add_co_ci_u32_e64 v9, s0, s15, v9, s0
.LBB313_8:                              ; =>This Inner Loop Header: Depth=1
	v_cmp_gt_f32_e64 s0, v3, v2
	s_add_i32 s11, s11, 1
	s_delay_alu instid0(VALU_DEP_1) | instskip(SKIP_3) | instid1(VALU_DEP_4)
	v_cndmask_b32_e64 v13, 0, 1, s0
	v_cndmask_b32_e64 v14, v0, v1, s0
	;; [unrolled: 1-line block ×4, first 2 shown]
	v_cmp_le_i32_e64 s1, s5, v13
	v_cmp_gt_i32_e64 s2, s6, v13
	v_subrev_nc_u32_e32 v13, s5, v13
	global_store_b32 v[4:5], v14, off
	v_add_f32_e32 v16, v11, v14
	s_and_b32 s1, s1, s2
	s_delay_alu instid0(SALU_CYCLE_1)
	s_and_b32 s1, s10, s1
	s_cmp_lt_i32 s11, s4
	v_cndmask_b32_e64 v13, 2, v13, s1
	s_cselect_b32 s0, -1, 0
	v_cndmask_b32_e32 v11, v11, v16, vcc_lo
	v_cndmask_b32_e64 v3, v3, v17, s0
	v_cndmask_b32_e64 v2, v2, v15, s0
	v_add_co_u32 v4, s0, v4, 4
	s_delay_alu instid0(VALU_DEP_1) | instskip(SKIP_3) | instid1(VALU_DEP_1)
	v_add_co_ci_u32_e64 v5, s0, 0, v5, s0
	global_store_b32 v[6:7], v13, off
	global_store_b32 v[8:9], v12, off
	v_add_co_u32 v6, s0, v6, 4
	v_add_co_ci_u32_e64 v7, s0, 0, v7, s0
	v_add_co_u32 v8, s0, v8, 4
	v_add_nc_u32_e32 v12, s3, v12
	v_add_co_ci_u32_e64 v9, s0, 0, v9, s0
	s_cmp_eq_u32 s4, s11
	s_cbranch_scc0 .LBB313_8
; %bb.9:
	s_and_b32 vcc_lo, exec_lo, vcc_lo
	s_cbranch_vccnz .LBB313_11
	s_branch .LBB313_14
.LBB313_10:
	v_mov_b32_e32 v11, 0
	s_and_b32 vcc_lo, exec_lo, vcc_lo
	s_cbranch_vccz .LBB313_14
.LBB313_11:
	s_and_not1_b32 vcc_lo, exec_lo, s7
	s_cbranch_vccnz .LBB313_14
; %bb.12:
	v_mul_lo_u32 v0, v10, s4
	v_cmp_lt_f32_e32 vcc_lo, 0, v11
	v_cndmask_b32_e32 v2, 1.0, v11, vcc_lo
	s_delay_alu instid0(VALU_DEP_3) | instskip(NEXT) | instid1(VALU_DEP_1)
	v_ashrrev_i32_e32 v1, 31, v0
	v_lshlrev_b64 v[0:1], 2, v[0:1]
	s_delay_alu instid0(VALU_DEP_1) | instskip(NEXT) | instid1(VALU_DEP_2)
	v_add_co_u32 v0, vcc_lo, s8, v0
	v_add_co_ci_u32_e32 v1, vcc_lo, s9, v1, vcc_lo
	.p2align	6
.LBB313_13:                             ; =>This Inner Loop Header: Depth=1
	global_load_b32 v3, v[0:1], off
	s_add_i32 s4, s4, -1
	s_delay_alu instid0(SALU_CYCLE_1) | instskip(SKIP_3) | instid1(VALU_DEP_2)
	s_cmp_lg_u32 s4, 0
	s_waitcnt vmcnt(0)
	v_div_scale_f32 v4, null, v2, v2, v3
	v_div_scale_f32 v7, vcc_lo, v3, v2, v3
	v_rcp_f32_e32 v5, v4
	s_waitcnt_depctr 0xfff
	v_fma_f32 v6, -v4, v5, 1.0
	s_delay_alu instid0(VALU_DEP_1) | instskip(NEXT) | instid1(VALU_DEP_1)
	v_fmac_f32_e32 v5, v6, v5
	v_mul_f32_e32 v6, v7, v5
	s_delay_alu instid0(VALU_DEP_1) | instskip(NEXT) | instid1(VALU_DEP_1)
	v_fma_f32 v8, -v4, v6, v7
	v_fmac_f32_e32 v6, v8, v5
	s_delay_alu instid0(VALU_DEP_1) | instskip(NEXT) | instid1(VALU_DEP_1)
	v_fma_f32 v4, -v4, v6, v7
	v_div_fmas_f32 v4, v4, v5, v6
	s_delay_alu instid0(VALU_DEP_1)
	v_div_fixup_f32 v3, v4, v2, v3
	global_store_b32 v[0:1], v3, off
	v_add_co_u32 v0, vcc_lo, v0, 4
	v_add_co_ci_u32_e32 v1, vcc_lo, 0, v1, vcc_lo
	s_cbranch_scc1 .LBB313_13
.LBB313_14:
	s_nop 0
	s_sendmsg sendmsg(MSG_DEALLOC_VGPRS)
	s_endpgm
	.section	.rodata,"a",@progbits
	.p2align	6, 0x0
	.amdhsa_kernel _ZN4vllm3moe10topkGatingILi2ELi2ELi4ELi4ELi32Ei14__hip_bfloat16LNS0_11ScoringFuncE1EEEvPKT5_PKbPfiPT4_PiiiibPKf
		.amdhsa_group_segment_fixed_size 0
		.amdhsa_private_segment_fixed_size 0
		.amdhsa_kernarg_size 72
		.amdhsa_user_sgpr_count 15
		.amdhsa_user_sgpr_dispatch_ptr 0
		.amdhsa_user_sgpr_queue_ptr 0
		.amdhsa_user_sgpr_kernarg_segment_ptr 1
		.amdhsa_user_sgpr_dispatch_id 0
		.amdhsa_user_sgpr_private_segment_size 0
		.amdhsa_wavefront_size32 1
		.amdhsa_uses_dynamic_stack 0
		.amdhsa_enable_private_segment 0
		.amdhsa_system_sgpr_workgroup_id_x 1
		.amdhsa_system_sgpr_workgroup_id_y 0
		.amdhsa_system_sgpr_workgroup_id_z 0
		.amdhsa_system_sgpr_workgroup_info 0
		.amdhsa_system_vgpr_workitem_id 1
		.amdhsa_next_free_vgpr 18
		.amdhsa_next_free_sgpr 16
		.amdhsa_reserve_vcc 1
		.amdhsa_float_round_mode_32 0
		.amdhsa_float_round_mode_16_64 0
		.amdhsa_float_denorm_mode_32 3
		.amdhsa_float_denorm_mode_16_64 3
		.amdhsa_dx10_clamp 1
		.amdhsa_ieee_mode 1
		.amdhsa_fp16_overflow 0
		.amdhsa_workgroup_processor_mode 1
		.amdhsa_memory_ordered 1
		.amdhsa_forward_progress 0
		.amdhsa_shared_vgpr_count 0
		.amdhsa_exception_fp_ieee_invalid_op 0
		.amdhsa_exception_fp_denorm_src 0
		.amdhsa_exception_fp_ieee_div_zero 0
		.amdhsa_exception_fp_ieee_overflow 0
		.amdhsa_exception_fp_ieee_underflow 0
		.amdhsa_exception_fp_ieee_inexact 0
		.amdhsa_exception_int_div_zero 0
	.end_amdhsa_kernel
	.section	.text._ZN4vllm3moe10topkGatingILi2ELi2ELi4ELi4ELi32Ei14__hip_bfloat16LNS0_11ScoringFuncE1EEEvPKT5_PKbPfiPT4_PiiiibPKf,"axG",@progbits,_ZN4vllm3moe10topkGatingILi2ELi2ELi4ELi4ELi32Ei14__hip_bfloat16LNS0_11ScoringFuncE1EEEvPKT5_PKbPfiPT4_PiiiibPKf,comdat
.Lfunc_end313:
	.size	_ZN4vllm3moe10topkGatingILi2ELi2ELi4ELi4ELi32Ei14__hip_bfloat16LNS0_11ScoringFuncE1EEEvPKT5_PKbPfiPT4_PiiiibPKf, .Lfunc_end313-_ZN4vllm3moe10topkGatingILi2ELi2ELi4ELi4ELi32Ei14__hip_bfloat16LNS0_11ScoringFuncE1EEEvPKT5_PKbPfiPT4_PiiiibPKf
                                        ; -- End function
	.section	.AMDGPU.csdata,"",@progbits
; Kernel info:
; codeLenInByte = 1124
; NumSgprs: 18
; NumVgprs: 18
; ScratchSize: 0
; MemoryBound: 0
; FloatMode: 240
; IeeeMode: 1
; LDSByteSize: 0 bytes/workgroup (compile time only)
; SGPRBlocks: 2
; VGPRBlocks: 2
; NumSGPRsForWavesPerEU: 18
; NumVGPRsForWavesPerEU: 18
; Occupancy: 16
; WaveLimiterHint : 0
; COMPUTE_PGM_RSRC2:SCRATCH_EN: 0
; COMPUTE_PGM_RSRC2:USER_SGPR: 15
; COMPUTE_PGM_RSRC2:TRAP_HANDLER: 0
; COMPUTE_PGM_RSRC2:TGID_X_EN: 1
; COMPUTE_PGM_RSRC2:TGID_Y_EN: 0
; COMPUTE_PGM_RSRC2:TGID_Z_EN: 0
; COMPUTE_PGM_RSRC2:TIDIG_COMP_CNT: 1
	.section	.text._ZN4vllm3moe10topkGatingILi4ELi4ELi4ELi8ELi64Ei14__hip_bfloat16LNS0_11ScoringFuncE1EEEvPKT5_PKbPfiPT4_PiiiibPKf,"axG",@progbits,_ZN4vllm3moe10topkGatingILi4ELi4ELi4ELi8ELi64Ei14__hip_bfloat16LNS0_11ScoringFuncE1EEEvPKT5_PKbPfiPT4_PiiiibPKf,comdat
	.protected	_ZN4vllm3moe10topkGatingILi4ELi4ELi4ELi8ELi64Ei14__hip_bfloat16LNS0_11ScoringFuncE1EEEvPKT5_PKbPfiPT4_PiiiibPKf ; -- Begin function _ZN4vllm3moe10topkGatingILi4ELi4ELi4ELi8ELi64Ei14__hip_bfloat16LNS0_11ScoringFuncE1EEEvPKT5_PKbPfiPT4_PiiiibPKf
	.globl	_ZN4vllm3moe10topkGatingILi4ELi4ELi4ELi8ELi64Ei14__hip_bfloat16LNS0_11ScoringFuncE1EEEvPKT5_PKbPfiPT4_PiiiibPKf
	.p2align	8
	.type	_ZN4vllm3moe10topkGatingILi4ELi4ELi4ELi8ELi64Ei14__hip_bfloat16LNS0_11ScoringFuncE1EEEvPKT5_PKbPfiPT4_PiiiibPKf,@function
_ZN4vllm3moe10topkGatingILi4ELi4ELi4ELi8ELi64Ei14__hip_bfloat16LNS0_11ScoringFuncE1EEEvPKT5_PKbPfiPT4_PiiiibPKf: ; @_ZN4vllm3moe10topkGatingILi4ELi4ELi4ELi8ELi64Ei14__hip_bfloat16LNS0_11ScoringFuncE1EEEvPKT5_PKbPfiPT4_PiiiibPKf
; %bb.0:
	s_load_b32 s10, s[0:1], 0x18
	v_bfe_u32 v1, v0, 10, 10
	v_and_b32_e32 v0, 0x3ff, v0
	s_lshl_b32 s2, s15, 8
	s_delay_alu instid0(VALU_DEP_2) | instskip(NEXT) | instid1(VALU_DEP_1)
	v_lshlrev_b32_e32 v1, 6, v1
	v_add3_u32 v14, v1, v0, s2
	s_mov_b32 s2, exec_lo
	s_waitcnt lgkmcnt(0)
	s_delay_alu instid0(VALU_DEP_1)
	v_cmpx_gt_i32_e64 s10, v14
	s_cbranch_execz .LBB314_15
; %bb.1:
	s_clause 0x1
	s_load_b128 s[4:7], s[0:1], 0x0
	s_load_b64 s[8:9], s[0:1], 0x10
	s_mov_b32 s12, -1
	s_mov_b32 s11, -1
	s_waitcnt lgkmcnt(0)
	s_cmp_eq_u64 s[6:7], 0
	s_cbranch_scc1 .LBB314_3
; %bb.2:
	v_ashrrev_i32_e32 v1, 31, v14
	v_add_co_u32 v0, vcc_lo, s6, v14
	s_delay_alu instid0(VALU_DEP_2) | instskip(SKIP_3) | instid1(VALU_DEP_1)
	v_add_co_ci_u32_e32 v1, vcc_lo, s7, v1, vcc_lo
	global_load_u8 v0, v[0:1], off
	s_waitcnt vmcnt(0)
	v_and_b32_e32 v0, 1, v0
	v_cmp_eq_u32_e32 vcc_lo, 1, v0
	s_xor_b32 s2, vcc_lo, -1
	s_delay_alu instid0(SALU_CYCLE_1)
	s_or_not1_b32 s11, s2, exec_lo
.LBB314_3:
	v_lshlrev_b32_e32 v0, 2, v14
	s_load_b64 s[6:7], s[0:1], 0x40
	s_delay_alu instid0(VALU_DEP_1) | instskip(NEXT) | instid1(VALU_DEP_1)
	v_ashrrev_i32_e32 v1, 31, v0
	v_lshlrev_b64 v[0:1], 1, v[0:1]
	s_delay_alu instid0(VALU_DEP_1) | instskip(NEXT) | instid1(VALU_DEP_2)
	v_add_co_u32 v0, vcc_lo, s4, v0
	v_add_co_ci_u32_e32 v1, vcc_lo, s5, v1, vcc_lo
	s_waitcnt lgkmcnt(0)
	s_cmp_eq_u64 s[6:7], 0
	global_load_b64 v[0:1], v[0:1], off
	s_waitcnt vmcnt(0)
	v_lshlrev_b32_e32 v2, 16, v0
	v_and_b32_e32 v3, 0xffff0000, v0
	v_alignbit_b32 v0, v1, v0, 16
	s_delay_alu instid0(VALU_DEP_1) | instskip(NEXT) | instid1(VALU_DEP_1)
	v_and_b32_e32 v0, 0xffff0000, v0
	v_mul_f32_e32 v0, 0xbfb8aa3b, v0
	s_delay_alu instid0(VALU_DEP_1) | instskip(SKIP_2) | instid1(VALU_DEP_1)
	v_exp_f32_e32 v0, v0
	s_waitcnt_depctr 0xfff
	v_dual_add_f32 v0, 1.0, v0 :: v_dual_and_b32 v1, 0xffff0000, v1
	v_dual_mul_f32 v1, 0xbfb8aa3b, v1 :: v_dual_mul_f32 v2, 0xbfb8aa3b, v2
	s_delay_alu instid0(VALU_DEP_2) | instskip(NEXT) | instid1(VALU_DEP_2)
	v_div_scale_f32 v9, null, v0, v0, 1.0
	v_exp_f32_e32 v2, v2
	s_delay_alu instid0(VALU_DEP_2) | instskip(NEXT) | instid1(VALU_DEP_1)
	v_exp_f32_e32 v1, v1
	v_rcp_f32_e32 v12, v9
	s_delay_alu instid0(TRANS32_DEP_3) | instskip(SKIP_4) | instid1(VALU_DEP_2)
	v_dual_add_f32 v2, 1.0, v2 :: v_dual_mul_f32 v3, 0xbfb8aa3b, v3
	s_waitcnt_depctr 0xfff
	v_add_f32_e32 v1, 1.0, v1
	v_div_scale_f32 v4, null, v2, v2, 1.0
	v_exp_f32_e32 v3, v3
	v_div_scale_f32 v6, null, v1, v1, 1.0
	s_delay_alu instid0(VALU_DEP_2) | instskip(SKIP_1) | instid1(VALU_DEP_2)
	v_rcp_f32_e32 v7, v4
	v_div_scale_f32 v11, vcc_lo, 1.0, v2, 1.0
	v_rcp_f32_e32 v10, v6
	v_div_scale_f32 v18, s3, 1.0, v1, 1.0
	s_delay_alu instid0(TRANS32_DEP_3) | instskip(SKIP_4) | instid1(VALU_DEP_3)
	v_add_f32_e32 v3, 1.0, v3
	s_waitcnt_depctr 0xfff
	v_fma_f32 v15, -v4, v7, 1.0
	v_div_scale_f32 v5, null, v3, v3, 1.0
	v_fma_f32 v17, -v6, v10, 1.0
	v_fmac_f32_e32 v7, v15, v7
	v_div_scale_f32 v13, s2, 1.0, v3, 1.0
	s_delay_alu instid0(VALU_DEP_4) | instskip(NEXT) | instid1(VALU_DEP_3)
	v_rcp_f32_e32 v8, v5
	v_fmac_f32_e32 v10, v17, v10
	v_fma_f32 v15, -v9, v12, 1.0
	v_mul_f32_e32 v17, v11, v7
	s_delay_alu instid0(VALU_DEP_1) | instskip(SKIP_3) | instid1(VALU_DEP_2)
	v_fma_f32 v20, -v4, v17, v11
	s_waitcnt_depctr 0xfff
	v_fma_f32 v16, -v5, v8, 1.0
	v_dual_fmac_f32 v17, v20, v7 :: v_dual_fmac_f32 v12, v15, v12
	v_dual_mul_f32 v15, v18, v10 :: v_dual_fmac_f32 v8, v16, v8
	v_div_scale_f32 v16, s4, 1.0, v0, 1.0
	s_delay_alu instid0(VALU_DEP_3) | instskip(NEXT) | instid1(VALU_DEP_3)
	v_fma_f32 v4, -v4, v17, v11
	v_fma_f32 v23, -v6, v15, v18
	s_delay_alu instid0(VALU_DEP_3) | instskip(NEXT) | instid1(VALU_DEP_3)
	v_mul_f32_e32 v22, v16, v12
	v_div_fmas_f32 v4, v4, v7, v17
	s_delay_alu instid0(VALU_DEP_3) | instskip(SKIP_1) | instid1(VALU_DEP_3)
	v_fmac_f32_e32 v15, v23, v10
	s_mov_b32 vcc_lo, s2
	v_fma_f32 v20, -v9, v22, v16
	s_delay_alu instid0(VALU_DEP_3) | instskip(SKIP_2) | instid1(VALU_DEP_2)
	v_div_fixup_f32 v2, v4, v2, 1.0
	v_mul_f32_e32 v19, v13, v8
	v_fma_f32 v6, -v6, v15, v18
	v_fma_f32 v21, -v5, v19, v13
	s_delay_alu instid0(VALU_DEP_1) | instskip(NEXT) | instid1(VALU_DEP_1)
	v_fmac_f32_e32 v19, v21, v8
	v_fma_f32 v5, -v5, v19, v13
	s_delay_alu instid0(VALU_DEP_1) | instskip(SKIP_1) | instid1(VALU_DEP_1)
	v_div_fmas_f32 v5, v5, v8, v19
	s_mov_b32 vcc_lo, s4
	v_div_fixup_f32 v3, v5, v3, 1.0
	v_fmac_f32_e32 v22, v20, v12
	s_delay_alu instid0(VALU_DEP_1) | instskip(NEXT) | instid1(VALU_DEP_1)
	v_fma_f32 v7, -v9, v22, v16
	v_div_fmas_f32 v4, v7, v12, v22
	s_mov_b32 vcc_lo, s3
	v_div_fmas_f32 v6, v6, v10, v15
	v_cmp_class_f32_e64 vcc_lo, v2, 0x1f8
	s_delay_alu instid0(VALU_DEP_3) | instskip(NEXT) | instid1(VALU_DEP_3)
	v_div_fixup_f32 v4, v4, v0, 1.0
	v_div_fixup_f32 v5, v6, v1, 1.0
	v_cndmask_b32_e32 v0, 0, v2, vcc_lo
	v_cmp_class_f32_e64 vcc_lo, v3, 0x1f8
	v_cndmask_b32_e32 v1, 0, v3, vcc_lo
	v_cmp_class_f32_e64 vcc_lo, v4, 0x1f8
	v_cndmask_b32_e32 v2, 0, v4, vcc_lo
	v_cmp_class_f32_e64 vcc_lo, v5, 0x1f8
	v_cndmask_b32_e32 v3, 0, v5, vcc_lo
	s_cbranch_scc1 .LBB314_10
; %bb.4:
	s_load_b128 s[4:7], s[6:7], 0x0
	s_waitcnt lgkmcnt(0)
	v_dual_add_f32 v4, s4, v0 :: v_dual_add_f32 v5, s5, v1
	v_dual_add_f32 v6, s6, v2 :: v_dual_add_f32 v7, s7, v3
	s_cbranch_execnz .LBB314_6
.LBB314_5:
	v_dual_mov_b32 v7, v3 :: v_dual_mov_b32 v6, v2
	v_dual_mov_b32 v5, v1 :: v_dual_mov_b32 v4, v0
.LBB314_6:
	s_load_b128 s[4:7], s[0:1], 0x30
	s_waitcnt lgkmcnt(0)
	s_bitcmp1_b32 s7, 0
	s_mov_b32 s7, 0
	s_cselect_b32 vcc_lo, -1, 0
	s_cmp_gt_i32 s4, 0
	s_cselect_b32 s3, -1, 0
	s_cmp_lt_i32 s4, 1
	s_cbranch_scc1 .LBB314_11
; %bb.7:
	v_mul_lo_u32 v8, v14, s4
	s_load_b128 s[12:15], s[0:1], 0x20
	v_dual_mov_b32 v15, 0 :: v_dual_mov_b32 v16, v14
	s_delay_alu instid0(VALU_DEP_2) | instskip(NEXT) | instid1(VALU_DEP_1)
	v_ashrrev_i32_e32 v9, 31, v8
	v_lshlrev_b64 v[12:13], 2, v[8:9]
	s_delay_alu instid0(VALU_DEP_1) | instskip(NEXT) | instid1(VALU_DEP_1)
	v_add_co_u32 v8, s0, s8, v12
	v_add_co_ci_u32_e64 v9, s0, s9, v13, s0
	s_waitcnt lgkmcnt(0)
	v_add_co_u32 v10, s0, s12, v12
	s_delay_alu instid0(VALU_DEP_1) | instskip(SKIP_1) | instid1(VALU_DEP_1)
	v_add_co_ci_u32_e64 v11, s0, s13, v13, s0
	v_add_co_u32 v12, s0, s14, v12
	v_add_co_ci_u32_e64 v13, s0, s15, v13, s0
.LBB314_8:                              ; =>This Inner Loop Header: Depth=1
	v_cmp_gt_f32_e64 s0, v5, v4
	s_add_i32 s7, s7, 1
	s_delay_alu instid0(VALU_DEP_1) | instskip(SKIP_2) | instid1(VALU_DEP_3)
	v_cndmask_b32_e64 v18, v4, v5, s0
	v_cndmask_b32_e64 v17, 0, 1, s0
	;; [unrolled: 1-line block ×3, first 2 shown]
	v_cmp_gt_f32_e64 s1, v6, v18
	s_delay_alu instid0(VALU_DEP_1) | instskip(NEXT) | instid1(VALU_DEP_4)
	v_cndmask_b32_e64 v18, v18, v6, s1
	v_cndmask_b32_e64 v17, v17, 2, s1
	s_delay_alu instid0(VALU_DEP_4) | instskip(NEXT) | instid1(VALU_DEP_3)
	v_cndmask_b32_e64 v19, v19, v2, s1
	v_cmp_gt_f32_e64 s0, v7, v18
	s_delay_alu instid0(VALU_DEP_1) | instskip(NEXT) | instid1(VALU_DEP_3)
	v_cndmask_b32_e64 v17, v17, 3, s0
	v_cndmask_b32_e64 v18, v19, v3, s0
	s_delay_alu instid0(VALU_DEP_2)
	v_cmp_ne_u32_e64 s2, 0, v17
	v_cmp_le_i32_e64 s0, s5, v17
	v_cmp_gt_i32_e64 s1, s6, v17
	v_subrev_nc_u32_e32 v19, s5, v17
	v_add_f32_e32 v23, v15, v18
	v_cndmask_b32_e64 v20, 0xc61c4000, v4, s2
	v_cmp_ne_u32_e64 s2, 1, v17
	s_and_b32 s0, s0, s1
	global_store_b32 v[8:9], v18, off
	s_and_b32 s0, s11, s0
	s_cmp_lt_i32 s7, s4
	v_cndmask_b32_e64 v21, 0xc61c4000, v5, s2
	v_cmp_ne_u32_e64 s2, 2, v17
	v_cndmask_b32_e64 v18, 4, v19, s0
	s_cselect_b32 s0, -1, 0
	global_store_b32 v[10:11], v18, off
	global_store_b32 v[12:13], v16, off
	v_add_nc_u32_e32 v16, s10, v16
	v_cndmask_b32_e64 v22, 0xc61c4000, v6, s2
	v_cmp_ne_u32_e64 s2, 3, v17
	v_cndmask_b32_e64 v5, v5, v21, s0
	v_cndmask_b32_e64 v4, v4, v20, s0
	v_cndmask_b32_e32 v15, v15, v23, vcc_lo
	v_cndmask_b32_e64 v6, v6, v22, s0
	v_cndmask_b32_e64 v17, 0xc61c4000, v7, s2
	s_cmp_eq_u32 s4, s7
	s_delay_alu instid0(VALU_DEP_1) | instskip(SKIP_1) | instid1(VALU_DEP_1)
	v_cndmask_b32_e64 v7, v7, v17, s0
	v_add_co_u32 v8, s0, v8, 4
	v_add_co_ci_u32_e64 v9, s0, 0, v9, s0
	v_add_co_u32 v10, s0, v10, 4
	s_delay_alu instid0(VALU_DEP_1) | instskip(SKIP_1) | instid1(VALU_DEP_1)
	v_add_co_ci_u32_e64 v11, s0, 0, v11, s0
	v_add_co_u32 v12, s0, v12, 4
	v_add_co_ci_u32_e64 v13, s0, 0, v13, s0
	s_cbranch_scc0 .LBB314_8
; %bb.9:
	s_and_b32 vcc_lo, exec_lo, vcc_lo
	s_cbranch_vccnz .LBB314_12
	s_branch .LBB314_15
.LBB314_10:
                                        ; implicit-def: $vgpr4_vgpr5_vgpr6_vgpr7
	s_and_not1_b32 vcc_lo, exec_lo, s12
	s_cbranch_vccz .LBB314_5
	s_branch .LBB314_6
.LBB314_11:
	v_mov_b32_e32 v15, 0
	s_and_b32 vcc_lo, exec_lo, vcc_lo
	s_cbranch_vccz .LBB314_15
.LBB314_12:
	s_and_not1_b32 vcc_lo, exec_lo, s3
	s_cbranch_vccnz .LBB314_15
; %bb.13:
	v_mul_lo_u32 v0, v14, s4
	v_cmp_lt_f32_e32 vcc_lo, 0, v15
	v_cndmask_b32_e32 v2, 1.0, v15, vcc_lo
	s_delay_alu instid0(VALU_DEP_3) | instskip(NEXT) | instid1(VALU_DEP_1)
	v_ashrrev_i32_e32 v1, 31, v0
	v_lshlrev_b64 v[0:1], 2, v[0:1]
	s_delay_alu instid0(VALU_DEP_1) | instskip(NEXT) | instid1(VALU_DEP_2)
	v_add_co_u32 v0, vcc_lo, s8, v0
	v_add_co_ci_u32_e32 v1, vcc_lo, s9, v1, vcc_lo
	.p2align	6
.LBB314_14:                             ; =>This Inner Loop Header: Depth=1
	global_load_b32 v3, v[0:1], off
	s_add_i32 s4, s4, -1
	s_delay_alu instid0(SALU_CYCLE_1) | instskip(SKIP_3) | instid1(VALU_DEP_2)
	s_cmp_lg_u32 s4, 0
	s_waitcnt vmcnt(0)
	v_div_scale_f32 v4, null, v2, v2, v3
	v_div_scale_f32 v7, vcc_lo, v3, v2, v3
	v_rcp_f32_e32 v5, v4
	s_waitcnt_depctr 0xfff
	v_fma_f32 v6, -v4, v5, 1.0
	s_delay_alu instid0(VALU_DEP_1) | instskip(NEXT) | instid1(VALU_DEP_1)
	v_fmac_f32_e32 v5, v6, v5
	v_mul_f32_e32 v6, v7, v5
	s_delay_alu instid0(VALU_DEP_1) | instskip(NEXT) | instid1(VALU_DEP_1)
	v_fma_f32 v8, -v4, v6, v7
	v_fmac_f32_e32 v6, v8, v5
	s_delay_alu instid0(VALU_DEP_1) | instskip(NEXT) | instid1(VALU_DEP_1)
	v_fma_f32 v4, -v4, v6, v7
	v_div_fmas_f32 v4, v4, v5, v6
	s_delay_alu instid0(VALU_DEP_1)
	v_div_fixup_f32 v3, v4, v2, v3
	global_store_b32 v[0:1], v3, off
	v_add_co_u32 v0, vcc_lo, v0, 4
	v_add_co_ci_u32_e32 v1, vcc_lo, 0, v1, vcc_lo
	s_cbranch_scc1 .LBB314_14
.LBB314_15:
	s_nop 0
	s_sendmsg sendmsg(MSG_DEALLOC_VGPRS)
	s_endpgm
	.section	.rodata,"a",@progbits
	.p2align	6, 0x0
	.amdhsa_kernel _ZN4vllm3moe10topkGatingILi4ELi4ELi4ELi8ELi64Ei14__hip_bfloat16LNS0_11ScoringFuncE1EEEvPKT5_PKbPfiPT4_PiiiibPKf
		.amdhsa_group_segment_fixed_size 0
		.amdhsa_private_segment_fixed_size 0
		.amdhsa_kernarg_size 72
		.amdhsa_user_sgpr_count 15
		.amdhsa_user_sgpr_dispatch_ptr 0
		.amdhsa_user_sgpr_queue_ptr 0
		.amdhsa_user_sgpr_kernarg_segment_ptr 1
		.amdhsa_user_sgpr_dispatch_id 0
		.amdhsa_user_sgpr_private_segment_size 0
		.amdhsa_wavefront_size32 1
		.amdhsa_uses_dynamic_stack 0
		.amdhsa_enable_private_segment 0
		.amdhsa_system_sgpr_workgroup_id_x 1
		.amdhsa_system_sgpr_workgroup_id_y 0
		.amdhsa_system_sgpr_workgroup_id_z 0
		.amdhsa_system_sgpr_workgroup_info 0
		.amdhsa_system_vgpr_workitem_id 1
		.amdhsa_next_free_vgpr 24
		.amdhsa_next_free_sgpr 16
		.amdhsa_reserve_vcc 1
		.amdhsa_float_round_mode_32 0
		.amdhsa_float_round_mode_16_64 0
		.amdhsa_float_denorm_mode_32 3
		.amdhsa_float_denorm_mode_16_64 3
		.amdhsa_dx10_clamp 1
		.amdhsa_ieee_mode 1
		.amdhsa_fp16_overflow 0
		.amdhsa_workgroup_processor_mode 1
		.amdhsa_memory_ordered 1
		.amdhsa_forward_progress 0
		.amdhsa_shared_vgpr_count 0
		.amdhsa_exception_fp_ieee_invalid_op 0
		.amdhsa_exception_fp_denorm_src 0
		.amdhsa_exception_fp_ieee_div_zero 0
		.amdhsa_exception_fp_ieee_overflow 0
		.amdhsa_exception_fp_ieee_underflow 0
		.amdhsa_exception_fp_ieee_inexact 0
		.amdhsa_exception_int_div_zero 0
	.end_amdhsa_kernel
	.section	.text._ZN4vllm3moe10topkGatingILi4ELi4ELi4ELi8ELi64Ei14__hip_bfloat16LNS0_11ScoringFuncE1EEEvPKT5_PKbPfiPT4_PiiiibPKf,"axG",@progbits,_ZN4vllm3moe10topkGatingILi4ELi4ELi4ELi8ELi64Ei14__hip_bfloat16LNS0_11ScoringFuncE1EEEvPKT5_PKbPfiPT4_PiiiibPKf,comdat
.Lfunc_end314:
	.size	_ZN4vllm3moe10topkGatingILi4ELi4ELi4ELi8ELi64Ei14__hip_bfloat16LNS0_11ScoringFuncE1EEEvPKT5_PKbPfiPT4_PiiiibPKf, .Lfunc_end314-_ZN4vllm3moe10topkGatingILi4ELi4ELi4ELi8ELi64Ei14__hip_bfloat16LNS0_11ScoringFuncE1EEEvPKT5_PKbPfiPT4_PiiiibPKf
                                        ; -- End function
	.section	.AMDGPU.csdata,"",@progbits
; Kernel info:
; codeLenInByte = 1572
; NumSgprs: 18
; NumVgprs: 24
; ScratchSize: 0
; MemoryBound: 0
; FloatMode: 240
; IeeeMode: 1
; LDSByteSize: 0 bytes/workgroup (compile time only)
; SGPRBlocks: 2
; VGPRBlocks: 2
; NumSGPRsForWavesPerEU: 18
; NumVGPRsForWavesPerEU: 24
; Occupancy: 16
; WaveLimiterHint : 0
; COMPUTE_PGM_RSRC2:SCRATCH_EN: 0
; COMPUTE_PGM_RSRC2:USER_SGPR: 15
; COMPUTE_PGM_RSRC2:TRAP_HANDLER: 0
; COMPUTE_PGM_RSRC2:TGID_X_EN: 1
; COMPUTE_PGM_RSRC2:TGID_Y_EN: 0
; COMPUTE_PGM_RSRC2:TGID_Z_EN: 0
; COMPUTE_PGM_RSRC2:TIDIG_COMP_CNT: 1
	.section	.text._ZN4vllm3moe10topkGatingILi4ELi4ELi4ELi8ELi32Ei14__hip_bfloat16LNS0_11ScoringFuncE1EEEvPKT5_PKbPfiPT4_PiiiibPKf,"axG",@progbits,_ZN4vllm3moe10topkGatingILi4ELi4ELi4ELi8ELi32Ei14__hip_bfloat16LNS0_11ScoringFuncE1EEEvPKT5_PKbPfiPT4_PiiiibPKf,comdat
	.protected	_ZN4vllm3moe10topkGatingILi4ELi4ELi4ELi8ELi32Ei14__hip_bfloat16LNS0_11ScoringFuncE1EEEvPKT5_PKbPfiPT4_PiiiibPKf ; -- Begin function _ZN4vllm3moe10topkGatingILi4ELi4ELi4ELi8ELi32Ei14__hip_bfloat16LNS0_11ScoringFuncE1EEEvPKT5_PKbPfiPT4_PiiiibPKf
	.globl	_ZN4vllm3moe10topkGatingILi4ELi4ELi4ELi8ELi32Ei14__hip_bfloat16LNS0_11ScoringFuncE1EEEvPKT5_PKbPfiPT4_PiiiibPKf
	.p2align	8
	.type	_ZN4vllm3moe10topkGatingILi4ELi4ELi4ELi8ELi32Ei14__hip_bfloat16LNS0_11ScoringFuncE1EEEvPKT5_PKbPfiPT4_PiiiibPKf,@function
_ZN4vllm3moe10topkGatingILi4ELi4ELi4ELi8ELi32Ei14__hip_bfloat16LNS0_11ScoringFuncE1EEEvPKT5_PKbPfiPT4_PiiiibPKf: ; @_ZN4vllm3moe10topkGatingILi4ELi4ELi4ELi8ELi32Ei14__hip_bfloat16LNS0_11ScoringFuncE1EEEvPKT5_PKbPfiPT4_PiiiibPKf
; %bb.0:
	s_load_b32 s10, s[0:1], 0x18
	v_bfe_u32 v1, v0, 10, 10
	v_and_b32_e32 v0, 0x3ff, v0
	s_lshl_b32 s2, s15, 7
	s_delay_alu instid0(VALU_DEP_2) | instskip(NEXT) | instid1(VALU_DEP_1)
	v_lshlrev_b32_e32 v1, 5, v1
	v_add3_u32 v14, v1, v0, s2
	s_mov_b32 s2, exec_lo
	s_waitcnt lgkmcnt(0)
	s_delay_alu instid0(VALU_DEP_1)
	v_cmpx_gt_i32_e64 s10, v14
	s_cbranch_execz .LBB315_15
; %bb.1:
	s_clause 0x1
	s_load_b128 s[4:7], s[0:1], 0x0
	s_load_b64 s[8:9], s[0:1], 0x10
	s_mov_b32 s12, -1
	s_mov_b32 s11, -1
	s_waitcnt lgkmcnt(0)
	s_cmp_eq_u64 s[6:7], 0
	s_cbranch_scc1 .LBB315_3
; %bb.2:
	v_ashrrev_i32_e32 v1, 31, v14
	v_add_co_u32 v0, vcc_lo, s6, v14
	s_delay_alu instid0(VALU_DEP_2) | instskip(SKIP_3) | instid1(VALU_DEP_1)
	v_add_co_ci_u32_e32 v1, vcc_lo, s7, v1, vcc_lo
	global_load_u8 v0, v[0:1], off
	s_waitcnt vmcnt(0)
	v_and_b32_e32 v0, 1, v0
	v_cmp_eq_u32_e32 vcc_lo, 1, v0
	s_xor_b32 s2, vcc_lo, -1
	s_delay_alu instid0(SALU_CYCLE_1)
	s_or_not1_b32 s11, s2, exec_lo
.LBB315_3:
	v_lshlrev_b32_e32 v0, 2, v14
	s_load_b64 s[6:7], s[0:1], 0x40
	s_delay_alu instid0(VALU_DEP_1) | instskip(NEXT) | instid1(VALU_DEP_1)
	v_ashrrev_i32_e32 v1, 31, v0
	v_lshlrev_b64 v[0:1], 1, v[0:1]
	s_delay_alu instid0(VALU_DEP_1) | instskip(NEXT) | instid1(VALU_DEP_2)
	v_add_co_u32 v0, vcc_lo, s4, v0
	v_add_co_ci_u32_e32 v1, vcc_lo, s5, v1, vcc_lo
	s_waitcnt lgkmcnt(0)
	s_cmp_eq_u64 s[6:7], 0
	global_load_b64 v[0:1], v[0:1], off
	s_waitcnt vmcnt(0)
	v_lshlrev_b32_e32 v2, 16, v0
	v_and_b32_e32 v3, 0xffff0000, v0
	v_alignbit_b32 v0, v1, v0, 16
	s_delay_alu instid0(VALU_DEP_1) | instskip(NEXT) | instid1(VALU_DEP_1)
	v_and_b32_e32 v0, 0xffff0000, v0
	v_mul_f32_e32 v0, 0xbfb8aa3b, v0
	s_delay_alu instid0(VALU_DEP_1) | instskip(SKIP_2) | instid1(VALU_DEP_1)
	v_exp_f32_e32 v0, v0
	s_waitcnt_depctr 0xfff
	v_dual_add_f32 v0, 1.0, v0 :: v_dual_and_b32 v1, 0xffff0000, v1
	v_dual_mul_f32 v1, 0xbfb8aa3b, v1 :: v_dual_mul_f32 v2, 0xbfb8aa3b, v2
	s_delay_alu instid0(VALU_DEP_2) | instskip(NEXT) | instid1(VALU_DEP_2)
	v_div_scale_f32 v9, null, v0, v0, 1.0
	v_exp_f32_e32 v2, v2
	s_delay_alu instid0(VALU_DEP_2) | instskip(NEXT) | instid1(VALU_DEP_1)
	v_exp_f32_e32 v1, v1
	v_rcp_f32_e32 v12, v9
	s_delay_alu instid0(TRANS32_DEP_3) | instskip(SKIP_4) | instid1(VALU_DEP_2)
	v_dual_add_f32 v2, 1.0, v2 :: v_dual_mul_f32 v3, 0xbfb8aa3b, v3
	s_waitcnt_depctr 0xfff
	v_add_f32_e32 v1, 1.0, v1
	v_div_scale_f32 v4, null, v2, v2, 1.0
	v_exp_f32_e32 v3, v3
	v_div_scale_f32 v6, null, v1, v1, 1.0
	s_delay_alu instid0(VALU_DEP_2) | instskip(SKIP_1) | instid1(VALU_DEP_2)
	v_rcp_f32_e32 v7, v4
	v_div_scale_f32 v11, vcc_lo, 1.0, v2, 1.0
	v_rcp_f32_e32 v10, v6
	v_div_scale_f32 v18, s3, 1.0, v1, 1.0
	s_delay_alu instid0(TRANS32_DEP_3) | instskip(SKIP_4) | instid1(VALU_DEP_3)
	v_add_f32_e32 v3, 1.0, v3
	s_waitcnt_depctr 0xfff
	v_fma_f32 v15, -v4, v7, 1.0
	v_div_scale_f32 v5, null, v3, v3, 1.0
	v_fma_f32 v17, -v6, v10, 1.0
	v_fmac_f32_e32 v7, v15, v7
	v_div_scale_f32 v13, s2, 1.0, v3, 1.0
	s_delay_alu instid0(VALU_DEP_4) | instskip(NEXT) | instid1(VALU_DEP_3)
	v_rcp_f32_e32 v8, v5
	v_fmac_f32_e32 v10, v17, v10
	v_fma_f32 v15, -v9, v12, 1.0
	v_mul_f32_e32 v17, v11, v7
	s_delay_alu instid0(VALU_DEP_1) | instskip(SKIP_3) | instid1(VALU_DEP_2)
	v_fma_f32 v20, -v4, v17, v11
	s_waitcnt_depctr 0xfff
	v_fma_f32 v16, -v5, v8, 1.0
	v_dual_fmac_f32 v17, v20, v7 :: v_dual_fmac_f32 v12, v15, v12
	v_dual_mul_f32 v15, v18, v10 :: v_dual_fmac_f32 v8, v16, v8
	v_div_scale_f32 v16, s4, 1.0, v0, 1.0
	s_delay_alu instid0(VALU_DEP_3) | instskip(NEXT) | instid1(VALU_DEP_3)
	v_fma_f32 v4, -v4, v17, v11
	v_fma_f32 v23, -v6, v15, v18
	s_delay_alu instid0(VALU_DEP_3) | instskip(NEXT) | instid1(VALU_DEP_3)
	v_mul_f32_e32 v22, v16, v12
	v_div_fmas_f32 v4, v4, v7, v17
	s_delay_alu instid0(VALU_DEP_3) | instskip(SKIP_1) | instid1(VALU_DEP_3)
	v_fmac_f32_e32 v15, v23, v10
	s_mov_b32 vcc_lo, s2
	v_fma_f32 v20, -v9, v22, v16
	s_delay_alu instid0(VALU_DEP_3) | instskip(SKIP_2) | instid1(VALU_DEP_2)
	v_div_fixup_f32 v2, v4, v2, 1.0
	v_mul_f32_e32 v19, v13, v8
	v_fma_f32 v6, -v6, v15, v18
	v_fma_f32 v21, -v5, v19, v13
	s_delay_alu instid0(VALU_DEP_1) | instskip(NEXT) | instid1(VALU_DEP_1)
	v_fmac_f32_e32 v19, v21, v8
	v_fma_f32 v5, -v5, v19, v13
	s_delay_alu instid0(VALU_DEP_1) | instskip(SKIP_1) | instid1(VALU_DEP_1)
	v_div_fmas_f32 v5, v5, v8, v19
	s_mov_b32 vcc_lo, s4
	v_div_fixup_f32 v3, v5, v3, 1.0
	v_fmac_f32_e32 v22, v20, v12
	s_delay_alu instid0(VALU_DEP_1) | instskip(NEXT) | instid1(VALU_DEP_1)
	v_fma_f32 v7, -v9, v22, v16
	v_div_fmas_f32 v4, v7, v12, v22
	s_mov_b32 vcc_lo, s3
	v_div_fmas_f32 v6, v6, v10, v15
	v_cmp_class_f32_e64 vcc_lo, v2, 0x1f8
	s_delay_alu instid0(VALU_DEP_3) | instskip(NEXT) | instid1(VALU_DEP_3)
	v_div_fixup_f32 v4, v4, v0, 1.0
	v_div_fixup_f32 v5, v6, v1, 1.0
	v_cndmask_b32_e32 v0, 0, v2, vcc_lo
	v_cmp_class_f32_e64 vcc_lo, v3, 0x1f8
	v_cndmask_b32_e32 v1, 0, v3, vcc_lo
	v_cmp_class_f32_e64 vcc_lo, v4, 0x1f8
	;; [unrolled: 2-line block ×3, first 2 shown]
	v_cndmask_b32_e32 v3, 0, v5, vcc_lo
	s_cbranch_scc1 .LBB315_10
; %bb.4:
	s_load_b128 s[4:7], s[6:7], 0x0
	s_waitcnt lgkmcnt(0)
	v_dual_add_f32 v4, s4, v0 :: v_dual_add_f32 v5, s5, v1
	v_dual_add_f32 v6, s6, v2 :: v_dual_add_f32 v7, s7, v3
	s_cbranch_execnz .LBB315_6
.LBB315_5:
	v_dual_mov_b32 v7, v3 :: v_dual_mov_b32 v6, v2
	v_dual_mov_b32 v5, v1 :: v_dual_mov_b32 v4, v0
.LBB315_6:
	s_load_b128 s[4:7], s[0:1], 0x30
	s_waitcnt lgkmcnt(0)
	s_bitcmp1_b32 s7, 0
	s_mov_b32 s7, 0
	s_cselect_b32 vcc_lo, -1, 0
	s_cmp_gt_i32 s4, 0
	s_cselect_b32 s3, -1, 0
	s_cmp_lt_i32 s4, 1
	s_cbranch_scc1 .LBB315_11
; %bb.7:
	v_mul_lo_u32 v8, v14, s4
	s_load_b128 s[12:15], s[0:1], 0x20
	v_dual_mov_b32 v15, 0 :: v_dual_mov_b32 v16, v14
	s_delay_alu instid0(VALU_DEP_2) | instskip(NEXT) | instid1(VALU_DEP_1)
	v_ashrrev_i32_e32 v9, 31, v8
	v_lshlrev_b64 v[12:13], 2, v[8:9]
	s_delay_alu instid0(VALU_DEP_1) | instskip(NEXT) | instid1(VALU_DEP_1)
	v_add_co_u32 v8, s0, s8, v12
	v_add_co_ci_u32_e64 v9, s0, s9, v13, s0
	s_waitcnt lgkmcnt(0)
	v_add_co_u32 v10, s0, s12, v12
	s_delay_alu instid0(VALU_DEP_1) | instskip(SKIP_1) | instid1(VALU_DEP_1)
	v_add_co_ci_u32_e64 v11, s0, s13, v13, s0
	v_add_co_u32 v12, s0, s14, v12
	v_add_co_ci_u32_e64 v13, s0, s15, v13, s0
.LBB315_8:                              ; =>This Inner Loop Header: Depth=1
	v_cmp_gt_f32_e64 s0, v5, v4
	s_add_i32 s7, s7, 1
	s_delay_alu instid0(VALU_DEP_1) | instskip(SKIP_2) | instid1(VALU_DEP_3)
	v_cndmask_b32_e64 v18, v4, v5, s0
	v_cndmask_b32_e64 v17, 0, 1, s0
	;; [unrolled: 1-line block ×3, first 2 shown]
	v_cmp_gt_f32_e64 s1, v6, v18
	s_delay_alu instid0(VALU_DEP_1) | instskip(NEXT) | instid1(VALU_DEP_4)
	v_cndmask_b32_e64 v18, v18, v6, s1
	v_cndmask_b32_e64 v17, v17, 2, s1
	s_delay_alu instid0(VALU_DEP_4) | instskip(NEXT) | instid1(VALU_DEP_3)
	v_cndmask_b32_e64 v19, v19, v2, s1
	v_cmp_gt_f32_e64 s0, v7, v18
	s_delay_alu instid0(VALU_DEP_1) | instskip(NEXT) | instid1(VALU_DEP_3)
	v_cndmask_b32_e64 v17, v17, 3, s0
	v_cndmask_b32_e64 v18, v19, v3, s0
	s_delay_alu instid0(VALU_DEP_2)
	v_cmp_ne_u32_e64 s2, 0, v17
	v_cmp_le_i32_e64 s0, s5, v17
	v_cmp_gt_i32_e64 s1, s6, v17
	v_subrev_nc_u32_e32 v19, s5, v17
	v_add_f32_e32 v23, v15, v18
	v_cndmask_b32_e64 v20, 0xc61c4000, v4, s2
	v_cmp_ne_u32_e64 s2, 1, v17
	s_and_b32 s0, s0, s1
	global_store_b32 v[8:9], v18, off
	s_and_b32 s0, s11, s0
	s_cmp_lt_i32 s7, s4
	v_cndmask_b32_e64 v21, 0xc61c4000, v5, s2
	v_cmp_ne_u32_e64 s2, 2, v17
	v_cndmask_b32_e64 v18, 4, v19, s0
	s_cselect_b32 s0, -1, 0
	global_store_b32 v[10:11], v18, off
	global_store_b32 v[12:13], v16, off
	v_add_nc_u32_e32 v16, s10, v16
	v_cndmask_b32_e64 v22, 0xc61c4000, v6, s2
	v_cmp_ne_u32_e64 s2, 3, v17
	v_cndmask_b32_e64 v5, v5, v21, s0
	v_cndmask_b32_e64 v4, v4, v20, s0
	v_cndmask_b32_e32 v15, v15, v23, vcc_lo
	v_cndmask_b32_e64 v6, v6, v22, s0
	v_cndmask_b32_e64 v17, 0xc61c4000, v7, s2
	s_cmp_eq_u32 s4, s7
	s_delay_alu instid0(VALU_DEP_1) | instskip(SKIP_1) | instid1(VALU_DEP_1)
	v_cndmask_b32_e64 v7, v7, v17, s0
	v_add_co_u32 v8, s0, v8, 4
	v_add_co_ci_u32_e64 v9, s0, 0, v9, s0
	v_add_co_u32 v10, s0, v10, 4
	s_delay_alu instid0(VALU_DEP_1) | instskip(SKIP_1) | instid1(VALU_DEP_1)
	v_add_co_ci_u32_e64 v11, s0, 0, v11, s0
	v_add_co_u32 v12, s0, v12, 4
	v_add_co_ci_u32_e64 v13, s0, 0, v13, s0
	s_cbranch_scc0 .LBB315_8
; %bb.9:
	s_and_b32 vcc_lo, exec_lo, vcc_lo
	s_cbranch_vccnz .LBB315_12
	s_branch .LBB315_15
.LBB315_10:
                                        ; implicit-def: $vgpr4_vgpr5_vgpr6_vgpr7
	s_and_not1_b32 vcc_lo, exec_lo, s12
	s_cbranch_vccz .LBB315_5
	s_branch .LBB315_6
.LBB315_11:
	v_mov_b32_e32 v15, 0
	s_and_b32 vcc_lo, exec_lo, vcc_lo
	s_cbranch_vccz .LBB315_15
.LBB315_12:
	s_and_not1_b32 vcc_lo, exec_lo, s3
	s_cbranch_vccnz .LBB315_15
; %bb.13:
	v_mul_lo_u32 v0, v14, s4
	v_cmp_lt_f32_e32 vcc_lo, 0, v15
	v_cndmask_b32_e32 v2, 1.0, v15, vcc_lo
	s_delay_alu instid0(VALU_DEP_3) | instskip(NEXT) | instid1(VALU_DEP_1)
	v_ashrrev_i32_e32 v1, 31, v0
	v_lshlrev_b64 v[0:1], 2, v[0:1]
	s_delay_alu instid0(VALU_DEP_1) | instskip(NEXT) | instid1(VALU_DEP_2)
	v_add_co_u32 v0, vcc_lo, s8, v0
	v_add_co_ci_u32_e32 v1, vcc_lo, s9, v1, vcc_lo
	.p2align	6
.LBB315_14:                             ; =>This Inner Loop Header: Depth=1
	global_load_b32 v3, v[0:1], off
	s_add_i32 s4, s4, -1
	s_delay_alu instid0(SALU_CYCLE_1) | instskip(SKIP_3) | instid1(VALU_DEP_2)
	s_cmp_lg_u32 s4, 0
	s_waitcnt vmcnt(0)
	v_div_scale_f32 v4, null, v2, v2, v3
	v_div_scale_f32 v7, vcc_lo, v3, v2, v3
	v_rcp_f32_e32 v5, v4
	s_waitcnt_depctr 0xfff
	v_fma_f32 v6, -v4, v5, 1.0
	s_delay_alu instid0(VALU_DEP_1) | instskip(NEXT) | instid1(VALU_DEP_1)
	v_fmac_f32_e32 v5, v6, v5
	v_mul_f32_e32 v6, v7, v5
	s_delay_alu instid0(VALU_DEP_1) | instskip(NEXT) | instid1(VALU_DEP_1)
	v_fma_f32 v8, -v4, v6, v7
	v_fmac_f32_e32 v6, v8, v5
	s_delay_alu instid0(VALU_DEP_1) | instskip(NEXT) | instid1(VALU_DEP_1)
	v_fma_f32 v4, -v4, v6, v7
	v_div_fmas_f32 v4, v4, v5, v6
	s_delay_alu instid0(VALU_DEP_1)
	v_div_fixup_f32 v3, v4, v2, v3
	global_store_b32 v[0:1], v3, off
	v_add_co_u32 v0, vcc_lo, v0, 4
	v_add_co_ci_u32_e32 v1, vcc_lo, 0, v1, vcc_lo
	s_cbranch_scc1 .LBB315_14
.LBB315_15:
	s_nop 0
	s_sendmsg sendmsg(MSG_DEALLOC_VGPRS)
	s_endpgm
	.section	.rodata,"a",@progbits
	.p2align	6, 0x0
	.amdhsa_kernel _ZN4vllm3moe10topkGatingILi4ELi4ELi4ELi8ELi32Ei14__hip_bfloat16LNS0_11ScoringFuncE1EEEvPKT5_PKbPfiPT4_PiiiibPKf
		.amdhsa_group_segment_fixed_size 0
		.amdhsa_private_segment_fixed_size 0
		.amdhsa_kernarg_size 72
		.amdhsa_user_sgpr_count 15
		.amdhsa_user_sgpr_dispatch_ptr 0
		.amdhsa_user_sgpr_queue_ptr 0
		.amdhsa_user_sgpr_kernarg_segment_ptr 1
		.amdhsa_user_sgpr_dispatch_id 0
		.amdhsa_user_sgpr_private_segment_size 0
		.amdhsa_wavefront_size32 1
		.amdhsa_uses_dynamic_stack 0
		.amdhsa_enable_private_segment 0
		.amdhsa_system_sgpr_workgroup_id_x 1
		.amdhsa_system_sgpr_workgroup_id_y 0
		.amdhsa_system_sgpr_workgroup_id_z 0
		.amdhsa_system_sgpr_workgroup_info 0
		.amdhsa_system_vgpr_workitem_id 1
		.amdhsa_next_free_vgpr 24
		.amdhsa_next_free_sgpr 16
		.amdhsa_reserve_vcc 1
		.amdhsa_float_round_mode_32 0
		.amdhsa_float_round_mode_16_64 0
		.amdhsa_float_denorm_mode_32 3
		.amdhsa_float_denorm_mode_16_64 3
		.amdhsa_dx10_clamp 1
		.amdhsa_ieee_mode 1
		.amdhsa_fp16_overflow 0
		.amdhsa_workgroup_processor_mode 1
		.amdhsa_memory_ordered 1
		.amdhsa_forward_progress 0
		.amdhsa_shared_vgpr_count 0
		.amdhsa_exception_fp_ieee_invalid_op 0
		.amdhsa_exception_fp_denorm_src 0
		.amdhsa_exception_fp_ieee_div_zero 0
		.amdhsa_exception_fp_ieee_overflow 0
		.amdhsa_exception_fp_ieee_underflow 0
		.amdhsa_exception_fp_ieee_inexact 0
		.amdhsa_exception_int_div_zero 0
	.end_amdhsa_kernel
	.section	.text._ZN4vllm3moe10topkGatingILi4ELi4ELi4ELi8ELi32Ei14__hip_bfloat16LNS0_11ScoringFuncE1EEEvPKT5_PKbPfiPT4_PiiiibPKf,"axG",@progbits,_ZN4vllm3moe10topkGatingILi4ELi4ELi4ELi8ELi32Ei14__hip_bfloat16LNS0_11ScoringFuncE1EEEvPKT5_PKbPfiPT4_PiiiibPKf,comdat
.Lfunc_end315:
	.size	_ZN4vllm3moe10topkGatingILi4ELi4ELi4ELi8ELi32Ei14__hip_bfloat16LNS0_11ScoringFuncE1EEEvPKT5_PKbPfiPT4_PiiiibPKf, .Lfunc_end315-_ZN4vllm3moe10topkGatingILi4ELi4ELi4ELi8ELi32Ei14__hip_bfloat16LNS0_11ScoringFuncE1EEEvPKT5_PKbPfiPT4_PiiiibPKf
                                        ; -- End function
	.section	.AMDGPU.csdata,"",@progbits
; Kernel info:
; codeLenInByte = 1572
; NumSgprs: 18
; NumVgprs: 24
; ScratchSize: 0
; MemoryBound: 0
; FloatMode: 240
; IeeeMode: 1
; LDSByteSize: 0 bytes/workgroup (compile time only)
; SGPRBlocks: 2
; VGPRBlocks: 2
; NumSGPRsForWavesPerEU: 18
; NumVGPRsForWavesPerEU: 24
; Occupancy: 16
; WaveLimiterHint : 0
; COMPUTE_PGM_RSRC2:SCRATCH_EN: 0
; COMPUTE_PGM_RSRC2:USER_SGPR: 15
; COMPUTE_PGM_RSRC2:TRAP_HANDLER: 0
; COMPUTE_PGM_RSRC2:TGID_X_EN: 1
; COMPUTE_PGM_RSRC2:TGID_Y_EN: 0
; COMPUTE_PGM_RSRC2:TGID_Z_EN: 0
; COMPUTE_PGM_RSRC2:TIDIG_COMP_CNT: 1
	.section	.text._ZN4vllm3moe10topkGatingILi8ELi8ELi4ELi16ELi64Ei14__hip_bfloat16LNS0_11ScoringFuncE1EEEvPKT5_PKbPfiPT4_PiiiibPKf,"axG",@progbits,_ZN4vllm3moe10topkGatingILi8ELi8ELi4ELi16ELi64Ei14__hip_bfloat16LNS0_11ScoringFuncE1EEEvPKT5_PKbPfiPT4_PiiiibPKf,comdat
	.protected	_ZN4vllm3moe10topkGatingILi8ELi8ELi4ELi16ELi64Ei14__hip_bfloat16LNS0_11ScoringFuncE1EEEvPKT5_PKbPfiPT4_PiiiibPKf ; -- Begin function _ZN4vllm3moe10topkGatingILi8ELi8ELi4ELi16ELi64Ei14__hip_bfloat16LNS0_11ScoringFuncE1EEEvPKT5_PKbPfiPT4_PiiiibPKf
	.globl	_ZN4vllm3moe10topkGatingILi8ELi8ELi4ELi16ELi64Ei14__hip_bfloat16LNS0_11ScoringFuncE1EEEvPKT5_PKbPfiPT4_PiiiibPKf
	.p2align	8
	.type	_ZN4vllm3moe10topkGatingILi8ELi8ELi4ELi16ELi64Ei14__hip_bfloat16LNS0_11ScoringFuncE1EEEvPKT5_PKbPfiPT4_PiiiibPKf,@function
_ZN4vllm3moe10topkGatingILi8ELi8ELi4ELi16ELi64Ei14__hip_bfloat16LNS0_11ScoringFuncE1EEEvPKT5_PKbPfiPT4_PiiiibPKf: ; @_ZN4vllm3moe10topkGatingILi8ELi8ELi4ELi16ELi64Ei14__hip_bfloat16LNS0_11ScoringFuncE1EEEvPKT5_PKbPfiPT4_PiiiibPKf
; %bb.0:
	s_load_b32 s14, s[0:1], 0x18
	v_bfe_u32 v1, v0, 10, 10
	v_and_b32_e32 v0, 0x3ff, v0
	s_lshl_b32 s2, s15, 8
	s_delay_alu instid0(VALU_DEP_2) | instskip(NEXT) | instid1(VALU_DEP_1)
	v_lshlrev_b32_e32 v1, 6, v1
	v_add3_u32 v16, v1, v0, s2
	s_mov_b32 s2, exec_lo
	s_waitcnt lgkmcnt(0)
	s_delay_alu instid0(VALU_DEP_1)
	v_cmpx_gt_i32_e64 s14, v16
	s_cbranch_execz .LBB316_15
; %bb.1:
	s_clause 0x1
	s_load_b128 s[4:7], s[0:1], 0x0
	s_load_b64 s[12:13], s[0:1], 0x10
	s_mov_b32 s9, -1
	s_mov_b32 s15, -1
	s_waitcnt lgkmcnt(0)
	s_cmp_eq_u64 s[6:7], 0
	s_cbranch_scc1 .LBB316_3
; %bb.2:
	v_ashrrev_i32_e32 v1, 31, v16
	v_add_co_u32 v0, vcc_lo, s6, v16
	s_delay_alu instid0(VALU_DEP_2) | instskip(SKIP_3) | instid1(VALU_DEP_1)
	v_add_co_ci_u32_e32 v1, vcc_lo, s7, v1, vcc_lo
	global_load_u8 v0, v[0:1], off
	s_waitcnt vmcnt(0)
	v_and_b32_e32 v0, 1, v0
	v_cmp_eq_u32_e32 vcc_lo, 1, v0
	s_xor_b32 s2, vcc_lo, -1
	s_delay_alu instid0(SALU_CYCLE_1)
	s_or_not1_b32 s15, s2, exec_lo
.LBB316_3:
	v_lshlrev_b32_e32 v0, 3, v16
	s_load_b64 s[10:11], s[0:1], 0x40
	s_delay_alu instid0(VALU_DEP_1) | instskip(NEXT) | instid1(VALU_DEP_1)
	v_ashrrev_i32_e32 v1, 31, v0
	v_lshlrev_b64 v[0:1], 1, v[0:1]
	s_delay_alu instid0(VALU_DEP_1) | instskip(NEXT) | instid1(VALU_DEP_2)
	v_add_co_u32 v0, vcc_lo, s4, v0
	v_add_co_ci_u32_e32 v1, vcc_lo, s5, v1, vcc_lo
	s_waitcnt lgkmcnt(0)
	s_cmp_eq_u64 s[10:11], 0
	global_load_b128 v[0:3], v[0:1], off
	s_waitcnt vmcnt(0)
	v_lshlrev_b32_e32 v5, 16, v1
	v_and_b32_e32 v1, 0xffff0000, v1
	s_delay_alu instid0(VALU_DEP_1) | instskip(NEXT) | instid1(VALU_DEP_1)
	v_dual_mul_f32 v1, 0xbfb8aa3b, v1 :: v_dual_lshlrev_b32 v4, 16, v0
	v_dual_mul_f32 v4, 0xbfb8aa3b, v4 :: v_dual_mul_f32 v5, 0xbfb8aa3b, v5
	s_delay_alu instid0(VALU_DEP_2) | instskip(NEXT) | instid1(VALU_DEP_1)
	v_exp_f32_e32 v1, v1
	v_exp_f32_e32 v4, v4
	s_delay_alu instid0(VALU_DEP_1) | instskip(NEXT) | instid1(TRANS32_DEP_3)
	v_exp_f32_e32 v5, v5
	v_dual_add_f32 v1, 1.0, v1 :: v_dual_and_b32 v0, 0xffff0000, v0
	s_waitcnt_depctr 0xfff
	v_dual_add_f32 v4, 1.0, v4 :: v_dual_add_f32 v5, 1.0, v5
	v_dual_mul_f32 v0, 0xbfb8aa3b, v0 :: v_dual_lshlrev_b32 v7, 16, v3
	v_lshlrev_b32_e32 v6, 16, v2
	v_and_b32_e32 v2, 0xffff0000, v2
	s_delay_alu instid0(VALU_DEP_4) | instskip(NEXT) | instid1(VALU_DEP_4)
	v_div_scale_f32 v12, null, v5, v5, 1.0
	v_exp_f32_e32 v0, v0
	v_mul_f32_e32 v7, 0xbfb8aa3b, v7
	v_and_b32_e32 v3, 0xffff0000, v3
	v_div_scale_f32 v14, null, v1, v1, 1.0
	v_rcp_f32_e32 v26, v12
	s_delay_alu instid0(VALU_DEP_3) | instskip(SKIP_1) | instid1(VALU_DEP_2)
	v_exp_f32_e32 v7, v7
	v_mul_f32_e32 v2, 0xbfb8aa3b, v2
	v_rcp_f32_e32 v27, v14
	v_div_scale_f32 v13, s3, 1.0, v5, 1.0
	v_add_f32_e32 v0, 1.0, v0
	v_dual_mul_f32 v6, 0xbfb8aa3b, v6 :: v_dual_mul_f32 v3, 0xbfb8aa3b, v3
	v_div_scale_f32 v15, s4, 1.0, v1, 1.0
	s_delay_alu instid0(VALU_DEP_3) | instskip(NEXT) | instid1(TRANS32_DEP_2)
	v_div_scale_f32 v10, null, v0, v0, 1.0
	v_add_f32_e32 v7, 1.0, v7
	v_exp_f32_e32 v2, v2
	v_exp_f32_e32 v6, v6
	s_delay_alu instid0(VALU_DEP_2)
	v_rcp_f32_e32 v25, v10
	v_exp_f32_e32 v3, v3
	v_div_scale_f32 v21, null, v7, v7, 1.0
	v_fma_f32 v35, -v12, v26, 1.0
	v_fma_f32 v36, -v14, v27, 1.0
	v_div_scale_f32 v11, s2, 1.0, v0, 1.0
	s_delay_alu instid0(VALU_DEP_4) | instskip(SKIP_1) | instid1(TRANS32_DEP_3)
	v_rcp_f32_e32 v30, v21
	v_add_f32_e32 v6, 1.0, v6
	v_fma_f32 v34, -v10, v25, 1.0
	s_delay_alu instid0(TRANS32_DEP_2) | instskip(SKIP_1) | instid1(VALU_DEP_3)
	v_dual_add_f32 v9, 1.0, v3 :: v_dual_add_f32 v8, 1.0, v2
	v_div_scale_f32 v2, null, v4, v4, 1.0
	v_fmac_f32_e32 v25, v34, v25
	v_div_scale_f32 v17, null, v6, v6, 1.0
	s_delay_alu instid0(VALU_DEP_4) | instskip(NEXT) | instid1(VALU_DEP_4)
	v_div_scale_f32 v19, null, v8, v8, 1.0
	v_rcp_f32_e32 v24, v2
	v_div_scale_f32 v23, null, v9, v9, 1.0
	s_delay_alu instid0(VALU_DEP_2) | instskip(SKIP_2) | instid1(VALU_DEP_2)
	v_rcp_f32_e32 v29, v19
	v_rcp_f32_e32 v28, v17
	v_div_scale_f32 v3, vcc_lo, 1.0, v4, 1.0
	v_rcp_f32_e32 v31, v23
	v_div_scale_f32 v20, s6, 1.0, v8, 1.0
	v_fma_f32 v33, -v2, v24, 1.0
	v_fmac_f32_e32 v27, v36, v27
	v_div_scale_f32 v18, s5, 1.0, v6, 1.0
	s_delay_alu instid0(TRANS32_DEP_3) | instskip(NEXT) | instid1(VALU_DEP_4)
	v_fma_f32 v38, -v19, v29, 1.0
	v_fmac_f32_e32 v24, v33, v24
	s_delay_alu instid0(TRANS32_DEP_2) | instskip(SKIP_1) | instid1(TRANS32_DEP_1)
	v_fma_f32 v37, -v17, v28, 1.0
	v_fmac_f32_e32 v26, v35, v26
	v_fma_f32 v40, -v23, v31, 1.0
	v_fmac_f32_e32 v29, v38, v29
	v_mul_f32_e32 v33, v3, v24
	v_fma_f32 v39, -v21, v30, 1.0
	s_delay_alu instid0(VALU_DEP_4)
	v_dual_fmac_f32 v28, v37, v28 :: v_dual_fmac_f32 v31, v40, v31
	v_dual_mul_f32 v34, v11, v25 :: v_dual_mul_f32 v35, v13, v26
	v_div_scale_f32 v32, s8, 1.0, v9, 1.0
	v_mul_f32_e32 v38, v20, v29
	v_fma_f32 v41, -v2, v33, v3
	v_div_scale_f32 v22, s7, 1.0, v7, 1.0
	v_dual_fmac_f32 v30, v39, v30 :: v_dual_mul_f32 v37, v18, v28
	v_mul_f32_e32 v36, v15, v27
	v_fma_f32 v42, -v10, v34, v11
	v_fma_f32 v43, -v12, v35, v13
	s_delay_alu instid0(VALU_DEP_4) | instskip(SKIP_2) | instid1(VALU_DEP_4)
	v_dual_mul_f32 v39, v22, v30 :: v_dual_mul_f32 v40, v32, v31
	v_fmac_f32_e32 v33, v41, v24
	v_fma_f32 v44, -v14, v36, v15
	v_dual_fmac_f32 v34, v42, v25 :: v_dual_fmac_f32 v35, v43, v26
	v_fma_f32 v45, -v17, v37, v18
	v_fma_f32 v46, -v19, v38, v20
	;; [unrolled: 1-line block ×3, first 2 shown]
	v_fmac_f32_e32 v36, v44, v27
	v_fma_f32 v3, -v10, v34, v11
	v_fmac_f32_e32 v37, v45, v28
	v_fma_f32 v10, -v12, v35, v13
	v_fma_f32 v47, -v21, v39, v22
	v_fmac_f32_e32 v38, v46, v29
	v_div_fmas_f32 v2, v2, v24, v33
	s_mov_b32 vcc_lo, s2
	v_fma_f32 v11, -v14, v36, v15
	v_fmac_f32_e32 v39, v47, v30
	v_div_fmas_f32 v3, v3, v25, v34
	s_mov_b32 vcc_lo, s3
	v_fma_f32 v12, -v17, v37, v18
	v_div_fmas_f32 v10, v10, v26, v35
	s_mov_b32 vcc_lo, s4
	v_fma_f32 v13, -v19, v38, v20
	v_div_fixup_f32 v2, v2, v4, 1.0
	v_div_fmas_f32 v4, v11, v27, v36
	s_mov_b32 vcc_lo, s5
	v_fma_f32 v48, -v23, v40, v32
	v_div_fmas_f32 v11, v12, v28, v37
	s_mov_b32 vcc_lo, s6
	v_div_fixup_f32 v5, v10, v5, 1.0
	v_div_fmas_f32 v10, v13, v29, v38
	v_cmp_class_f32_e64 vcc_lo, v2, 0x1f8
	v_fma_f32 v14, -v21, v39, v22
	v_div_fixup_f32 v3, v3, v0, 1.0
	v_div_fixup_f32 v4, v4, v1, 1.0
	v_fmac_f32_e32 v40, v48, v31
	v_cndmask_b32_e32 v0, 0, v2, vcc_lo
	s_mov_b32 vcc_lo, s7
	v_div_fixup_f32 v6, v11, v6, 1.0
	v_div_fmas_f32 v12, v14, v30, v39
	v_cmp_class_f32_e64 vcc_lo, v3, 0x1f8
	v_fma_f32 v15, -v23, v40, v32
	s_delay_alu instid0(VALU_DEP_3) | instskip(SKIP_2) | instid1(VALU_DEP_3)
	v_div_fixup_f32 v7, v12, v7, 1.0
	v_cndmask_b32_e32 v1, 0, v3, vcc_lo
	s_mov_b32 vcc_lo, s8
	v_div_fmas_f32 v11, v15, v31, v40
	v_cmp_class_f32_e64 vcc_lo, v5, 0x1f8
	v_cndmask_b32_e32 v2, 0, v5, vcc_lo
	v_cmp_class_f32_e64 vcc_lo, v4, 0x1f8
	v_div_fixup_f32 v5, v10, v8, 1.0
	v_div_fixup_f32 v8, v11, v9, 1.0
	v_cndmask_b32_e32 v3, 0, v4, vcc_lo
	v_cmp_class_f32_e64 vcc_lo, v6, 0x1f8
	v_cndmask_b32_e32 v4, 0, v6, vcc_lo
	v_cmp_class_f32_e64 vcc_lo, v5, 0x1f8
	;; [unrolled: 2-line block ×4, first 2 shown]
	v_cndmask_b32_e32 v7, 0, v8, vcc_lo
	s_cbranch_scc1 .LBB316_10
; %bb.4:
	s_load_b256 s[4:11], s[10:11], 0x0
	s_waitcnt lgkmcnt(0)
	v_dual_add_f32 v8, s4, v0 :: v_dual_add_f32 v9, s5, v1
	v_dual_add_f32 v10, s6, v2 :: v_dual_add_f32 v11, s7, v3
	;; [unrolled: 1-line block ×4, first 2 shown]
	s_cbranch_execnz .LBB316_6
.LBB316_5:
	v_dual_mov_b32 v15, v7 :: v_dual_mov_b32 v14, v6
	v_dual_mov_b32 v13, v5 :: v_dual_mov_b32 v12, v4
	;; [unrolled: 1-line block ×4, first 2 shown]
.LBB316_6:
	s_load_b128 s[4:7], s[0:1], 0x30
	s_mov_b32 s16, 0
	s_waitcnt lgkmcnt(0)
	s_bitcmp1_b32 s7, 0
	s_cselect_b32 vcc_lo, -1, 0
	s_cmp_gt_i32 s4, 0
	s_cselect_b32 s7, -1, 0
	s_cmp_lt_i32 s4, 1
	s_cbranch_scc1 .LBB316_11
; %bb.7:
	s_load_b128 s[8:11], s[0:1], 0x20
	v_mul_lo_u32 v18, v16, s4
	v_mov_b32_e32 v17, 0
	v_mov_b32_e32 v19, v16
.LBB316_8:                              ; =>This Inner Loop Header: Depth=1
	v_cmp_gt_f32_e64 s0, v9, v8
	s_delay_alu instid0(VALU_DEP_1) | instskip(SKIP_2) | instid1(VALU_DEP_3)
	v_cndmask_b32_e64 v21, v8, v9, s0
	v_cndmask_b32_e64 v20, 0, 1, s0
	;; [unrolled: 1-line block ×3, first 2 shown]
	v_cmp_gt_f32_e64 s1, v10, v21
	s_delay_alu instid0(VALU_DEP_1) | instskip(NEXT) | instid1(VALU_DEP_4)
	v_cndmask_b32_e64 v21, v21, v10, s1
	v_cndmask_b32_e64 v20, v20, 2, s1
	s_delay_alu instid0(VALU_DEP_4) | instskip(NEXT) | instid1(VALU_DEP_3)
	v_cndmask_b32_e64 v22, v22, v2, s1
	v_cmp_gt_f32_e64 s2, v11, v21
	s_delay_alu instid0(VALU_DEP_1) | instskip(NEXT) | instid1(VALU_DEP_4)
	v_cndmask_b32_e64 v21, v21, v11, s2
	v_cndmask_b32_e64 v20, v20, 3, s2
	s_delay_alu instid0(VALU_DEP_4) | instskip(NEXT) | instid1(VALU_DEP_3)
	v_cndmask_b32_e64 v22, v22, v3, s2
	v_cmp_gt_f32_e64 s3, v12, v21
	s_delay_alu instid0(VALU_DEP_1) | instskip(NEXT) | instid1(VALU_DEP_4)
	v_cndmask_b32_e64 v24, v21, v12, s3
	v_cndmask_b32_e64 v23, v20, 4, s3
	v_add_nc_u32_e32 v20, s16, v18
	v_cndmask_b32_e64 v26, v22, v4, s3
	s_add_i32 s16, s16, 1
	v_cmp_gt_f32_e64 s0, v13, v24
	s_delay_alu instid0(VALU_DEP_3) | instskip(NEXT) | instid1(VALU_DEP_2)
	v_ashrrev_i32_e32 v21, 31, v20
	v_cndmask_b32_e64 v24, v24, v13, s0
	v_cndmask_b32_e64 v25, v23, 5, s0
	s_delay_alu instid0(VALU_DEP_3) | instskip(SKIP_1) | instid1(VALU_DEP_4)
	v_lshlrev_b64 v[20:21], 2, v[20:21]
	v_cndmask_b32_e64 v26, v26, v5, s0
	v_cmp_gt_f32_e64 s1, v14, v24
	s_delay_alu instid0(VALU_DEP_3) | instskip(NEXT) | instid1(VALU_DEP_2)
	v_add_co_u32 v22, s2, s12, v20
	v_cndmask_b32_e64 v28, v24, v14, s1
	s_waitcnt lgkmcnt(0)
	v_add_co_u32 v24, s0, s8, v20
	v_cndmask_b32_e64 v27, v25, 6, s1
	v_add_co_ci_u32_e64 v25, s0, s9, v21, s0
	v_cmp_gt_f32_e64 s0, v15, v28
	v_add_co_ci_u32_e64 v23, s2, s13, v21, s2
	v_cndmask_b32_e64 v26, v26, v6, s1
	v_add_co_u32 v20, s1, s10, v20
	s_delay_alu instid0(VALU_DEP_4) | instskip(SKIP_1) | instid1(VALU_DEP_4)
	v_cndmask_b32_e64 v27, v27, 7, s0
	v_add_co_ci_u32_e64 v21, s1, s11, v21, s1
	v_cndmask_b32_e64 v26, v26, v7, s0
	s_delay_alu instid0(VALU_DEP_3)
	v_cmp_ne_u32_e64 s2, 0, v27
	v_cmp_le_i32_e64 s0, s5, v27
	v_cmp_gt_i32_e64 s1, s6, v27
	v_subrev_nc_u32_e32 v28, s5, v27
	v_add_f32_e32 v36, v17, v26
	v_cndmask_b32_e64 v29, 0xc61c4000, v8, s2
	v_cmp_ne_u32_e64 s2, 1, v27
	s_and_b32 s1, s0, s1
	v_cmp_ne_u32_e64 s0, 7, v27
	s_delay_alu instid0(VALU_DEP_2) | instskip(SKIP_1) | instid1(VALU_DEP_1)
	v_cndmask_b32_e64 v30, 0xc61c4000, v9, s2
	v_cmp_ne_u32_e64 s2, 2, v27
	v_cndmask_b32_e64 v31, 0xc61c4000, v10, s2
	v_cmp_ne_u32_e64 s2, 3, v27
	s_delay_alu instid0(VALU_DEP_1) | instskip(SKIP_1) | instid1(VALU_DEP_1)
	v_cndmask_b32_e64 v32, 0xc61c4000, v11, s2
	v_cmp_ne_u32_e64 s2, 4, v27
	v_cndmask_b32_e64 v33, 0xc61c4000, v12, s2
	v_cmp_ne_u32_e64 s2, 5, v27
	s_delay_alu instid0(VALU_DEP_1)
	v_cndmask_b32_e64 v34, 0xc61c4000, v13, s2
	v_cmp_ne_u32_e64 s2, 6, v27
	v_cndmask_b32_e64 v27, 0xc61c4000, v15, s0
	s_and_b32 s0, s15, s1
	s_cmp_lt_i32 s16, s4
	v_cndmask_b32_e64 v28, 8, v28, s0
	v_cndmask_b32_e64 v35, 0xc61c4000, v14, s2
	s_cselect_b32 s0, -1, 0
	global_store_b32 v[24:25], v28, off
	global_store_b32 v[20:21], v19, off
	v_add_nc_u32_e32 v19, s14, v19
	v_cndmask_b32_e32 v17, v17, v36, vcc_lo
	v_cndmask_b32_e64 v15, v15, v27, s0
	v_cndmask_b32_e64 v14, v14, v35, s0
	;; [unrolled: 1-line block ×8, first 2 shown]
	s_cmp_eq_u32 s4, s16
	global_store_b32 v[22:23], v26, off
	s_cbranch_scc0 .LBB316_8
; %bb.9:
	s_and_b32 vcc_lo, exec_lo, vcc_lo
	s_cbranch_vccnz .LBB316_12
	s_branch .LBB316_15
.LBB316_10:
                                        ; implicit-def: $vgpr8_vgpr9_vgpr10_vgpr11_vgpr12_vgpr13_vgpr14_vgpr15
	s_and_not1_b32 vcc_lo, exec_lo, s9
	s_cbranch_vccz .LBB316_5
	s_branch .LBB316_6
.LBB316_11:
	v_mov_b32_e32 v17, 0
	s_and_b32 vcc_lo, exec_lo, vcc_lo
	s_cbranch_vccz .LBB316_15
.LBB316_12:
	s_and_not1_b32 vcc_lo, exec_lo, s7
	s_cbranch_vccnz .LBB316_15
; %bb.13:
	v_mul_lo_u32 v0, v16, s4
	v_cmp_lt_f32_e32 vcc_lo, 0, v17
	v_cndmask_b32_e32 v2, 1.0, v17, vcc_lo
	s_delay_alu instid0(VALU_DEP_3) | instskip(NEXT) | instid1(VALU_DEP_1)
	v_ashrrev_i32_e32 v1, 31, v0
	v_lshlrev_b64 v[0:1], 2, v[0:1]
	s_delay_alu instid0(VALU_DEP_1) | instskip(NEXT) | instid1(VALU_DEP_2)
	v_add_co_u32 v0, vcc_lo, s12, v0
	v_add_co_ci_u32_e32 v1, vcc_lo, s13, v1, vcc_lo
	.p2align	6
.LBB316_14:                             ; =>This Inner Loop Header: Depth=1
	global_load_b32 v3, v[0:1], off
	s_add_i32 s4, s4, -1
	s_delay_alu instid0(SALU_CYCLE_1) | instskip(SKIP_3) | instid1(VALU_DEP_2)
	s_cmp_lg_u32 s4, 0
	s_waitcnt vmcnt(0)
	v_div_scale_f32 v4, null, v2, v2, v3
	v_div_scale_f32 v7, vcc_lo, v3, v2, v3
	v_rcp_f32_e32 v5, v4
	s_waitcnt_depctr 0xfff
	v_fma_f32 v6, -v4, v5, 1.0
	s_delay_alu instid0(VALU_DEP_1) | instskip(NEXT) | instid1(VALU_DEP_1)
	v_fmac_f32_e32 v5, v6, v5
	v_mul_f32_e32 v6, v7, v5
	s_delay_alu instid0(VALU_DEP_1) | instskip(NEXT) | instid1(VALU_DEP_1)
	v_fma_f32 v8, -v4, v6, v7
	v_fmac_f32_e32 v6, v8, v5
	s_delay_alu instid0(VALU_DEP_1) | instskip(NEXT) | instid1(VALU_DEP_1)
	v_fma_f32 v4, -v4, v6, v7
	v_div_fmas_f32 v4, v4, v5, v6
	s_delay_alu instid0(VALU_DEP_1)
	v_div_fixup_f32 v3, v4, v2, v3
	global_store_b32 v[0:1], v3, off
	v_add_co_u32 v0, vcc_lo, v0, 4
	v_add_co_ci_u32_e32 v1, vcc_lo, 0, v1, vcc_lo
	s_cbranch_scc1 .LBB316_14
.LBB316_15:
	s_nop 0
	s_sendmsg sendmsg(MSG_DEALLOC_VGPRS)
	s_endpgm
	.section	.rodata,"a",@progbits
	.p2align	6, 0x0
	.amdhsa_kernel _ZN4vllm3moe10topkGatingILi8ELi8ELi4ELi16ELi64Ei14__hip_bfloat16LNS0_11ScoringFuncE1EEEvPKT5_PKbPfiPT4_PiiiibPKf
		.amdhsa_group_segment_fixed_size 0
		.amdhsa_private_segment_fixed_size 0
		.amdhsa_kernarg_size 72
		.amdhsa_user_sgpr_count 15
		.amdhsa_user_sgpr_dispatch_ptr 0
		.amdhsa_user_sgpr_queue_ptr 0
		.amdhsa_user_sgpr_kernarg_segment_ptr 1
		.amdhsa_user_sgpr_dispatch_id 0
		.amdhsa_user_sgpr_private_segment_size 0
		.amdhsa_wavefront_size32 1
		.amdhsa_uses_dynamic_stack 0
		.amdhsa_enable_private_segment 0
		.amdhsa_system_sgpr_workgroup_id_x 1
		.amdhsa_system_sgpr_workgroup_id_y 0
		.amdhsa_system_sgpr_workgroup_id_z 0
		.amdhsa_system_sgpr_workgroup_info 0
		.amdhsa_system_vgpr_workitem_id 1
		.amdhsa_next_free_vgpr 49
		.amdhsa_next_free_sgpr 17
		.amdhsa_reserve_vcc 1
		.amdhsa_float_round_mode_32 0
		.amdhsa_float_round_mode_16_64 0
		.amdhsa_float_denorm_mode_32 3
		.amdhsa_float_denorm_mode_16_64 3
		.amdhsa_dx10_clamp 1
		.amdhsa_ieee_mode 1
		.amdhsa_fp16_overflow 0
		.amdhsa_workgroup_processor_mode 1
		.amdhsa_memory_ordered 1
		.amdhsa_forward_progress 0
		.amdhsa_shared_vgpr_count 0
		.amdhsa_exception_fp_ieee_invalid_op 0
		.amdhsa_exception_fp_denorm_src 0
		.amdhsa_exception_fp_ieee_div_zero 0
		.amdhsa_exception_fp_ieee_overflow 0
		.amdhsa_exception_fp_ieee_underflow 0
		.amdhsa_exception_fp_ieee_inexact 0
		.amdhsa_exception_int_div_zero 0
	.end_amdhsa_kernel
	.section	.text._ZN4vllm3moe10topkGatingILi8ELi8ELi4ELi16ELi64Ei14__hip_bfloat16LNS0_11ScoringFuncE1EEEvPKT5_PKbPfiPT4_PiiiibPKf,"axG",@progbits,_ZN4vllm3moe10topkGatingILi8ELi8ELi4ELi16ELi64Ei14__hip_bfloat16LNS0_11ScoringFuncE1EEEvPKT5_PKbPfiPT4_PiiiibPKf,comdat
.Lfunc_end316:
	.size	_ZN4vllm3moe10topkGatingILi8ELi8ELi4ELi16ELi64Ei14__hip_bfloat16LNS0_11ScoringFuncE1EEEvPKT5_PKbPfiPT4_PiiiibPKf, .Lfunc_end316-_ZN4vllm3moe10topkGatingILi8ELi8ELi4ELi16ELi64Ei14__hip_bfloat16LNS0_11ScoringFuncE1EEEvPKT5_PKbPfiPT4_PiiiibPKf
                                        ; -- End function
	.section	.AMDGPU.csdata,"",@progbits
; Kernel info:
; codeLenInByte = 2240
; NumSgprs: 19
; NumVgprs: 49
; ScratchSize: 0
; MemoryBound: 0
; FloatMode: 240
; IeeeMode: 1
; LDSByteSize: 0 bytes/workgroup (compile time only)
; SGPRBlocks: 2
; VGPRBlocks: 6
; NumSGPRsForWavesPerEU: 19
; NumVGPRsForWavesPerEU: 49
; Occupancy: 16
; WaveLimiterHint : 0
; COMPUTE_PGM_RSRC2:SCRATCH_EN: 0
; COMPUTE_PGM_RSRC2:USER_SGPR: 15
; COMPUTE_PGM_RSRC2:TRAP_HANDLER: 0
; COMPUTE_PGM_RSRC2:TGID_X_EN: 1
; COMPUTE_PGM_RSRC2:TGID_Y_EN: 0
; COMPUTE_PGM_RSRC2:TGID_Z_EN: 0
; COMPUTE_PGM_RSRC2:TIDIG_COMP_CNT: 1
	.section	.text._ZN4vllm3moe10topkGatingILi8ELi8ELi4ELi16ELi32Ei14__hip_bfloat16LNS0_11ScoringFuncE1EEEvPKT5_PKbPfiPT4_PiiiibPKf,"axG",@progbits,_ZN4vllm3moe10topkGatingILi8ELi8ELi4ELi16ELi32Ei14__hip_bfloat16LNS0_11ScoringFuncE1EEEvPKT5_PKbPfiPT4_PiiiibPKf,comdat
	.protected	_ZN4vllm3moe10topkGatingILi8ELi8ELi4ELi16ELi32Ei14__hip_bfloat16LNS0_11ScoringFuncE1EEEvPKT5_PKbPfiPT4_PiiiibPKf ; -- Begin function _ZN4vllm3moe10topkGatingILi8ELi8ELi4ELi16ELi32Ei14__hip_bfloat16LNS0_11ScoringFuncE1EEEvPKT5_PKbPfiPT4_PiiiibPKf
	.globl	_ZN4vllm3moe10topkGatingILi8ELi8ELi4ELi16ELi32Ei14__hip_bfloat16LNS0_11ScoringFuncE1EEEvPKT5_PKbPfiPT4_PiiiibPKf
	.p2align	8
	.type	_ZN4vllm3moe10topkGatingILi8ELi8ELi4ELi16ELi32Ei14__hip_bfloat16LNS0_11ScoringFuncE1EEEvPKT5_PKbPfiPT4_PiiiibPKf,@function
_ZN4vllm3moe10topkGatingILi8ELi8ELi4ELi16ELi32Ei14__hip_bfloat16LNS0_11ScoringFuncE1EEEvPKT5_PKbPfiPT4_PiiiibPKf: ; @_ZN4vllm3moe10topkGatingILi8ELi8ELi4ELi16ELi32Ei14__hip_bfloat16LNS0_11ScoringFuncE1EEEvPKT5_PKbPfiPT4_PiiiibPKf
; %bb.0:
	s_load_b32 s14, s[0:1], 0x18
	v_bfe_u32 v1, v0, 10, 10
	v_and_b32_e32 v0, 0x3ff, v0
	s_lshl_b32 s2, s15, 7
	s_delay_alu instid0(VALU_DEP_2) | instskip(NEXT) | instid1(VALU_DEP_1)
	v_lshlrev_b32_e32 v1, 5, v1
	v_add3_u32 v16, v1, v0, s2
	s_mov_b32 s2, exec_lo
	s_waitcnt lgkmcnt(0)
	s_delay_alu instid0(VALU_DEP_1)
	v_cmpx_gt_i32_e64 s14, v16
	s_cbranch_execz .LBB317_15
; %bb.1:
	s_clause 0x1
	s_load_b128 s[4:7], s[0:1], 0x0
	s_load_b64 s[12:13], s[0:1], 0x10
	s_mov_b32 s9, -1
	s_mov_b32 s15, -1
	s_waitcnt lgkmcnt(0)
	s_cmp_eq_u64 s[6:7], 0
	s_cbranch_scc1 .LBB317_3
; %bb.2:
	v_ashrrev_i32_e32 v1, 31, v16
	v_add_co_u32 v0, vcc_lo, s6, v16
	s_delay_alu instid0(VALU_DEP_2) | instskip(SKIP_3) | instid1(VALU_DEP_1)
	v_add_co_ci_u32_e32 v1, vcc_lo, s7, v1, vcc_lo
	global_load_u8 v0, v[0:1], off
	s_waitcnt vmcnt(0)
	v_and_b32_e32 v0, 1, v0
	v_cmp_eq_u32_e32 vcc_lo, 1, v0
	s_xor_b32 s2, vcc_lo, -1
	s_delay_alu instid0(SALU_CYCLE_1)
	s_or_not1_b32 s15, s2, exec_lo
.LBB317_3:
	v_lshlrev_b32_e32 v0, 3, v16
	s_load_b64 s[10:11], s[0:1], 0x40
	s_delay_alu instid0(VALU_DEP_1) | instskip(NEXT) | instid1(VALU_DEP_1)
	v_ashrrev_i32_e32 v1, 31, v0
	v_lshlrev_b64 v[0:1], 1, v[0:1]
	s_delay_alu instid0(VALU_DEP_1) | instskip(NEXT) | instid1(VALU_DEP_2)
	v_add_co_u32 v0, vcc_lo, s4, v0
	v_add_co_ci_u32_e32 v1, vcc_lo, s5, v1, vcc_lo
	s_waitcnt lgkmcnt(0)
	s_cmp_eq_u64 s[10:11], 0
	global_load_b128 v[0:3], v[0:1], off
	s_waitcnt vmcnt(0)
	v_lshlrev_b32_e32 v5, 16, v1
	v_and_b32_e32 v1, 0xffff0000, v1
	s_delay_alu instid0(VALU_DEP_1) | instskip(NEXT) | instid1(VALU_DEP_1)
	v_dual_mul_f32 v1, 0xbfb8aa3b, v1 :: v_dual_lshlrev_b32 v4, 16, v0
	v_dual_mul_f32 v4, 0xbfb8aa3b, v4 :: v_dual_mul_f32 v5, 0xbfb8aa3b, v5
	s_delay_alu instid0(VALU_DEP_2) | instskip(NEXT) | instid1(VALU_DEP_1)
	v_exp_f32_e32 v1, v1
	v_exp_f32_e32 v4, v4
	s_delay_alu instid0(VALU_DEP_1) | instskip(NEXT) | instid1(TRANS32_DEP_3)
	v_exp_f32_e32 v5, v5
	v_dual_add_f32 v1, 1.0, v1 :: v_dual_and_b32 v0, 0xffff0000, v0
	s_waitcnt_depctr 0xfff
	v_dual_add_f32 v4, 1.0, v4 :: v_dual_add_f32 v5, 1.0, v5
	v_dual_mul_f32 v0, 0xbfb8aa3b, v0 :: v_dual_lshlrev_b32 v7, 16, v3
	v_lshlrev_b32_e32 v6, 16, v2
	v_and_b32_e32 v2, 0xffff0000, v2
	s_delay_alu instid0(VALU_DEP_4) | instskip(NEXT) | instid1(VALU_DEP_4)
	v_div_scale_f32 v12, null, v5, v5, 1.0
	v_exp_f32_e32 v0, v0
	v_mul_f32_e32 v7, 0xbfb8aa3b, v7
	v_and_b32_e32 v3, 0xffff0000, v3
	v_div_scale_f32 v14, null, v1, v1, 1.0
	v_rcp_f32_e32 v26, v12
	s_delay_alu instid0(VALU_DEP_3) | instskip(SKIP_1) | instid1(VALU_DEP_2)
	v_exp_f32_e32 v7, v7
	v_mul_f32_e32 v2, 0xbfb8aa3b, v2
	v_rcp_f32_e32 v27, v14
	v_div_scale_f32 v13, s3, 1.0, v5, 1.0
	v_add_f32_e32 v0, 1.0, v0
	v_dual_mul_f32 v6, 0xbfb8aa3b, v6 :: v_dual_mul_f32 v3, 0xbfb8aa3b, v3
	v_div_scale_f32 v15, s4, 1.0, v1, 1.0
	s_delay_alu instid0(VALU_DEP_3) | instskip(NEXT) | instid1(TRANS32_DEP_2)
	v_div_scale_f32 v10, null, v0, v0, 1.0
	v_add_f32_e32 v7, 1.0, v7
	v_exp_f32_e32 v2, v2
	v_exp_f32_e32 v6, v6
	s_delay_alu instid0(VALU_DEP_2)
	v_rcp_f32_e32 v25, v10
	v_exp_f32_e32 v3, v3
	v_div_scale_f32 v21, null, v7, v7, 1.0
	v_fma_f32 v35, -v12, v26, 1.0
	v_fma_f32 v36, -v14, v27, 1.0
	v_div_scale_f32 v11, s2, 1.0, v0, 1.0
	s_delay_alu instid0(VALU_DEP_4) | instskip(SKIP_1) | instid1(TRANS32_DEP_3)
	v_rcp_f32_e32 v30, v21
	v_add_f32_e32 v6, 1.0, v6
	v_fma_f32 v34, -v10, v25, 1.0
	s_delay_alu instid0(TRANS32_DEP_2) | instskip(SKIP_1) | instid1(VALU_DEP_3)
	v_dual_add_f32 v9, 1.0, v3 :: v_dual_add_f32 v8, 1.0, v2
	v_div_scale_f32 v2, null, v4, v4, 1.0
	v_fmac_f32_e32 v25, v34, v25
	v_div_scale_f32 v17, null, v6, v6, 1.0
	s_delay_alu instid0(VALU_DEP_4) | instskip(NEXT) | instid1(VALU_DEP_4)
	v_div_scale_f32 v19, null, v8, v8, 1.0
	v_rcp_f32_e32 v24, v2
	v_div_scale_f32 v23, null, v9, v9, 1.0
	s_delay_alu instid0(VALU_DEP_2) | instskip(SKIP_2) | instid1(VALU_DEP_2)
	v_rcp_f32_e32 v29, v19
	v_rcp_f32_e32 v28, v17
	v_div_scale_f32 v3, vcc_lo, 1.0, v4, 1.0
	v_rcp_f32_e32 v31, v23
	v_div_scale_f32 v20, s6, 1.0, v8, 1.0
	v_fma_f32 v33, -v2, v24, 1.0
	v_fmac_f32_e32 v27, v36, v27
	v_div_scale_f32 v18, s5, 1.0, v6, 1.0
	s_delay_alu instid0(TRANS32_DEP_3) | instskip(NEXT) | instid1(VALU_DEP_4)
	v_fma_f32 v38, -v19, v29, 1.0
	v_fmac_f32_e32 v24, v33, v24
	s_delay_alu instid0(TRANS32_DEP_2) | instskip(SKIP_1) | instid1(TRANS32_DEP_1)
	v_fma_f32 v37, -v17, v28, 1.0
	v_fmac_f32_e32 v26, v35, v26
	v_fma_f32 v40, -v23, v31, 1.0
	v_fmac_f32_e32 v29, v38, v29
	v_mul_f32_e32 v33, v3, v24
	v_fma_f32 v39, -v21, v30, 1.0
	s_delay_alu instid0(VALU_DEP_4)
	v_dual_fmac_f32 v28, v37, v28 :: v_dual_fmac_f32 v31, v40, v31
	v_dual_mul_f32 v34, v11, v25 :: v_dual_mul_f32 v35, v13, v26
	v_div_scale_f32 v32, s8, 1.0, v9, 1.0
	v_mul_f32_e32 v38, v20, v29
	v_fma_f32 v41, -v2, v33, v3
	v_div_scale_f32 v22, s7, 1.0, v7, 1.0
	v_dual_fmac_f32 v30, v39, v30 :: v_dual_mul_f32 v37, v18, v28
	v_mul_f32_e32 v36, v15, v27
	v_fma_f32 v42, -v10, v34, v11
	v_fma_f32 v43, -v12, v35, v13
	s_delay_alu instid0(VALU_DEP_4) | instskip(SKIP_2) | instid1(VALU_DEP_4)
	v_dual_mul_f32 v39, v22, v30 :: v_dual_mul_f32 v40, v32, v31
	v_fmac_f32_e32 v33, v41, v24
	v_fma_f32 v44, -v14, v36, v15
	v_dual_fmac_f32 v34, v42, v25 :: v_dual_fmac_f32 v35, v43, v26
	v_fma_f32 v45, -v17, v37, v18
	v_fma_f32 v46, -v19, v38, v20
	;; [unrolled: 1-line block ×3, first 2 shown]
	v_fmac_f32_e32 v36, v44, v27
	v_fma_f32 v3, -v10, v34, v11
	v_fmac_f32_e32 v37, v45, v28
	v_fma_f32 v10, -v12, v35, v13
	v_fma_f32 v47, -v21, v39, v22
	v_fmac_f32_e32 v38, v46, v29
	v_div_fmas_f32 v2, v2, v24, v33
	s_mov_b32 vcc_lo, s2
	v_fma_f32 v11, -v14, v36, v15
	v_fmac_f32_e32 v39, v47, v30
	v_div_fmas_f32 v3, v3, v25, v34
	s_mov_b32 vcc_lo, s3
	v_fma_f32 v12, -v17, v37, v18
	v_div_fmas_f32 v10, v10, v26, v35
	s_mov_b32 vcc_lo, s4
	v_fma_f32 v13, -v19, v38, v20
	v_div_fixup_f32 v2, v2, v4, 1.0
	v_div_fmas_f32 v4, v11, v27, v36
	s_mov_b32 vcc_lo, s5
	v_fma_f32 v48, -v23, v40, v32
	v_div_fmas_f32 v11, v12, v28, v37
	s_mov_b32 vcc_lo, s6
	v_div_fixup_f32 v5, v10, v5, 1.0
	v_div_fmas_f32 v10, v13, v29, v38
	v_cmp_class_f32_e64 vcc_lo, v2, 0x1f8
	v_fma_f32 v14, -v21, v39, v22
	v_div_fixup_f32 v3, v3, v0, 1.0
	v_div_fixup_f32 v4, v4, v1, 1.0
	v_fmac_f32_e32 v40, v48, v31
	v_cndmask_b32_e32 v0, 0, v2, vcc_lo
	s_mov_b32 vcc_lo, s7
	v_div_fixup_f32 v6, v11, v6, 1.0
	v_div_fmas_f32 v12, v14, v30, v39
	v_cmp_class_f32_e64 vcc_lo, v3, 0x1f8
	v_fma_f32 v15, -v23, v40, v32
	s_delay_alu instid0(VALU_DEP_3) | instskip(SKIP_2) | instid1(VALU_DEP_3)
	v_div_fixup_f32 v7, v12, v7, 1.0
	v_cndmask_b32_e32 v1, 0, v3, vcc_lo
	s_mov_b32 vcc_lo, s8
	v_div_fmas_f32 v11, v15, v31, v40
	v_cmp_class_f32_e64 vcc_lo, v5, 0x1f8
	v_cndmask_b32_e32 v2, 0, v5, vcc_lo
	v_cmp_class_f32_e64 vcc_lo, v4, 0x1f8
	v_div_fixup_f32 v5, v10, v8, 1.0
	v_div_fixup_f32 v8, v11, v9, 1.0
	v_cndmask_b32_e32 v3, 0, v4, vcc_lo
	v_cmp_class_f32_e64 vcc_lo, v6, 0x1f8
	v_cndmask_b32_e32 v4, 0, v6, vcc_lo
	v_cmp_class_f32_e64 vcc_lo, v5, 0x1f8
	;; [unrolled: 2-line block ×4, first 2 shown]
	v_cndmask_b32_e32 v7, 0, v8, vcc_lo
	s_cbranch_scc1 .LBB317_10
; %bb.4:
	s_load_b256 s[4:11], s[10:11], 0x0
	s_waitcnt lgkmcnt(0)
	v_dual_add_f32 v8, s4, v0 :: v_dual_add_f32 v9, s5, v1
	v_dual_add_f32 v10, s6, v2 :: v_dual_add_f32 v11, s7, v3
	;; [unrolled: 1-line block ×4, first 2 shown]
	s_cbranch_execnz .LBB317_6
.LBB317_5:
	v_dual_mov_b32 v15, v7 :: v_dual_mov_b32 v14, v6
	v_dual_mov_b32 v13, v5 :: v_dual_mov_b32 v12, v4
	;; [unrolled: 1-line block ×4, first 2 shown]
.LBB317_6:
	s_load_b128 s[4:7], s[0:1], 0x30
	s_mov_b32 s16, 0
	s_waitcnt lgkmcnt(0)
	s_bitcmp1_b32 s7, 0
	s_cselect_b32 vcc_lo, -1, 0
	s_cmp_gt_i32 s4, 0
	s_cselect_b32 s7, -1, 0
	s_cmp_lt_i32 s4, 1
	s_cbranch_scc1 .LBB317_11
; %bb.7:
	s_load_b128 s[8:11], s[0:1], 0x20
	v_mul_lo_u32 v18, v16, s4
	v_mov_b32_e32 v17, 0
	v_mov_b32_e32 v19, v16
.LBB317_8:                              ; =>This Inner Loop Header: Depth=1
	v_cmp_gt_f32_e64 s0, v9, v8
	s_delay_alu instid0(VALU_DEP_1) | instskip(SKIP_2) | instid1(VALU_DEP_3)
	v_cndmask_b32_e64 v21, v8, v9, s0
	v_cndmask_b32_e64 v20, 0, 1, s0
	;; [unrolled: 1-line block ×3, first 2 shown]
	v_cmp_gt_f32_e64 s1, v10, v21
	s_delay_alu instid0(VALU_DEP_1) | instskip(NEXT) | instid1(VALU_DEP_4)
	v_cndmask_b32_e64 v21, v21, v10, s1
	v_cndmask_b32_e64 v20, v20, 2, s1
	s_delay_alu instid0(VALU_DEP_4) | instskip(NEXT) | instid1(VALU_DEP_3)
	v_cndmask_b32_e64 v22, v22, v2, s1
	v_cmp_gt_f32_e64 s2, v11, v21
	s_delay_alu instid0(VALU_DEP_1) | instskip(NEXT) | instid1(VALU_DEP_4)
	v_cndmask_b32_e64 v21, v21, v11, s2
	v_cndmask_b32_e64 v20, v20, 3, s2
	s_delay_alu instid0(VALU_DEP_4) | instskip(NEXT) | instid1(VALU_DEP_3)
	v_cndmask_b32_e64 v22, v22, v3, s2
	v_cmp_gt_f32_e64 s3, v12, v21
	s_delay_alu instid0(VALU_DEP_1) | instskip(NEXT) | instid1(VALU_DEP_4)
	v_cndmask_b32_e64 v24, v21, v12, s3
	v_cndmask_b32_e64 v23, v20, 4, s3
	v_add_nc_u32_e32 v20, s16, v18
	v_cndmask_b32_e64 v26, v22, v4, s3
	s_add_i32 s16, s16, 1
	v_cmp_gt_f32_e64 s0, v13, v24
	s_delay_alu instid0(VALU_DEP_3) | instskip(NEXT) | instid1(VALU_DEP_2)
	v_ashrrev_i32_e32 v21, 31, v20
	v_cndmask_b32_e64 v24, v24, v13, s0
	v_cndmask_b32_e64 v25, v23, 5, s0
	s_delay_alu instid0(VALU_DEP_3) | instskip(SKIP_1) | instid1(VALU_DEP_4)
	v_lshlrev_b64 v[20:21], 2, v[20:21]
	v_cndmask_b32_e64 v26, v26, v5, s0
	v_cmp_gt_f32_e64 s1, v14, v24
	s_delay_alu instid0(VALU_DEP_3) | instskip(NEXT) | instid1(VALU_DEP_2)
	v_add_co_u32 v22, s2, s12, v20
	v_cndmask_b32_e64 v28, v24, v14, s1
	s_waitcnt lgkmcnt(0)
	v_add_co_u32 v24, s0, s8, v20
	v_cndmask_b32_e64 v27, v25, 6, s1
	v_add_co_ci_u32_e64 v25, s0, s9, v21, s0
	v_cmp_gt_f32_e64 s0, v15, v28
	v_add_co_ci_u32_e64 v23, s2, s13, v21, s2
	v_cndmask_b32_e64 v26, v26, v6, s1
	v_add_co_u32 v20, s1, s10, v20
	s_delay_alu instid0(VALU_DEP_4) | instskip(SKIP_1) | instid1(VALU_DEP_4)
	v_cndmask_b32_e64 v27, v27, 7, s0
	v_add_co_ci_u32_e64 v21, s1, s11, v21, s1
	v_cndmask_b32_e64 v26, v26, v7, s0
	s_delay_alu instid0(VALU_DEP_3)
	v_cmp_ne_u32_e64 s2, 0, v27
	v_cmp_le_i32_e64 s0, s5, v27
	v_cmp_gt_i32_e64 s1, s6, v27
	v_subrev_nc_u32_e32 v28, s5, v27
	v_add_f32_e32 v36, v17, v26
	v_cndmask_b32_e64 v29, 0xc61c4000, v8, s2
	v_cmp_ne_u32_e64 s2, 1, v27
	s_and_b32 s1, s0, s1
	v_cmp_ne_u32_e64 s0, 7, v27
	s_delay_alu instid0(VALU_DEP_2) | instskip(SKIP_1) | instid1(VALU_DEP_1)
	v_cndmask_b32_e64 v30, 0xc61c4000, v9, s2
	v_cmp_ne_u32_e64 s2, 2, v27
	v_cndmask_b32_e64 v31, 0xc61c4000, v10, s2
	v_cmp_ne_u32_e64 s2, 3, v27
	s_delay_alu instid0(VALU_DEP_1) | instskip(SKIP_1) | instid1(VALU_DEP_1)
	v_cndmask_b32_e64 v32, 0xc61c4000, v11, s2
	v_cmp_ne_u32_e64 s2, 4, v27
	v_cndmask_b32_e64 v33, 0xc61c4000, v12, s2
	v_cmp_ne_u32_e64 s2, 5, v27
	s_delay_alu instid0(VALU_DEP_1)
	v_cndmask_b32_e64 v34, 0xc61c4000, v13, s2
	v_cmp_ne_u32_e64 s2, 6, v27
	v_cndmask_b32_e64 v27, 0xc61c4000, v15, s0
	s_and_b32 s0, s15, s1
	s_cmp_lt_i32 s16, s4
	v_cndmask_b32_e64 v28, 8, v28, s0
	v_cndmask_b32_e64 v35, 0xc61c4000, v14, s2
	s_cselect_b32 s0, -1, 0
	global_store_b32 v[24:25], v28, off
	global_store_b32 v[20:21], v19, off
	v_add_nc_u32_e32 v19, s14, v19
	v_cndmask_b32_e32 v17, v17, v36, vcc_lo
	v_cndmask_b32_e64 v15, v15, v27, s0
	v_cndmask_b32_e64 v14, v14, v35, s0
	;; [unrolled: 1-line block ×8, first 2 shown]
	s_cmp_eq_u32 s4, s16
	global_store_b32 v[22:23], v26, off
	s_cbranch_scc0 .LBB317_8
; %bb.9:
	s_and_b32 vcc_lo, exec_lo, vcc_lo
	s_cbranch_vccnz .LBB317_12
	s_branch .LBB317_15
.LBB317_10:
                                        ; implicit-def: $vgpr8_vgpr9_vgpr10_vgpr11_vgpr12_vgpr13_vgpr14_vgpr15
	s_and_not1_b32 vcc_lo, exec_lo, s9
	s_cbranch_vccz .LBB317_5
	s_branch .LBB317_6
.LBB317_11:
	v_mov_b32_e32 v17, 0
	s_and_b32 vcc_lo, exec_lo, vcc_lo
	s_cbranch_vccz .LBB317_15
.LBB317_12:
	s_and_not1_b32 vcc_lo, exec_lo, s7
	s_cbranch_vccnz .LBB317_15
; %bb.13:
	v_mul_lo_u32 v0, v16, s4
	v_cmp_lt_f32_e32 vcc_lo, 0, v17
	v_cndmask_b32_e32 v2, 1.0, v17, vcc_lo
	s_delay_alu instid0(VALU_DEP_3) | instskip(NEXT) | instid1(VALU_DEP_1)
	v_ashrrev_i32_e32 v1, 31, v0
	v_lshlrev_b64 v[0:1], 2, v[0:1]
	s_delay_alu instid0(VALU_DEP_1) | instskip(NEXT) | instid1(VALU_DEP_2)
	v_add_co_u32 v0, vcc_lo, s12, v0
	v_add_co_ci_u32_e32 v1, vcc_lo, s13, v1, vcc_lo
	.p2align	6
.LBB317_14:                             ; =>This Inner Loop Header: Depth=1
	global_load_b32 v3, v[0:1], off
	s_add_i32 s4, s4, -1
	s_delay_alu instid0(SALU_CYCLE_1) | instskip(SKIP_3) | instid1(VALU_DEP_2)
	s_cmp_lg_u32 s4, 0
	s_waitcnt vmcnt(0)
	v_div_scale_f32 v4, null, v2, v2, v3
	v_div_scale_f32 v7, vcc_lo, v3, v2, v3
	v_rcp_f32_e32 v5, v4
	s_waitcnt_depctr 0xfff
	v_fma_f32 v6, -v4, v5, 1.0
	s_delay_alu instid0(VALU_DEP_1) | instskip(NEXT) | instid1(VALU_DEP_1)
	v_fmac_f32_e32 v5, v6, v5
	v_mul_f32_e32 v6, v7, v5
	s_delay_alu instid0(VALU_DEP_1) | instskip(NEXT) | instid1(VALU_DEP_1)
	v_fma_f32 v8, -v4, v6, v7
	v_fmac_f32_e32 v6, v8, v5
	s_delay_alu instid0(VALU_DEP_1) | instskip(NEXT) | instid1(VALU_DEP_1)
	v_fma_f32 v4, -v4, v6, v7
	v_div_fmas_f32 v4, v4, v5, v6
	s_delay_alu instid0(VALU_DEP_1)
	v_div_fixup_f32 v3, v4, v2, v3
	global_store_b32 v[0:1], v3, off
	v_add_co_u32 v0, vcc_lo, v0, 4
	v_add_co_ci_u32_e32 v1, vcc_lo, 0, v1, vcc_lo
	s_cbranch_scc1 .LBB317_14
.LBB317_15:
	s_nop 0
	s_sendmsg sendmsg(MSG_DEALLOC_VGPRS)
	s_endpgm
	.section	.rodata,"a",@progbits
	.p2align	6, 0x0
	.amdhsa_kernel _ZN4vllm3moe10topkGatingILi8ELi8ELi4ELi16ELi32Ei14__hip_bfloat16LNS0_11ScoringFuncE1EEEvPKT5_PKbPfiPT4_PiiiibPKf
		.amdhsa_group_segment_fixed_size 0
		.amdhsa_private_segment_fixed_size 0
		.amdhsa_kernarg_size 72
		.amdhsa_user_sgpr_count 15
		.amdhsa_user_sgpr_dispatch_ptr 0
		.amdhsa_user_sgpr_queue_ptr 0
		.amdhsa_user_sgpr_kernarg_segment_ptr 1
		.amdhsa_user_sgpr_dispatch_id 0
		.amdhsa_user_sgpr_private_segment_size 0
		.amdhsa_wavefront_size32 1
		.amdhsa_uses_dynamic_stack 0
		.amdhsa_enable_private_segment 0
		.amdhsa_system_sgpr_workgroup_id_x 1
		.amdhsa_system_sgpr_workgroup_id_y 0
		.amdhsa_system_sgpr_workgroup_id_z 0
		.amdhsa_system_sgpr_workgroup_info 0
		.amdhsa_system_vgpr_workitem_id 1
		.amdhsa_next_free_vgpr 49
		.amdhsa_next_free_sgpr 17
		.amdhsa_reserve_vcc 1
		.amdhsa_float_round_mode_32 0
		.amdhsa_float_round_mode_16_64 0
		.amdhsa_float_denorm_mode_32 3
		.amdhsa_float_denorm_mode_16_64 3
		.amdhsa_dx10_clamp 1
		.amdhsa_ieee_mode 1
		.amdhsa_fp16_overflow 0
		.amdhsa_workgroup_processor_mode 1
		.amdhsa_memory_ordered 1
		.amdhsa_forward_progress 0
		.amdhsa_shared_vgpr_count 0
		.amdhsa_exception_fp_ieee_invalid_op 0
		.amdhsa_exception_fp_denorm_src 0
		.amdhsa_exception_fp_ieee_div_zero 0
		.amdhsa_exception_fp_ieee_overflow 0
		.amdhsa_exception_fp_ieee_underflow 0
		.amdhsa_exception_fp_ieee_inexact 0
		.amdhsa_exception_int_div_zero 0
	.end_amdhsa_kernel
	.section	.text._ZN4vllm3moe10topkGatingILi8ELi8ELi4ELi16ELi32Ei14__hip_bfloat16LNS0_11ScoringFuncE1EEEvPKT5_PKbPfiPT4_PiiiibPKf,"axG",@progbits,_ZN4vllm3moe10topkGatingILi8ELi8ELi4ELi16ELi32Ei14__hip_bfloat16LNS0_11ScoringFuncE1EEEvPKT5_PKbPfiPT4_PiiiibPKf,comdat
.Lfunc_end317:
	.size	_ZN4vllm3moe10topkGatingILi8ELi8ELi4ELi16ELi32Ei14__hip_bfloat16LNS0_11ScoringFuncE1EEEvPKT5_PKbPfiPT4_PiiiibPKf, .Lfunc_end317-_ZN4vllm3moe10topkGatingILi8ELi8ELi4ELi16ELi32Ei14__hip_bfloat16LNS0_11ScoringFuncE1EEEvPKT5_PKbPfiPT4_PiiiibPKf
                                        ; -- End function
	.section	.AMDGPU.csdata,"",@progbits
; Kernel info:
; codeLenInByte = 2240
; NumSgprs: 19
; NumVgprs: 49
; ScratchSize: 0
; MemoryBound: 0
; FloatMode: 240
; IeeeMode: 1
; LDSByteSize: 0 bytes/workgroup (compile time only)
; SGPRBlocks: 2
; VGPRBlocks: 6
; NumSGPRsForWavesPerEU: 19
; NumVGPRsForWavesPerEU: 49
; Occupancy: 16
; WaveLimiterHint : 0
; COMPUTE_PGM_RSRC2:SCRATCH_EN: 0
; COMPUTE_PGM_RSRC2:USER_SGPR: 15
; COMPUTE_PGM_RSRC2:TRAP_HANDLER: 0
; COMPUTE_PGM_RSRC2:TGID_X_EN: 1
; COMPUTE_PGM_RSRC2:TGID_Y_EN: 0
; COMPUTE_PGM_RSRC2:TGID_Z_EN: 0
; COMPUTE_PGM_RSRC2:TIDIG_COMP_CNT: 1
	.section	.text._ZN4vllm3moe10topkGatingILi8ELi16ELi4ELi16ELi64Ei14__hip_bfloat16LNS0_11ScoringFuncE1EEEvPKT5_PKbPfiPT4_PiiiibPKf,"axG",@progbits,_ZN4vllm3moe10topkGatingILi8ELi16ELi4ELi16ELi64Ei14__hip_bfloat16LNS0_11ScoringFuncE1EEEvPKT5_PKbPfiPT4_PiiiibPKf,comdat
	.protected	_ZN4vllm3moe10topkGatingILi8ELi16ELi4ELi16ELi64Ei14__hip_bfloat16LNS0_11ScoringFuncE1EEEvPKT5_PKbPfiPT4_PiiiibPKf ; -- Begin function _ZN4vllm3moe10topkGatingILi8ELi16ELi4ELi16ELi64Ei14__hip_bfloat16LNS0_11ScoringFuncE1EEEvPKT5_PKbPfiPT4_PiiiibPKf
	.globl	_ZN4vllm3moe10topkGatingILi8ELi16ELi4ELi16ELi64Ei14__hip_bfloat16LNS0_11ScoringFuncE1EEEvPKT5_PKbPfiPT4_PiiiibPKf
	.p2align	8
	.type	_ZN4vllm3moe10topkGatingILi8ELi16ELi4ELi16ELi64Ei14__hip_bfloat16LNS0_11ScoringFuncE1EEEvPKT5_PKbPfiPT4_PiiiibPKf,@function
_ZN4vllm3moe10topkGatingILi8ELi16ELi4ELi16ELi64Ei14__hip_bfloat16LNS0_11ScoringFuncE1EEEvPKT5_PKbPfiPT4_PiiiibPKf: ; @_ZN4vllm3moe10topkGatingILi8ELi16ELi4ELi16ELi64Ei14__hip_bfloat16LNS0_11ScoringFuncE1EEEvPKT5_PKbPfiPT4_PiiiibPKf
; %bb.0:
	s_load_b32 s18, s[0:1], 0x18
	v_bfe_u32 v1, v0, 10, 10
	v_and_b32_e32 v0, 0x3ff, v0
	s_lshl_b32 s2, s15, 7
	s_delay_alu instid0(VALU_DEP_2) | instskip(NEXT) | instid1(VALU_DEP_2)
	v_lshlrev_b32_e32 v1, 5, v1
	v_lshrrev_b32_e32 v2, 1, v0
	s_delay_alu instid0(VALU_DEP_1) | instskip(SKIP_2) | instid1(VALU_DEP_1)
	v_add3_u32 v16, s2, v1, v2
	s_mov_b32 s2, exec_lo
	s_waitcnt lgkmcnt(0)
	v_cmpx_gt_i32_e64 s18, v16
	s_cbranch_execz .LBB318_25
; %bb.1:
	s_clause 0x1
	s_load_b128 s[4:7], s[0:1], 0x0
	s_load_b64 s[16:17], s[0:1], 0x10
	s_mov_b32 s9, -1
	s_mov_b32 s19, -1
	s_waitcnt lgkmcnt(0)
	s_cmp_eq_u64 s[6:7], 0
	s_cbranch_scc1 .LBB318_3
; %bb.2:
	v_ashrrev_i32_e32 v2, 31, v16
	v_add_co_u32 v1, vcc_lo, s6, v16
	s_delay_alu instid0(VALU_DEP_2) | instskip(SKIP_3) | instid1(VALU_DEP_1)
	v_add_co_ci_u32_e32 v2, vcc_lo, s7, v2, vcc_lo
	global_load_u8 v1, v[1:2], off
	s_waitcnt vmcnt(0)
	v_and_b32_e32 v1, 1, v1
	v_cmp_eq_u32_e32 vcc_lo, 1, v1
	s_xor_b32 s2, vcc_lo, -1
	s_delay_alu instid0(SALU_CYCLE_1)
	s_or_not1_b32 s19, s2, exec_lo
.LBB318_3:
	v_lshlrev_b32_e32 v1, 4, v16
	v_and_b32_e32 v17, 1, v0
	s_load_b64 s[10:11], s[0:1], 0x40
	s_delay_alu instid0(VALU_DEP_2) | instskip(NEXT) | instid1(VALU_DEP_1)
	v_ashrrev_i32_e32 v2, 31, v1
	v_lshlrev_b64 v[0:1], 1, v[1:2]
	s_delay_alu instid0(VALU_DEP_3) | instskip(NEXT) | instid1(VALU_DEP_2)
	v_lshlrev_b32_e32 v2, 4, v17
	v_add_co_u32 v0, vcc_lo, s4, v0
	s_delay_alu instid0(VALU_DEP_3) | instskip(NEXT) | instid1(VALU_DEP_2)
	v_add_co_ci_u32_e32 v1, vcc_lo, s5, v1, vcc_lo
	v_add_co_u32 v0, vcc_lo, v0, v2
	s_delay_alu instid0(VALU_DEP_2)
	v_add_co_ci_u32_e32 v1, vcc_lo, 0, v1, vcc_lo
	s_waitcnt lgkmcnt(0)
	s_cmp_eq_u64 s[10:11], 0
	global_load_b128 v[0:3], v[0:1], off
	s_waitcnt vmcnt(0)
	v_lshlrev_b32_e32 v5, 16, v1
	s_delay_alu instid0(VALU_DEP_1) | instskip(NEXT) | instid1(VALU_DEP_1)
	v_dual_mul_f32 v5, 0xbfb8aa3b, v5 :: v_dual_lshlrev_b32 v4, 16, v0
	v_mul_f32_e32 v4, 0xbfb8aa3b, v4
	s_delay_alu instid0(VALU_DEP_2) | instskip(NEXT) | instid1(VALU_DEP_1)
	v_exp_f32_e32 v5, v5
	v_exp_f32_e32 v4, v4
	v_and_b32_e32 v1, 0xffff0000, v1
	s_waitcnt_depctr 0xfff
	v_dual_add_f32 v5, 1.0, v5 :: v_dual_and_b32 v0, 0xffff0000, v0
	v_add_f32_e32 v4, 1.0, v4
	v_dual_mul_f32 v1, 0xbfb8aa3b, v1 :: v_dual_lshlrev_b32 v6, 16, v2
	s_delay_alu instid0(VALU_DEP_3) | instskip(NEXT) | instid1(VALU_DEP_4)
	v_dual_mul_f32 v0, 0xbfb8aa3b, v0 :: v_dual_lshlrev_b32 v7, 16, v3
	v_div_scale_f32 v12, null, v5, v5, 1.0
	s_delay_alu instid0(VALU_DEP_3) | instskip(SKIP_1) | instid1(VALU_DEP_3)
	v_exp_f32_e32 v1, v1
	v_and_b32_e32 v2, 0xffff0000, v2
	v_exp_f32_e32 v0, v0
	v_and_b32_e32 v3, 0xffff0000, v3
	v_dual_mul_f32 v6, 0xbfb8aa3b, v6 :: v_dual_mul_f32 v7, 0xbfb8aa3b, v7
	v_rcp_f32_e32 v28, v12
	v_div_scale_f32 v13, s3, 1.0, v5, 1.0
	s_delay_alu instid0(VALU_DEP_2) | instskip(SKIP_1) | instid1(TRANS32_DEP_3)
	v_exp_f32_e32 v6, v6
	v_dual_add_f32 v1, 1.0, v1 :: v_dual_mul_f32 v2, 0xbfb8aa3b, v2
	v_dual_add_f32 v0, 1.0, v0 :: v_dual_mul_f32 v3, 0xbfb8aa3b, v3
	v_lshlrev_b32_e32 v18, 3, v17
	v_exp_f32_e32 v7, v7
	s_delay_alu instid0(VALU_DEP_3) | instskip(NEXT) | instid1(VALU_DEP_2)
	v_exp_f32_e32 v2, v2
	v_div_scale_f32 v10, null, v0, v0, 1.0
	v_exp_f32_e32 v3, v3
	v_add_f32_e32 v6, 1.0, v6
	v_div_scale_f32 v14, null, v1, v1, 1.0
	s_delay_alu instid0(VALU_DEP_3) | instskip(SKIP_1) | instid1(TRANS32_DEP_3)
	v_rcp_f32_e32 v27, v10
	v_fma_f32 v37, -v12, v28, 1.0
	v_dual_add_f32 v7, 1.0, v7 :: v_dual_add_f32 v8, 1.0, v2
	v_div_scale_f32 v2, null, v4, v4, 1.0
	s_delay_alu instid0(TRANS32_DEP_2) | instskip(SKIP_1) | instid1(VALU_DEP_4)
	v_add_f32_e32 v9, 1.0, v3
	v_div_scale_f32 v19, null, v6, v6, 1.0
	v_div_scale_f32 v21, null, v8, v8, 1.0
	s_delay_alu instid0(VALU_DEP_4) | instskip(NEXT) | instid1(VALU_DEP_2)
	v_rcp_f32_e32 v26, v2
	v_rcp_f32_e32 v30, v19
	v_rcp_f32_e32 v29, v14
	s_delay_alu instid0(VALU_DEP_1)
	v_rcp_f32_e32 v31, v21
	v_div_scale_f32 v23, null, v7, v7, 1.0
	v_fma_f32 v36, -v10, v27, 1.0
	v_div_scale_f32 v3, vcc_lo, 1.0, v4, 1.0
	v_div_scale_f32 v11, s2, 1.0, v0, 1.0
	v_fma_f32 v35, -v2, v26, 1.0
	s_delay_alu instid0(TRANS32_DEP_3) | instskip(NEXT) | instid1(TRANS32_DEP_1)
	v_fma_f32 v39, -v19, v30, 1.0
	v_fma_f32 v40, -v21, v31, 1.0
	s_delay_alu instid0(TRANS32_DEP_2) | instskip(SKIP_3) | instid1(VALU_DEP_3)
	v_fma_f32 v38, -v14, v29, 1.0
	v_div_scale_f32 v25, null, v9, v9, 1.0
	v_dual_fmac_f32 v26, v35, v26 :: v_dual_fmac_f32 v27, v36, v27
	v_rcp_f32_e32 v32, v23
	v_dual_fmac_f32 v28, v37, v28 :: v_dual_fmac_f32 v29, v38, v29
	v_div_scale_f32 v22, s6, 1.0, v8, 1.0
	v_dual_fmac_f32 v30, v39, v30 :: v_dual_fmac_f32 v31, v40, v31
	v_mul_f32_e32 v35, v3, v26
	v_div_scale_f32 v15, s4, 1.0, v1, 1.0
	v_rcp_f32_e32 v33, v25
	s_delay_alu instid0(VALU_DEP_3)
	v_mul_f32_e32 v40, v22, v31
	v_dual_mul_f32 v36, v11, v27 :: v_dual_mul_f32 v37, v13, v28
	v_div_scale_f32 v20, s5, 1.0, v6, 1.0
	v_fma_f32 v43, -v2, v35, v3
	v_mul_f32_e32 v38, v15, v29
	v_fma_f32 v41, -v23, v32, 1.0
	s_delay_alu instid0(VALU_DEP_4)
	v_mul_f32_e32 v39, v20, v30
	v_fma_f32 v44, -v10, v36, v11
	v_fma_f32 v45, -v12, v37, v13
	v_fmac_f32_e32 v35, v43, v26
	v_fma_f32 v46, -v14, v38, v15
	v_div_scale_f32 v24, s7, 1.0, v7, 1.0
	v_fmac_f32_e32 v36, v44, v27
	v_fma_f32 v42, -v25, v33, 1.0
	v_fmac_f32_e32 v32, v41, v32
	v_fma_f32 v47, -v19, v39, v20
	v_dual_fmac_f32 v37, v45, v28 :: v_dual_fmac_f32 v38, v46, v29
	v_fma_f32 v48, -v21, v40, v22
	v_fma_f32 v2, -v2, v35, v3
	v_div_scale_f32 v34, s8, 1.0, v9, 1.0
	v_fmac_f32_e32 v33, v42, v33
	v_mul_f32_e32 v41, v24, v32
	v_fma_f32 v3, -v10, v36, v11
	v_dual_fmac_f32 v39, v47, v30 :: v_dual_fmac_f32 v40, v48, v31
	v_fma_f32 v10, -v12, v37, v13
	v_div_fmas_f32 v2, v2, v26, v35
	s_mov_b32 vcc_lo, s2
	v_fma_f32 v11, -v14, v38, v15
	v_mul_f32_e32 v42, v34, v33
	v_fma_f32 v49, -v23, v41, v24
	v_div_fmas_f32 v3, v3, v27, v36
	s_mov_b32 vcc_lo, s3
	v_fma_f32 v12, -v19, v39, v20
	v_div_fmas_f32 v10, v10, v28, v37
	s_mov_b32 vcc_lo, s4
	v_fma_f32 v13, -v21, v40, v22
	v_div_fixup_f32 v2, v2, v4, 1.0
	v_div_fmas_f32 v4, v11, v29, v38
	s_mov_b32 vcc_lo, s5
	v_fma_f32 v50, -v25, v42, v34
	v_fmac_f32_e32 v41, v49, v32
	v_div_fmas_f32 v11, v12, v30, v39
	s_mov_b32 vcc_lo, s6
	v_div_fixup_f32 v5, v10, v5, 1.0
	v_fmac_f32_e32 v42, v50, v33
	v_div_fmas_f32 v10, v13, v31, v40
	v_cmp_class_f32_e64 vcc_lo, v2, 0x1f8
	v_fma_f32 v14, -v23, v41, v24
	v_div_fixup_f32 v3, v3, v0, 1.0
	v_fma_f32 v15, -v25, v42, v34
	v_div_fixup_f32 v4, v4, v1, 1.0
	v_cndmask_b32_e32 v0, 0, v2, vcc_lo
	s_mov_b32 vcc_lo, s7
	v_div_fixup_f32 v6, v11, v6, 1.0
	v_div_fmas_f32 v12, v14, v32, v41
	v_cmp_class_f32_e64 vcc_lo, v3, 0x1f8
	s_delay_alu instid0(VALU_DEP_2)
	v_div_fixup_f32 v7, v12, v7, 1.0
	v_cndmask_b32_e32 v1, 0, v3, vcc_lo
	s_mov_b32 vcc_lo, s8
	v_div_fmas_f32 v11, v15, v33, v42
	v_cmp_class_f32_e64 vcc_lo, v5, 0x1f8
	v_cndmask_b32_e32 v2, 0, v5, vcc_lo
	v_cmp_class_f32_e64 vcc_lo, v4, 0x1f8
	v_div_fixup_f32 v5, v10, v8, 1.0
	v_div_fixup_f32 v8, v11, v9, 1.0
	v_cndmask_b32_e32 v3, 0, v4, vcc_lo
	v_cmp_class_f32_e64 vcc_lo, v6, 0x1f8
	v_cndmask_b32_e32 v4, 0, v6, vcc_lo
	v_cmp_class_f32_e64 vcc_lo, v5, 0x1f8
	;; [unrolled: 2-line block ×4, first 2 shown]
	v_cndmask_b32_e32 v7, 0, v8, vcc_lo
	s_cbranch_scc1 .LBB318_19
; %bb.4:
	v_lshlrev_b32_e32 v12, 2, v18
	s_clause 0x1
	global_load_b128 v[8:11], v12, s[10:11]
	global_load_b128 v[12:15], v12, s[10:11] offset:16
	s_waitcnt vmcnt(1)
	v_dual_add_f32 v9, v9, v1 :: v_dual_add_f32 v8, v8, v0
	v_dual_add_f32 v11, v11, v3 :: v_dual_add_f32 v10, v10, v2
	s_waitcnt vmcnt(0)
	v_dual_add_f32 v13, v13, v5 :: v_dual_add_f32 v12, v12, v4
	v_dual_add_f32 v15, v15, v7 :: v_dual_add_f32 v14, v14, v6
	s_cbranch_execnz .LBB318_6
.LBB318_5:
	v_dual_mov_b32 v15, v7 :: v_dual_mov_b32 v14, v6
	v_dual_mov_b32 v13, v5 :: v_dual_mov_b32 v12, v4
	;; [unrolled: 1-line block ×4, first 2 shown]
.LBB318_6:
	s_load_b128 s[8:11], s[0:1], 0x30
	v_cmp_eq_u32_e64 s2, 0, v17
	s_mov_b32 s6, 0
	s_waitcnt lgkmcnt(0)
	s_bitcmp1_b32 s11, 0
	s_cselect_b32 vcc_lo, -1, 0
	s_cmp_gt_i32 s8, 0
	s_cselect_b32 s5, -1, 0
	s_cmp_lt_i32 s8, 1
	s_cbranch_scc1 .LBB318_20
; %bb.7:
	v_mbcnt_lo_u32_b32 v19, -1, 0
	s_load_b128 s[12:15], s[0:1], 0x20
	v_mov_b32_e32 v22, v16
	s_delay_alu instid0(VALU_DEP_2) | instskip(SKIP_1) | instid1(VALU_DEP_2)
	v_and_b32_e32 v20, 30, v19
	v_xor_b32_e32 v21, 1, v19
	v_add_nc_u32_e32 v20, 2, v20
	s_delay_alu instid0(VALU_DEP_1) | instskip(SKIP_1) | instid1(VALU_DEP_2)
	v_cmp_lt_i32_e64 s0, v21, v20
	v_mul_lo_u32 v20, v16, s8
	v_cndmask_b32_e64 v21, v19, v21, s0
	v_mov_b32_e32 v19, 0
	s_delay_alu instid0(VALU_DEP_2)
	v_lshlrev_b32_e32 v21, 2, v21
	s_branch .LBB318_10
.LBB318_8:                              ;   in Loop: Header=BB318_10 Depth=1
	s_or_b32 exec_lo, exec_lo, s1
.LBB318_9:                              ;   in Loop: Header=BB318_10 Depth=1
	v_add_nc_u32_e32 v22, s18, v22
	s_cmp_eq_u32 s8, s6
	s_cbranch_scc1 .LBB318_21
.LBB318_10:                             ; =>This Inner Loop Header: Depth=1
	v_cmp_gt_f32_e64 s0, v9, v8
	s_delay_alu instid0(VALU_DEP_1) | instskip(SKIP_2) | instid1(VALU_DEP_3)
	v_cndmask_b32_e64 v24, v8, v9, s0
	v_cndmask_b32_e64 v23, 0, 1, s0
	;; [unrolled: 1-line block ×3, first 2 shown]
	v_cmp_gt_f32_e64 s1, v10, v24
	s_delay_alu instid0(VALU_DEP_1) | instskip(NEXT) | instid1(VALU_DEP_4)
	v_cndmask_b32_e64 v24, v24, v10, s1
	v_cndmask_b32_e64 v23, v23, 2, s1
	s_delay_alu instid0(VALU_DEP_4) | instskip(NEXT) | instid1(VALU_DEP_3)
	v_cndmask_b32_e64 v25, v25, v2, s1
	v_cmp_gt_f32_e64 s3, v11, v24
	s_delay_alu instid0(VALU_DEP_1) | instskip(NEXT) | instid1(VALU_DEP_4)
	v_cndmask_b32_e64 v24, v24, v11, s3
	v_cndmask_b32_e64 v23, v23, 3, s3
	s_delay_alu instid0(VALU_DEP_4) | instskip(NEXT) | instid1(VALU_DEP_3)
	v_cndmask_b32_e64 v25, v25, v3, s3
	v_cmp_gt_f32_e64 s4, v12, v24
	s_delay_alu instid0(VALU_DEP_1) | instskip(NEXT) | instid1(VALU_DEP_4)
	v_cndmask_b32_e64 v24, v24, v12, s4
	v_cndmask_b32_e64 v23, v23, 4, s4
	s_delay_alu instid0(VALU_DEP_4) | instskip(SKIP_1) | instid1(VALU_DEP_3)
	v_cndmask_b32_e64 v25, v25, v4, s4
	s_mov_b32 s4, exec_lo
	v_cmp_gt_f32_e64 s0, v13, v24
	s_delay_alu instid0(VALU_DEP_1) | instskip(SKIP_2) | instid1(VALU_DEP_3)
	v_cndmask_b32_e64 v24, v24, v13, s0
	v_cndmask_b32_e64 v23, v23, 5, s0
	;; [unrolled: 1-line block ×3, first 2 shown]
	v_cmp_gt_f32_e64 s1, v14, v24
	s_delay_alu instid0(VALU_DEP_1) | instskip(NEXT) | instid1(VALU_DEP_4)
	v_cndmask_b32_e64 v24, v24, v14, s1
	v_cndmask_b32_e64 v23, v23, 6, s1
	s_delay_alu instid0(VALU_DEP_4) | instskip(NEXT) | instid1(VALU_DEP_3)
	v_cndmask_b32_e64 v25, v25, v6, s1
	v_cmp_gt_f32_e64 s0, v15, v24
	s_delay_alu instid0(VALU_DEP_1) | instskip(SKIP_1) | instid1(VALU_DEP_4)
	v_cndmask_b32_e64 v23, v23, 7, s0
	v_cndmask_b32_e64 v27, v24, v15, s0
	;; [unrolled: 1-line block ×3, first 2 shown]
	s_delay_alu instid0(VALU_DEP_3)
	v_or_b32_e32 v23, v18, v23
	ds_bpermute_b32 v28, v21, v27
	ds_bpermute_b32 v25, v21, v24
	;; [unrolled: 1-line block ×3, first 2 shown]
	s_waitcnt lgkmcnt(0)
	v_cmp_lt_f32_e64 s3, v27, v28
	v_cmpx_nlt_f32_e32 v27, v28
	s_cbranch_execnz .LBB318_14
; %bb.11:                               ;   in Loop: Header=BB318_10 Depth=1
	s_or_b32 exec_lo, exec_lo, s4
	s_delay_alu instid0(VALU_DEP_2)
	s_and_saveexec_b32 s0, s3
	s_cbranch_execnz .LBB318_15
.LBB318_12:                             ;   in Loop: Header=BB318_10 Depth=1
	s_or_b32 exec_lo, exec_lo, s0
	s_and_saveexec_b32 s3, s2
	s_cbranch_execnz .LBB318_16
.LBB318_13:                             ;   in Loop: Header=BB318_10 Depth=1
	s_or_b32 exec_lo, exec_lo, s3
	s_add_i32 s6, s6, 1
	s_delay_alu instid0(SALU_CYCLE_1)
	s_cmp_ge_i32 s6, s8
	s_cbranch_scc1 .LBB318_9
	s_branch .LBB318_17
.LBB318_14:                             ;   in Loop: Header=BB318_10 Depth=1
	v_cmp_eq_f32_e64 s0, v27, v28
	v_cmp_lt_i32_e64 s1, v26, v23
	s_delay_alu instid0(VALU_DEP_1) | instskip(SKIP_2) | instid1(SALU_CYCLE_1)
	s_and_b32 s0, s0, s1
	s_and_not1_b32 s1, s3, exec_lo
	s_and_b32 s0, s0, exec_lo
	s_or_b32 s3, s1, s0
	s_or_b32 exec_lo, exec_lo, s4
	s_and_saveexec_b32 s0, s3
	s_cbranch_execz .LBB318_12
.LBB318_15:                             ;   in Loop: Header=BB318_10 Depth=1
	v_dual_mov_b32 v23, v26 :: v_dual_mov_b32 v24, v25
	s_or_b32 exec_lo, exec_lo, s0
	s_and_saveexec_b32 s3, s2
	s_cbranch_execz .LBB318_13
.LBB318_16:                             ;   in Loop: Header=BB318_10 Depth=1
	v_add_nc_u32_e32 v25, s6, v20
	v_cmp_le_i32_e64 s0, s9, v23
	v_cmp_gt_i32_e64 s1, s10, v23
	v_subrev_nc_u32_e32 v27, s9, v23
	v_add_f32_e32 v32, v19, v24
	v_ashrrev_i32_e32 v26, 31, v25
	s_delay_alu instid0(VALU_DEP_4) | instskip(NEXT) | instid1(SALU_CYCLE_1)
	s_and_b32 s0, s0, s1
	s_and_b32 s0, s19, s0
	s_delay_alu instid0(VALU_DEP_1) | instskip(SKIP_2) | instid1(VALU_DEP_3)
	v_lshlrev_b64 v[25:26], 2, v[25:26]
	v_cndmask_b32_e64 v31, 16, v27, s0
	v_cndmask_b32_e32 v19, v19, v32, vcc_lo
	v_add_co_u32 v27, s0, s16, v25
	s_delay_alu instid0(VALU_DEP_1) | instskip(SKIP_1) | instid1(VALU_DEP_1)
	v_add_co_ci_u32_e64 v28, s0, s17, v26, s0
	v_add_co_u32 v29, s0, s12, v25
	v_add_co_ci_u32_e64 v30, s0, s13, v26, s0
	v_add_co_u32 v25, s0, s14, v25
	s_delay_alu instid0(VALU_DEP_1)
	v_add_co_ci_u32_e64 v26, s0, s15, v26, s0
	global_store_b32 v[27:28], v24, off
	global_store_b32 v[29:30], v31, off
	;; [unrolled: 1-line block ×3, first 2 shown]
	s_or_b32 exec_lo, exec_lo, s3
	s_add_i32 s6, s6, 1
	s_delay_alu instid0(SALU_CYCLE_1)
	s_cmp_ge_i32 s6, s8
	s_cbranch_scc1 .LBB318_9
.LBB318_17:                             ;   in Loop: Header=BB318_10 Depth=1
	v_ashrrev_i32_e32 v25, 31, v23
	s_mov_b32 s1, exec_lo
	s_delay_alu instid0(VALU_DEP_1) | instskip(NEXT) | instid1(VALU_DEP_1)
	v_lshrrev_b32_e32 v24, 29, v25
	v_add_nc_u32_e32 v26, v23, v24
	s_delay_alu instid0(VALU_DEP_1) | instskip(SKIP_1) | instid1(VALU_DEP_1)
	v_ashrrev_i32_e32 v24, 3, v26
	v_lshrrev_b32_e32 v26, 31, v26
	v_add_nc_u32_e32 v26, v24, v26
	s_delay_alu instid0(VALU_DEP_1) | instskip(NEXT) | instid1(VALU_DEP_1)
	v_and_b32_e32 v26, -2, v26
	v_sub_nc_u32_e32 v26, v24, v26
	s_delay_alu instid0(VALU_DEP_1)
	v_cmpx_eq_u32_e64 v17, v26
	s_cbranch_execz .LBB318_8
; %bb.18:                               ;   in Loop: Header=BB318_10 Depth=1
	v_lshrrev_b32_e32 v25, 28, v25
	v_lshlrev_b32_e32 v24, 3, v24
	s_delay_alu instid0(VALU_DEP_2) | instskip(NEXT) | instid1(VALU_DEP_2)
	v_add_nc_u32_e32 v25, v23, v25
	v_sub_nc_u32_e32 v23, v23, v24
	s_delay_alu instid0(VALU_DEP_2) | instskip(NEXT) | instid1(VALU_DEP_1)
	v_ashrrev_i32_e32 v24, 4, v25
	v_lshl_add_u32 v23, v24, 3, v23
	s_delay_alu instid0(VALU_DEP_1) | instskip(NEXT) | instid1(VALU_DEP_1)
	v_cmp_ne_u32_e64 s0, 7, v23
	v_cndmask_b32_e64 v15, 0xc61c4000, v15, s0
	v_cmp_ne_u32_e64 s0, 6, v23
	s_delay_alu instid0(VALU_DEP_1) | instskip(SKIP_1) | instid1(VALU_DEP_1)
	v_cndmask_b32_e64 v14, 0xc61c4000, v14, s0
	v_cmp_ne_u32_e64 s0, 5, v23
	v_cndmask_b32_e64 v13, 0xc61c4000, v13, s0
	v_cmp_ne_u32_e64 s0, 4, v23
	s_delay_alu instid0(VALU_DEP_1) | instskip(SKIP_1) | instid1(VALU_DEP_1)
	v_cndmask_b32_e64 v12, 0xc61c4000, v12, s0
	v_cmp_ne_u32_e64 s0, 3, v23
	v_cndmask_b32_e64 v11, 0xc61c4000, v11, s0
	v_cmp_ne_u32_e64 s0, 2, v23
	s_delay_alu instid0(VALU_DEP_1) | instskip(SKIP_1) | instid1(VALU_DEP_1)
	v_cndmask_b32_e64 v10, 0xc61c4000, v10, s0
	v_cmp_ne_u32_e64 s0, 1, v23
	v_cndmask_b32_e64 v9, 0xc61c4000, v9, s0
	v_cmp_ne_u32_e64 s0, 0, v23
	s_delay_alu instid0(VALU_DEP_1)
	v_cndmask_b32_e64 v8, 0xc61c4000, v8, s0
	s_branch .LBB318_8
.LBB318_19:
                                        ; implicit-def: $vgpr8_vgpr9_vgpr10_vgpr11_vgpr12_vgpr13_vgpr14_vgpr15
	s_and_not1_b32 vcc_lo, exec_lo, s9
	s_cbranch_vccz .LBB318_5
	s_branch .LBB318_6
.LBB318_20:
	v_mov_b32_e32 v19, 0
.LBB318_21:
	v_cmp_eq_u32_e64 s0, 0, v17
	s_delay_alu instid0(VALU_DEP_1) | instskip(NEXT) | instid1(SALU_CYCLE_1)
	s_and_b32 s0, s0, vcc_lo
	s_and_b32 exec_lo, exec_lo, s0
	s_cbranch_execz .LBB318_25
; %bb.22:
	s_and_not1_b32 vcc_lo, exec_lo, s5
	s_cbranch_vccnz .LBB318_25
; %bb.23:
	v_mul_lo_u32 v0, v16, s8
	v_cmp_lt_f32_e32 vcc_lo, 0, v19
	v_cndmask_b32_e32 v2, 1.0, v19, vcc_lo
	s_delay_alu instid0(VALU_DEP_3) | instskip(NEXT) | instid1(VALU_DEP_1)
	v_ashrrev_i32_e32 v1, 31, v0
	v_lshlrev_b64 v[0:1], 2, v[0:1]
	s_delay_alu instid0(VALU_DEP_1) | instskip(NEXT) | instid1(VALU_DEP_2)
	v_add_co_u32 v0, vcc_lo, s16, v0
	v_add_co_ci_u32_e32 v1, vcc_lo, s17, v1, vcc_lo
	.p2align	6
.LBB318_24:                             ; =>This Inner Loop Header: Depth=1
	global_load_b32 v3, v[0:1], off
	s_add_i32 s8, s8, -1
	s_delay_alu instid0(SALU_CYCLE_1) | instskip(SKIP_3) | instid1(VALU_DEP_2)
	s_cmp_lg_u32 s8, 0
	s_waitcnt vmcnt(0)
	v_div_scale_f32 v4, null, v2, v2, v3
	v_div_scale_f32 v7, vcc_lo, v3, v2, v3
	v_rcp_f32_e32 v5, v4
	s_waitcnt_depctr 0xfff
	v_fma_f32 v6, -v4, v5, 1.0
	s_delay_alu instid0(VALU_DEP_1) | instskip(NEXT) | instid1(VALU_DEP_1)
	v_fmac_f32_e32 v5, v6, v5
	v_mul_f32_e32 v6, v7, v5
	s_delay_alu instid0(VALU_DEP_1) | instskip(NEXT) | instid1(VALU_DEP_1)
	v_fma_f32 v8, -v4, v6, v7
	v_fmac_f32_e32 v6, v8, v5
	s_delay_alu instid0(VALU_DEP_1) | instskip(NEXT) | instid1(VALU_DEP_1)
	v_fma_f32 v4, -v4, v6, v7
	v_div_fmas_f32 v4, v4, v5, v6
	s_delay_alu instid0(VALU_DEP_1)
	v_div_fixup_f32 v3, v4, v2, v3
	global_store_b32 v[0:1], v3, off
	v_add_co_u32 v0, vcc_lo, v0, 4
	v_add_co_ci_u32_e32 v1, vcc_lo, 0, v1, vcc_lo
	s_cbranch_scc1 .LBB318_24
.LBB318_25:
	s_nop 0
	s_sendmsg sendmsg(MSG_DEALLOC_VGPRS)
	s_endpgm
	.section	.rodata,"a",@progbits
	.p2align	6, 0x0
	.amdhsa_kernel _ZN4vllm3moe10topkGatingILi8ELi16ELi4ELi16ELi64Ei14__hip_bfloat16LNS0_11ScoringFuncE1EEEvPKT5_PKbPfiPT4_PiiiibPKf
		.amdhsa_group_segment_fixed_size 0
		.amdhsa_private_segment_fixed_size 0
		.amdhsa_kernarg_size 72
		.amdhsa_user_sgpr_count 15
		.amdhsa_user_sgpr_dispatch_ptr 0
		.amdhsa_user_sgpr_queue_ptr 0
		.amdhsa_user_sgpr_kernarg_segment_ptr 1
		.amdhsa_user_sgpr_dispatch_id 0
		.amdhsa_user_sgpr_private_segment_size 0
		.amdhsa_wavefront_size32 1
		.amdhsa_uses_dynamic_stack 0
		.amdhsa_enable_private_segment 0
		.amdhsa_system_sgpr_workgroup_id_x 1
		.amdhsa_system_sgpr_workgroup_id_y 0
		.amdhsa_system_sgpr_workgroup_id_z 0
		.amdhsa_system_sgpr_workgroup_info 0
		.amdhsa_system_vgpr_workitem_id 1
		.amdhsa_next_free_vgpr 51
		.amdhsa_next_free_sgpr 20
		.amdhsa_reserve_vcc 1
		.amdhsa_float_round_mode_32 0
		.amdhsa_float_round_mode_16_64 0
		.amdhsa_float_denorm_mode_32 3
		.amdhsa_float_denorm_mode_16_64 3
		.amdhsa_dx10_clamp 1
		.amdhsa_ieee_mode 1
		.amdhsa_fp16_overflow 0
		.amdhsa_workgroup_processor_mode 1
		.amdhsa_memory_ordered 1
		.amdhsa_forward_progress 0
		.amdhsa_shared_vgpr_count 0
		.amdhsa_exception_fp_ieee_invalid_op 0
		.amdhsa_exception_fp_denorm_src 0
		.amdhsa_exception_fp_ieee_div_zero 0
		.amdhsa_exception_fp_ieee_overflow 0
		.amdhsa_exception_fp_ieee_underflow 0
		.amdhsa_exception_fp_ieee_inexact 0
		.amdhsa_exception_int_div_zero 0
	.end_amdhsa_kernel
	.section	.text._ZN4vllm3moe10topkGatingILi8ELi16ELi4ELi16ELi64Ei14__hip_bfloat16LNS0_11ScoringFuncE1EEEvPKT5_PKbPfiPT4_PiiiibPKf,"axG",@progbits,_ZN4vllm3moe10topkGatingILi8ELi16ELi4ELi16ELi64Ei14__hip_bfloat16LNS0_11ScoringFuncE1EEEvPKT5_PKbPfiPT4_PiiiibPKf,comdat
.Lfunc_end318:
	.size	_ZN4vllm3moe10topkGatingILi8ELi16ELi4ELi16ELi64Ei14__hip_bfloat16LNS0_11ScoringFuncE1EEEvPKT5_PKbPfiPT4_PiiiibPKf, .Lfunc_end318-_ZN4vllm3moe10topkGatingILi8ELi16ELi4ELi16ELi64Ei14__hip_bfloat16LNS0_11ScoringFuncE1EEEvPKT5_PKbPfiPT4_PiiiibPKf
                                        ; -- End function
	.section	.AMDGPU.csdata,"",@progbits
; Kernel info:
; codeLenInByte = 2620
; NumSgprs: 22
; NumVgprs: 51
; ScratchSize: 0
; MemoryBound: 0
; FloatMode: 240
; IeeeMode: 1
; LDSByteSize: 0 bytes/workgroup (compile time only)
; SGPRBlocks: 2
; VGPRBlocks: 6
; NumSGPRsForWavesPerEU: 22
; NumVGPRsForWavesPerEU: 51
; Occupancy: 16
; WaveLimiterHint : 0
; COMPUTE_PGM_RSRC2:SCRATCH_EN: 0
; COMPUTE_PGM_RSRC2:USER_SGPR: 15
; COMPUTE_PGM_RSRC2:TRAP_HANDLER: 0
; COMPUTE_PGM_RSRC2:TGID_X_EN: 1
; COMPUTE_PGM_RSRC2:TGID_Y_EN: 0
; COMPUTE_PGM_RSRC2:TGID_Z_EN: 0
; COMPUTE_PGM_RSRC2:TIDIG_COMP_CNT: 1
	.section	.text._ZN4vllm3moe10topkGatingILi8ELi16ELi4ELi16ELi32Ei14__hip_bfloat16LNS0_11ScoringFuncE1EEEvPKT5_PKbPfiPT4_PiiiibPKf,"axG",@progbits,_ZN4vllm3moe10topkGatingILi8ELi16ELi4ELi16ELi32Ei14__hip_bfloat16LNS0_11ScoringFuncE1EEEvPKT5_PKbPfiPT4_PiiiibPKf,comdat
	.protected	_ZN4vllm3moe10topkGatingILi8ELi16ELi4ELi16ELi32Ei14__hip_bfloat16LNS0_11ScoringFuncE1EEEvPKT5_PKbPfiPT4_PiiiibPKf ; -- Begin function _ZN4vllm3moe10topkGatingILi8ELi16ELi4ELi16ELi32Ei14__hip_bfloat16LNS0_11ScoringFuncE1EEEvPKT5_PKbPfiPT4_PiiiibPKf
	.globl	_ZN4vllm3moe10topkGatingILi8ELi16ELi4ELi16ELi32Ei14__hip_bfloat16LNS0_11ScoringFuncE1EEEvPKT5_PKbPfiPT4_PiiiibPKf
	.p2align	8
	.type	_ZN4vllm3moe10topkGatingILi8ELi16ELi4ELi16ELi32Ei14__hip_bfloat16LNS0_11ScoringFuncE1EEEvPKT5_PKbPfiPT4_PiiiibPKf,@function
_ZN4vllm3moe10topkGatingILi8ELi16ELi4ELi16ELi32Ei14__hip_bfloat16LNS0_11ScoringFuncE1EEEvPKT5_PKbPfiPT4_PiiiibPKf: ; @_ZN4vllm3moe10topkGatingILi8ELi16ELi4ELi16ELi32Ei14__hip_bfloat16LNS0_11ScoringFuncE1EEEvPKT5_PKbPfiPT4_PiiiibPKf
; %bb.0:
	s_load_b32 s18, s[0:1], 0x18
	v_bfe_u32 v1, v0, 10, 10
	v_and_b32_e32 v0, 0x3ff, v0
	s_lshl_b32 s2, s15, 6
	s_delay_alu instid0(VALU_DEP_2) | instskip(NEXT) | instid1(VALU_DEP_2)
	v_lshlrev_b32_e32 v1, 4, v1
	v_lshrrev_b32_e32 v2, 1, v0
	s_delay_alu instid0(VALU_DEP_1) | instskip(SKIP_2) | instid1(VALU_DEP_1)
	v_add3_u32 v16, s2, v1, v2
	s_mov_b32 s2, exec_lo
	s_waitcnt lgkmcnt(0)
	v_cmpx_gt_i32_e64 s18, v16
	s_cbranch_execz .LBB319_25
; %bb.1:
	s_clause 0x1
	s_load_b128 s[4:7], s[0:1], 0x0
	s_load_b64 s[16:17], s[0:1], 0x10
	s_mov_b32 s9, -1
	s_mov_b32 s19, -1
	s_waitcnt lgkmcnt(0)
	s_cmp_eq_u64 s[6:7], 0
	s_cbranch_scc1 .LBB319_3
; %bb.2:
	v_ashrrev_i32_e32 v2, 31, v16
	v_add_co_u32 v1, vcc_lo, s6, v16
	s_delay_alu instid0(VALU_DEP_2) | instskip(SKIP_3) | instid1(VALU_DEP_1)
	v_add_co_ci_u32_e32 v2, vcc_lo, s7, v2, vcc_lo
	global_load_u8 v1, v[1:2], off
	s_waitcnt vmcnt(0)
	v_and_b32_e32 v1, 1, v1
	v_cmp_eq_u32_e32 vcc_lo, 1, v1
	s_xor_b32 s2, vcc_lo, -1
	s_delay_alu instid0(SALU_CYCLE_1)
	s_or_not1_b32 s19, s2, exec_lo
.LBB319_3:
	v_lshlrev_b32_e32 v1, 4, v16
	v_and_b32_e32 v17, 1, v0
	s_load_b64 s[10:11], s[0:1], 0x40
	s_delay_alu instid0(VALU_DEP_2) | instskip(NEXT) | instid1(VALU_DEP_1)
	v_ashrrev_i32_e32 v2, 31, v1
	v_lshlrev_b64 v[0:1], 1, v[1:2]
	s_delay_alu instid0(VALU_DEP_3) | instskip(NEXT) | instid1(VALU_DEP_2)
	v_lshlrev_b32_e32 v2, 4, v17
	v_add_co_u32 v0, vcc_lo, s4, v0
	s_delay_alu instid0(VALU_DEP_3) | instskip(NEXT) | instid1(VALU_DEP_2)
	v_add_co_ci_u32_e32 v1, vcc_lo, s5, v1, vcc_lo
	v_add_co_u32 v0, vcc_lo, v0, v2
	s_delay_alu instid0(VALU_DEP_2)
	v_add_co_ci_u32_e32 v1, vcc_lo, 0, v1, vcc_lo
	s_waitcnt lgkmcnt(0)
	s_cmp_eq_u64 s[10:11], 0
	global_load_b128 v[0:3], v[0:1], off
	s_waitcnt vmcnt(0)
	v_lshlrev_b32_e32 v5, 16, v1
	s_delay_alu instid0(VALU_DEP_1) | instskip(NEXT) | instid1(VALU_DEP_1)
	v_dual_mul_f32 v5, 0xbfb8aa3b, v5 :: v_dual_lshlrev_b32 v4, 16, v0
	v_mul_f32_e32 v4, 0xbfb8aa3b, v4
	s_delay_alu instid0(VALU_DEP_2) | instskip(NEXT) | instid1(VALU_DEP_1)
	v_exp_f32_e32 v5, v5
	v_exp_f32_e32 v4, v4
	v_and_b32_e32 v1, 0xffff0000, v1
	s_waitcnt_depctr 0xfff
	v_dual_add_f32 v5, 1.0, v5 :: v_dual_and_b32 v0, 0xffff0000, v0
	v_add_f32_e32 v4, 1.0, v4
	v_dual_mul_f32 v1, 0xbfb8aa3b, v1 :: v_dual_lshlrev_b32 v6, 16, v2
	s_delay_alu instid0(VALU_DEP_3) | instskip(NEXT) | instid1(VALU_DEP_4)
	v_dual_mul_f32 v0, 0xbfb8aa3b, v0 :: v_dual_lshlrev_b32 v7, 16, v3
	v_div_scale_f32 v12, null, v5, v5, 1.0
	s_delay_alu instid0(VALU_DEP_3) | instskip(SKIP_1) | instid1(VALU_DEP_3)
	v_exp_f32_e32 v1, v1
	v_and_b32_e32 v2, 0xffff0000, v2
	v_exp_f32_e32 v0, v0
	v_and_b32_e32 v3, 0xffff0000, v3
	v_dual_mul_f32 v6, 0xbfb8aa3b, v6 :: v_dual_mul_f32 v7, 0xbfb8aa3b, v7
	v_rcp_f32_e32 v28, v12
	v_div_scale_f32 v13, s3, 1.0, v5, 1.0
	s_delay_alu instid0(VALU_DEP_2) | instskip(SKIP_1) | instid1(TRANS32_DEP_3)
	v_exp_f32_e32 v6, v6
	v_dual_add_f32 v1, 1.0, v1 :: v_dual_mul_f32 v2, 0xbfb8aa3b, v2
	v_dual_add_f32 v0, 1.0, v0 :: v_dual_mul_f32 v3, 0xbfb8aa3b, v3
	v_lshlrev_b32_e32 v18, 3, v17
	v_exp_f32_e32 v7, v7
	s_delay_alu instid0(VALU_DEP_3) | instskip(NEXT) | instid1(VALU_DEP_2)
	v_exp_f32_e32 v2, v2
	v_div_scale_f32 v10, null, v0, v0, 1.0
	v_exp_f32_e32 v3, v3
	v_add_f32_e32 v6, 1.0, v6
	v_div_scale_f32 v14, null, v1, v1, 1.0
	s_delay_alu instid0(VALU_DEP_3) | instskip(SKIP_1) | instid1(TRANS32_DEP_3)
	v_rcp_f32_e32 v27, v10
	v_fma_f32 v37, -v12, v28, 1.0
	v_dual_add_f32 v7, 1.0, v7 :: v_dual_add_f32 v8, 1.0, v2
	v_div_scale_f32 v2, null, v4, v4, 1.0
	s_delay_alu instid0(TRANS32_DEP_2) | instskip(SKIP_1) | instid1(VALU_DEP_4)
	v_add_f32_e32 v9, 1.0, v3
	v_div_scale_f32 v19, null, v6, v6, 1.0
	v_div_scale_f32 v21, null, v8, v8, 1.0
	s_delay_alu instid0(VALU_DEP_4) | instskip(NEXT) | instid1(VALU_DEP_2)
	v_rcp_f32_e32 v26, v2
	v_rcp_f32_e32 v30, v19
	;; [unrolled: 1-line block ×3, first 2 shown]
	s_delay_alu instid0(VALU_DEP_1)
	v_rcp_f32_e32 v31, v21
	v_div_scale_f32 v23, null, v7, v7, 1.0
	v_fma_f32 v36, -v10, v27, 1.0
	v_div_scale_f32 v3, vcc_lo, 1.0, v4, 1.0
	v_div_scale_f32 v11, s2, 1.0, v0, 1.0
	v_fma_f32 v35, -v2, v26, 1.0
	s_delay_alu instid0(TRANS32_DEP_3) | instskip(NEXT) | instid1(TRANS32_DEP_1)
	v_fma_f32 v39, -v19, v30, 1.0
	v_fma_f32 v40, -v21, v31, 1.0
	s_delay_alu instid0(TRANS32_DEP_2) | instskip(SKIP_3) | instid1(VALU_DEP_3)
	v_fma_f32 v38, -v14, v29, 1.0
	v_div_scale_f32 v25, null, v9, v9, 1.0
	v_dual_fmac_f32 v26, v35, v26 :: v_dual_fmac_f32 v27, v36, v27
	v_rcp_f32_e32 v32, v23
	v_dual_fmac_f32 v28, v37, v28 :: v_dual_fmac_f32 v29, v38, v29
	v_div_scale_f32 v22, s6, 1.0, v8, 1.0
	v_dual_fmac_f32 v30, v39, v30 :: v_dual_fmac_f32 v31, v40, v31
	v_mul_f32_e32 v35, v3, v26
	v_div_scale_f32 v15, s4, 1.0, v1, 1.0
	v_rcp_f32_e32 v33, v25
	s_delay_alu instid0(VALU_DEP_3)
	v_mul_f32_e32 v40, v22, v31
	v_dual_mul_f32 v36, v11, v27 :: v_dual_mul_f32 v37, v13, v28
	v_div_scale_f32 v20, s5, 1.0, v6, 1.0
	v_fma_f32 v43, -v2, v35, v3
	v_mul_f32_e32 v38, v15, v29
	v_fma_f32 v41, -v23, v32, 1.0
	s_delay_alu instid0(VALU_DEP_4)
	v_mul_f32_e32 v39, v20, v30
	v_fma_f32 v44, -v10, v36, v11
	v_fma_f32 v45, -v12, v37, v13
	v_fmac_f32_e32 v35, v43, v26
	v_fma_f32 v46, -v14, v38, v15
	v_div_scale_f32 v24, s7, 1.0, v7, 1.0
	v_fmac_f32_e32 v36, v44, v27
	v_fma_f32 v42, -v25, v33, 1.0
	v_fmac_f32_e32 v32, v41, v32
	v_fma_f32 v47, -v19, v39, v20
	v_dual_fmac_f32 v37, v45, v28 :: v_dual_fmac_f32 v38, v46, v29
	v_fma_f32 v48, -v21, v40, v22
	v_fma_f32 v2, -v2, v35, v3
	v_div_scale_f32 v34, s8, 1.0, v9, 1.0
	v_fmac_f32_e32 v33, v42, v33
	v_mul_f32_e32 v41, v24, v32
	v_fma_f32 v3, -v10, v36, v11
	v_dual_fmac_f32 v39, v47, v30 :: v_dual_fmac_f32 v40, v48, v31
	v_fma_f32 v10, -v12, v37, v13
	v_div_fmas_f32 v2, v2, v26, v35
	s_mov_b32 vcc_lo, s2
	v_fma_f32 v11, -v14, v38, v15
	v_mul_f32_e32 v42, v34, v33
	v_fma_f32 v49, -v23, v41, v24
	v_div_fmas_f32 v3, v3, v27, v36
	s_mov_b32 vcc_lo, s3
	v_fma_f32 v12, -v19, v39, v20
	v_div_fmas_f32 v10, v10, v28, v37
	s_mov_b32 vcc_lo, s4
	v_fma_f32 v13, -v21, v40, v22
	v_div_fixup_f32 v2, v2, v4, 1.0
	v_div_fmas_f32 v4, v11, v29, v38
	s_mov_b32 vcc_lo, s5
	v_fma_f32 v50, -v25, v42, v34
	v_fmac_f32_e32 v41, v49, v32
	v_div_fmas_f32 v11, v12, v30, v39
	s_mov_b32 vcc_lo, s6
	v_div_fixup_f32 v5, v10, v5, 1.0
	v_fmac_f32_e32 v42, v50, v33
	v_div_fmas_f32 v10, v13, v31, v40
	v_cmp_class_f32_e64 vcc_lo, v2, 0x1f8
	v_fma_f32 v14, -v23, v41, v24
	v_div_fixup_f32 v3, v3, v0, 1.0
	v_fma_f32 v15, -v25, v42, v34
	v_div_fixup_f32 v4, v4, v1, 1.0
	v_cndmask_b32_e32 v0, 0, v2, vcc_lo
	s_mov_b32 vcc_lo, s7
	v_div_fixup_f32 v6, v11, v6, 1.0
	v_div_fmas_f32 v12, v14, v32, v41
	v_cmp_class_f32_e64 vcc_lo, v3, 0x1f8
	s_delay_alu instid0(VALU_DEP_2)
	v_div_fixup_f32 v7, v12, v7, 1.0
	v_cndmask_b32_e32 v1, 0, v3, vcc_lo
	s_mov_b32 vcc_lo, s8
	v_div_fmas_f32 v11, v15, v33, v42
	v_cmp_class_f32_e64 vcc_lo, v5, 0x1f8
	v_cndmask_b32_e32 v2, 0, v5, vcc_lo
	v_cmp_class_f32_e64 vcc_lo, v4, 0x1f8
	v_div_fixup_f32 v5, v10, v8, 1.0
	v_div_fixup_f32 v8, v11, v9, 1.0
	v_cndmask_b32_e32 v3, 0, v4, vcc_lo
	v_cmp_class_f32_e64 vcc_lo, v6, 0x1f8
	v_cndmask_b32_e32 v4, 0, v6, vcc_lo
	v_cmp_class_f32_e64 vcc_lo, v5, 0x1f8
	;; [unrolled: 2-line block ×4, first 2 shown]
	v_cndmask_b32_e32 v7, 0, v8, vcc_lo
	s_cbranch_scc1 .LBB319_19
; %bb.4:
	v_lshlrev_b32_e32 v12, 2, v18
	s_clause 0x1
	global_load_b128 v[8:11], v12, s[10:11]
	global_load_b128 v[12:15], v12, s[10:11] offset:16
	s_waitcnt vmcnt(1)
	v_dual_add_f32 v9, v9, v1 :: v_dual_add_f32 v8, v8, v0
	v_dual_add_f32 v11, v11, v3 :: v_dual_add_f32 v10, v10, v2
	s_waitcnt vmcnt(0)
	v_dual_add_f32 v13, v13, v5 :: v_dual_add_f32 v12, v12, v4
	v_dual_add_f32 v15, v15, v7 :: v_dual_add_f32 v14, v14, v6
	s_cbranch_execnz .LBB319_6
.LBB319_5:
	v_dual_mov_b32 v15, v7 :: v_dual_mov_b32 v14, v6
	v_dual_mov_b32 v13, v5 :: v_dual_mov_b32 v12, v4
	;; [unrolled: 1-line block ×4, first 2 shown]
.LBB319_6:
	s_load_b128 s[8:11], s[0:1], 0x30
	v_cmp_eq_u32_e64 s2, 0, v17
	s_mov_b32 s6, 0
	s_waitcnt lgkmcnt(0)
	s_bitcmp1_b32 s11, 0
	s_cselect_b32 vcc_lo, -1, 0
	s_cmp_gt_i32 s8, 0
	s_cselect_b32 s5, -1, 0
	s_cmp_lt_i32 s8, 1
	s_cbranch_scc1 .LBB319_20
; %bb.7:
	v_mbcnt_lo_u32_b32 v19, -1, 0
	s_load_b128 s[12:15], s[0:1], 0x20
	v_mov_b32_e32 v22, v16
	s_delay_alu instid0(VALU_DEP_2) | instskip(SKIP_1) | instid1(VALU_DEP_2)
	v_and_b32_e32 v20, 30, v19
	v_xor_b32_e32 v21, 1, v19
	v_add_nc_u32_e32 v20, 2, v20
	s_delay_alu instid0(VALU_DEP_1) | instskip(SKIP_1) | instid1(VALU_DEP_2)
	v_cmp_lt_i32_e64 s0, v21, v20
	v_mul_lo_u32 v20, v16, s8
	v_cndmask_b32_e64 v21, v19, v21, s0
	v_mov_b32_e32 v19, 0
	s_delay_alu instid0(VALU_DEP_2)
	v_lshlrev_b32_e32 v21, 2, v21
	s_branch .LBB319_10
.LBB319_8:                              ;   in Loop: Header=BB319_10 Depth=1
	s_or_b32 exec_lo, exec_lo, s1
.LBB319_9:                              ;   in Loop: Header=BB319_10 Depth=1
	v_add_nc_u32_e32 v22, s18, v22
	s_cmp_eq_u32 s8, s6
	s_cbranch_scc1 .LBB319_21
.LBB319_10:                             ; =>This Inner Loop Header: Depth=1
	v_cmp_gt_f32_e64 s0, v9, v8
	s_delay_alu instid0(VALU_DEP_1) | instskip(SKIP_2) | instid1(VALU_DEP_3)
	v_cndmask_b32_e64 v24, v8, v9, s0
	v_cndmask_b32_e64 v23, 0, 1, s0
	;; [unrolled: 1-line block ×3, first 2 shown]
	v_cmp_gt_f32_e64 s1, v10, v24
	s_delay_alu instid0(VALU_DEP_1) | instskip(NEXT) | instid1(VALU_DEP_4)
	v_cndmask_b32_e64 v24, v24, v10, s1
	v_cndmask_b32_e64 v23, v23, 2, s1
	s_delay_alu instid0(VALU_DEP_4) | instskip(NEXT) | instid1(VALU_DEP_3)
	v_cndmask_b32_e64 v25, v25, v2, s1
	v_cmp_gt_f32_e64 s3, v11, v24
	s_delay_alu instid0(VALU_DEP_1) | instskip(NEXT) | instid1(VALU_DEP_4)
	v_cndmask_b32_e64 v24, v24, v11, s3
	v_cndmask_b32_e64 v23, v23, 3, s3
	s_delay_alu instid0(VALU_DEP_4) | instskip(NEXT) | instid1(VALU_DEP_3)
	v_cndmask_b32_e64 v25, v25, v3, s3
	v_cmp_gt_f32_e64 s4, v12, v24
	s_delay_alu instid0(VALU_DEP_1) | instskip(NEXT) | instid1(VALU_DEP_4)
	v_cndmask_b32_e64 v24, v24, v12, s4
	v_cndmask_b32_e64 v23, v23, 4, s4
	s_delay_alu instid0(VALU_DEP_4) | instskip(SKIP_1) | instid1(VALU_DEP_3)
	v_cndmask_b32_e64 v25, v25, v4, s4
	s_mov_b32 s4, exec_lo
	v_cmp_gt_f32_e64 s0, v13, v24
	s_delay_alu instid0(VALU_DEP_1) | instskip(SKIP_2) | instid1(VALU_DEP_3)
	v_cndmask_b32_e64 v24, v24, v13, s0
	v_cndmask_b32_e64 v23, v23, 5, s0
	v_cndmask_b32_e64 v25, v25, v5, s0
	v_cmp_gt_f32_e64 s1, v14, v24
	s_delay_alu instid0(VALU_DEP_1) | instskip(NEXT) | instid1(VALU_DEP_4)
	v_cndmask_b32_e64 v24, v24, v14, s1
	v_cndmask_b32_e64 v23, v23, 6, s1
	s_delay_alu instid0(VALU_DEP_4) | instskip(NEXT) | instid1(VALU_DEP_3)
	v_cndmask_b32_e64 v25, v25, v6, s1
	v_cmp_gt_f32_e64 s0, v15, v24
	s_delay_alu instid0(VALU_DEP_1) | instskip(SKIP_1) | instid1(VALU_DEP_4)
	v_cndmask_b32_e64 v23, v23, 7, s0
	v_cndmask_b32_e64 v27, v24, v15, s0
	;; [unrolled: 1-line block ×3, first 2 shown]
	s_delay_alu instid0(VALU_DEP_3)
	v_or_b32_e32 v23, v18, v23
	ds_bpermute_b32 v28, v21, v27
	ds_bpermute_b32 v25, v21, v24
	;; [unrolled: 1-line block ×3, first 2 shown]
	s_waitcnt lgkmcnt(0)
	v_cmp_lt_f32_e64 s3, v27, v28
	v_cmpx_nlt_f32_e32 v27, v28
	s_cbranch_execnz .LBB319_14
; %bb.11:                               ;   in Loop: Header=BB319_10 Depth=1
	s_or_b32 exec_lo, exec_lo, s4
	s_delay_alu instid0(VALU_DEP_2)
	s_and_saveexec_b32 s0, s3
	s_cbranch_execnz .LBB319_15
.LBB319_12:                             ;   in Loop: Header=BB319_10 Depth=1
	s_or_b32 exec_lo, exec_lo, s0
	s_and_saveexec_b32 s3, s2
	s_cbranch_execnz .LBB319_16
.LBB319_13:                             ;   in Loop: Header=BB319_10 Depth=1
	s_or_b32 exec_lo, exec_lo, s3
	s_add_i32 s6, s6, 1
	s_delay_alu instid0(SALU_CYCLE_1)
	s_cmp_ge_i32 s6, s8
	s_cbranch_scc1 .LBB319_9
	s_branch .LBB319_17
.LBB319_14:                             ;   in Loop: Header=BB319_10 Depth=1
	v_cmp_eq_f32_e64 s0, v27, v28
	v_cmp_lt_i32_e64 s1, v26, v23
	s_delay_alu instid0(VALU_DEP_1) | instskip(SKIP_2) | instid1(SALU_CYCLE_1)
	s_and_b32 s0, s0, s1
	s_and_not1_b32 s1, s3, exec_lo
	s_and_b32 s0, s0, exec_lo
	s_or_b32 s3, s1, s0
	s_or_b32 exec_lo, exec_lo, s4
	s_and_saveexec_b32 s0, s3
	s_cbranch_execz .LBB319_12
.LBB319_15:                             ;   in Loop: Header=BB319_10 Depth=1
	v_dual_mov_b32 v23, v26 :: v_dual_mov_b32 v24, v25
	s_or_b32 exec_lo, exec_lo, s0
	s_and_saveexec_b32 s3, s2
	s_cbranch_execz .LBB319_13
.LBB319_16:                             ;   in Loop: Header=BB319_10 Depth=1
	v_add_nc_u32_e32 v25, s6, v20
	v_cmp_le_i32_e64 s0, s9, v23
	v_cmp_gt_i32_e64 s1, s10, v23
	v_subrev_nc_u32_e32 v27, s9, v23
	v_add_f32_e32 v32, v19, v24
	v_ashrrev_i32_e32 v26, 31, v25
	s_delay_alu instid0(VALU_DEP_4) | instskip(NEXT) | instid1(SALU_CYCLE_1)
	s_and_b32 s0, s0, s1
	s_and_b32 s0, s19, s0
	s_delay_alu instid0(VALU_DEP_1) | instskip(SKIP_2) | instid1(VALU_DEP_3)
	v_lshlrev_b64 v[25:26], 2, v[25:26]
	v_cndmask_b32_e64 v31, 16, v27, s0
	v_cndmask_b32_e32 v19, v19, v32, vcc_lo
	v_add_co_u32 v27, s0, s16, v25
	s_delay_alu instid0(VALU_DEP_1) | instskip(SKIP_1) | instid1(VALU_DEP_1)
	v_add_co_ci_u32_e64 v28, s0, s17, v26, s0
	v_add_co_u32 v29, s0, s12, v25
	v_add_co_ci_u32_e64 v30, s0, s13, v26, s0
	v_add_co_u32 v25, s0, s14, v25
	s_delay_alu instid0(VALU_DEP_1)
	v_add_co_ci_u32_e64 v26, s0, s15, v26, s0
	global_store_b32 v[27:28], v24, off
	global_store_b32 v[29:30], v31, off
	;; [unrolled: 1-line block ×3, first 2 shown]
	s_or_b32 exec_lo, exec_lo, s3
	s_add_i32 s6, s6, 1
	s_delay_alu instid0(SALU_CYCLE_1)
	s_cmp_ge_i32 s6, s8
	s_cbranch_scc1 .LBB319_9
.LBB319_17:                             ;   in Loop: Header=BB319_10 Depth=1
	v_ashrrev_i32_e32 v25, 31, v23
	s_mov_b32 s1, exec_lo
	s_delay_alu instid0(VALU_DEP_1) | instskip(NEXT) | instid1(VALU_DEP_1)
	v_lshrrev_b32_e32 v24, 29, v25
	v_add_nc_u32_e32 v26, v23, v24
	s_delay_alu instid0(VALU_DEP_1) | instskip(SKIP_1) | instid1(VALU_DEP_1)
	v_ashrrev_i32_e32 v24, 3, v26
	v_lshrrev_b32_e32 v26, 31, v26
	v_add_nc_u32_e32 v26, v24, v26
	s_delay_alu instid0(VALU_DEP_1) | instskip(NEXT) | instid1(VALU_DEP_1)
	v_and_b32_e32 v26, -2, v26
	v_sub_nc_u32_e32 v26, v24, v26
	s_delay_alu instid0(VALU_DEP_1)
	v_cmpx_eq_u32_e64 v17, v26
	s_cbranch_execz .LBB319_8
; %bb.18:                               ;   in Loop: Header=BB319_10 Depth=1
	v_lshrrev_b32_e32 v25, 28, v25
	v_lshlrev_b32_e32 v24, 3, v24
	s_delay_alu instid0(VALU_DEP_2) | instskip(NEXT) | instid1(VALU_DEP_2)
	v_add_nc_u32_e32 v25, v23, v25
	v_sub_nc_u32_e32 v23, v23, v24
	s_delay_alu instid0(VALU_DEP_2) | instskip(NEXT) | instid1(VALU_DEP_1)
	v_ashrrev_i32_e32 v24, 4, v25
	v_lshl_add_u32 v23, v24, 3, v23
	s_delay_alu instid0(VALU_DEP_1) | instskip(NEXT) | instid1(VALU_DEP_1)
	v_cmp_ne_u32_e64 s0, 7, v23
	v_cndmask_b32_e64 v15, 0xc61c4000, v15, s0
	v_cmp_ne_u32_e64 s0, 6, v23
	s_delay_alu instid0(VALU_DEP_1) | instskip(SKIP_1) | instid1(VALU_DEP_1)
	v_cndmask_b32_e64 v14, 0xc61c4000, v14, s0
	v_cmp_ne_u32_e64 s0, 5, v23
	v_cndmask_b32_e64 v13, 0xc61c4000, v13, s0
	v_cmp_ne_u32_e64 s0, 4, v23
	s_delay_alu instid0(VALU_DEP_1) | instskip(SKIP_1) | instid1(VALU_DEP_1)
	v_cndmask_b32_e64 v12, 0xc61c4000, v12, s0
	;; [unrolled: 5-line block ×3, first 2 shown]
	v_cmp_ne_u32_e64 s0, 1, v23
	v_cndmask_b32_e64 v9, 0xc61c4000, v9, s0
	v_cmp_ne_u32_e64 s0, 0, v23
	s_delay_alu instid0(VALU_DEP_1)
	v_cndmask_b32_e64 v8, 0xc61c4000, v8, s0
	s_branch .LBB319_8
.LBB319_19:
                                        ; implicit-def: $vgpr8_vgpr9_vgpr10_vgpr11_vgpr12_vgpr13_vgpr14_vgpr15
	s_and_not1_b32 vcc_lo, exec_lo, s9
	s_cbranch_vccz .LBB319_5
	s_branch .LBB319_6
.LBB319_20:
	v_mov_b32_e32 v19, 0
.LBB319_21:
	v_cmp_eq_u32_e64 s0, 0, v17
	s_delay_alu instid0(VALU_DEP_1) | instskip(NEXT) | instid1(SALU_CYCLE_1)
	s_and_b32 s0, s0, vcc_lo
	s_and_b32 exec_lo, exec_lo, s0
	s_cbranch_execz .LBB319_25
; %bb.22:
	s_and_not1_b32 vcc_lo, exec_lo, s5
	s_cbranch_vccnz .LBB319_25
; %bb.23:
	v_mul_lo_u32 v0, v16, s8
	v_cmp_lt_f32_e32 vcc_lo, 0, v19
	v_cndmask_b32_e32 v2, 1.0, v19, vcc_lo
	s_delay_alu instid0(VALU_DEP_3) | instskip(NEXT) | instid1(VALU_DEP_1)
	v_ashrrev_i32_e32 v1, 31, v0
	v_lshlrev_b64 v[0:1], 2, v[0:1]
	s_delay_alu instid0(VALU_DEP_1) | instskip(NEXT) | instid1(VALU_DEP_2)
	v_add_co_u32 v0, vcc_lo, s16, v0
	v_add_co_ci_u32_e32 v1, vcc_lo, s17, v1, vcc_lo
	.p2align	6
.LBB319_24:                             ; =>This Inner Loop Header: Depth=1
	global_load_b32 v3, v[0:1], off
	s_add_i32 s8, s8, -1
	s_delay_alu instid0(SALU_CYCLE_1) | instskip(SKIP_3) | instid1(VALU_DEP_2)
	s_cmp_lg_u32 s8, 0
	s_waitcnt vmcnt(0)
	v_div_scale_f32 v4, null, v2, v2, v3
	v_div_scale_f32 v7, vcc_lo, v3, v2, v3
	v_rcp_f32_e32 v5, v4
	s_waitcnt_depctr 0xfff
	v_fma_f32 v6, -v4, v5, 1.0
	s_delay_alu instid0(VALU_DEP_1) | instskip(NEXT) | instid1(VALU_DEP_1)
	v_fmac_f32_e32 v5, v6, v5
	v_mul_f32_e32 v6, v7, v5
	s_delay_alu instid0(VALU_DEP_1) | instskip(NEXT) | instid1(VALU_DEP_1)
	v_fma_f32 v8, -v4, v6, v7
	v_fmac_f32_e32 v6, v8, v5
	s_delay_alu instid0(VALU_DEP_1) | instskip(NEXT) | instid1(VALU_DEP_1)
	v_fma_f32 v4, -v4, v6, v7
	v_div_fmas_f32 v4, v4, v5, v6
	s_delay_alu instid0(VALU_DEP_1)
	v_div_fixup_f32 v3, v4, v2, v3
	global_store_b32 v[0:1], v3, off
	v_add_co_u32 v0, vcc_lo, v0, 4
	v_add_co_ci_u32_e32 v1, vcc_lo, 0, v1, vcc_lo
	s_cbranch_scc1 .LBB319_24
.LBB319_25:
	s_nop 0
	s_sendmsg sendmsg(MSG_DEALLOC_VGPRS)
	s_endpgm
	.section	.rodata,"a",@progbits
	.p2align	6, 0x0
	.amdhsa_kernel _ZN4vllm3moe10topkGatingILi8ELi16ELi4ELi16ELi32Ei14__hip_bfloat16LNS0_11ScoringFuncE1EEEvPKT5_PKbPfiPT4_PiiiibPKf
		.amdhsa_group_segment_fixed_size 0
		.amdhsa_private_segment_fixed_size 0
		.amdhsa_kernarg_size 72
		.amdhsa_user_sgpr_count 15
		.amdhsa_user_sgpr_dispatch_ptr 0
		.amdhsa_user_sgpr_queue_ptr 0
		.amdhsa_user_sgpr_kernarg_segment_ptr 1
		.amdhsa_user_sgpr_dispatch_id 0
		.amdhsa_user_sgpr_private_segment_size 0
		.amdhsa_wavefront_size32 1
		.amdhsa_uses_dynamic_stack 0
		.amdhsa_enable_private_segment 0
		.amdhsa_system_sgpr_workgroup_id_x 1
		.amdhsa_system_sgpr_workgroup_id_y 0
		.amdhsa_system_sgpr_workgroup_id_z 0
		.amdhsa_system_sgpr_workgroup_info 0
		.amdhsa_system_vgpr_workitem_id 1
		.amdhsa_next_free_vgpr 51
		.amdhsa_next_free_sgpr 20
		.amdhsa_reserve_vcc 1
		.amdhsa_float_round_mode_32 0
		.amdhsa_float_round_mode_16_64 0
		.amdhsa_float_denorm_mode_32 3
		.amdhsa_float_denorm_mode_16_64 3
		.amdhsa_dx10_clamp 1
		.amdhsa_ieee_mode 1
		.amdhsa_fp16_overflow 0
		.amdhsa_workgroup_processor_mode 1
		.amdhsa_memory_ordered 1
		.amdhsa_forward_progress 0
		.amdhsa_shared_vgpr_count 0
		.amdhsa_exception_fp_ieee_invalid_op 0
		.amdhsa_exception_fp_denorm_src 0
		.amdhsa_exception_fp_ieee_div_zero 0
		.amdhsa_exception_fp_ieee_overflow 0
		.amdhsa_exception_fp_ieee_underflow 0
		.amdhsa_exception_fp_ieee_inexact 0
		.amdhsa_exception_int_div_zero 0
	.end_amdhsa_kernel
	.section	.text._ZN4vllm3moe10topkGatingILi8ELi16ELi4ELi16ELi32Ei14__hip_bfloat16LNS0_11ScoringFuncE1EEEvPKT5_PKbPfiPT4_PiiiibPKf,"axG",@progbits,_ZN4vllm3moe10topkGatingILi8ELi16ELi4ELi16ELi32Ei14__hip_bfloat16LNS0_11ScoringFuncE1EEEvPKT5_PKbPfiPT4_PiiiibPKf,comdat
.Lfunc_end319:
	.size	_ZN4vllm3moe10topkGatingILi8ELi16ELi4ELi16ELi32Ei14__hip_bfloat16LNS0_11ScoringFuncE1EEEvPKT5_PKbPfiPT4_PiiiibPKf, .Lfunc_end319-_ZN4vllm3moe10topkGatingILi8ELi16ELi4ELi16ELi32Ei14__hip_bfloat16LNS0_11ScoringFuncE1EEEvPKT5_PKbPfiPT4_PiiiibPKf
                                        ; -- End function
	.section	.AMDGPU.csdata,"",@progbits
; Kernel info:
; codeLenInByte = 2620
; NumSgprs: 22
; NumVgprs: 51
; ScratchSize: 0
; MemoryBound: 0
; FloatMode: 240
; IeeeMode: 1
; LDSByteSize: 0 bytes/workgroup (compile time only)
; SGPRBlocks: 2
; VGPRBlocks: 6
; NumSGPRsForWavesPerEU: 22
; NumVGPRsForWavesPerEU: 51
; Occupancy: 16
; WaveLimiterHint : 0
; COMPUTE_PGM_RSRC2:SCRATCH_EN: 0
; COMPUTE_PGM_RSRC2:USER_SGPR: 15
; COMPUTE_PGM_RSRC2:TRAP_HANDLER: 0
; COMPUTE_PGM_RSRC2:TGID_X_EN: 1
; COMPUTE_PGM_RSRC2:TGID_Y_EN: 0
; COMPUTE_PGM_RSRC2:TGID_Z_EN: 0
; COMPUTE_PGM_RSRC2:TIDIG_COMP_CNT: 1
	.section	.text._ZN4vllm3moe10topkGatingILi8ELi32ELi4ELi16ELi64Ei14__hip_bfloat16LNS0_11ScoringFuncE1EEEvPKT5_PKbPfiPT4_PiiiibPKf,"axG",@progbits,_ZN4vllm3moe10topkGatingILi8ELi32ELi4ELi16ELi64Ei14__hip_bfloat16LNS0_11ScoringFuncE1EEEvPKT5_PKbPfiPT4_PiiiibPKf,comdat
	.protected	_ZN4vllm3moe10topkGatingILi8ELi32ELi4ELi16ELi64Ei14__hip_bfloat16LNS0_11ScoringFuncE1EEEvPKT5_PKbPfiPT4_PiiiibPKf ; -- Begin function _ZN4vllm3moe10topkGatingILi8ELi32ELi4ELi16ELi64Ei14__hip_bfloat16LNS0_11ScoringFuncE1EEEvPKT5_PKbPfiPT4_PiiiibPKf
	.globl	_ZN4vllm3moe10topkGatingILi8ELi32ELi4ELi16ELi64Ei14__hip_bfloat16LNS0_11ScoringFuncE1EEEvPKT5_PKbPfiPT4_PiiiibPKf
	.p2align	8
	.type	_ZN4vllm3moe10topkGatingILi8ELi32ELi4ELi16ELi64Ei14__hip_bfloat16LNS0_11ScoringFuncE1EEEvPKT5_PKbPfiPT4_PiiiibPKf,@function
_ZN4vllm3moe10topkGatingILi8ELi32ELi4ELi16ELi64Ei14__hip_bfloat16LNS0_11ScoringFuncE1EEEvPKT5_PKbPfiPT4_PiiiibPKf: ; @_ZN4vllm3moe10topkGatingILi8ELi32ELi4ELi16ELi64Ei14__hip_bfloat16LNS0_11ScoringFuncE1EEEvPKT5_PKbPfiPT4_PiiiibPKf
; %bb.0:
	s_load_b32 s18, s[0:1], 0x18
	v_bfe_u32 v1, v0, 10, 10
	v_and_b32_e32 v0, 0x3ff, v0
	s_lshl_b32 s2, s15, 6
	s_delay_alu instid0(VALU_DEP_2) | instskip(NEXT) | instid1(VALU_DEP_2)
	v_lshlrev_b32_e32 v1, 4, v1
	v_lshrrev_b32_e32 v2, 2, v0
	s_delay_alu instid0(VALU_DEP_1) | instskip(SKIP_2) | instid1(VALU_DEP_1)
	v_add3_u32 v16, s2, v1, v2
	s_mov_b32 s2, exec_lo
	s_waitcnt lgkmcnt(0)
	v_cmpx_gt_i32_e64 s18, v16
	s_cbranch_execz .LBB320_29
; %bb.1:
	s_clause 0x1
	s_load_b128 s[4:7], s[0:1], 0x0
	s_load_b64 s[16:17], s[0:1], 0x10
	s_mov_b32 s9, -1
	s_mov_b32 s19, -1
	s_waitcnt lgkmcnt(0)
	s_cmp_eq_u64 s[6:7], 0
	s_cbranch_scc1 .LBB320_3
; %bb.2:
	v_ashrrev_i32_e32 v2, 31, v16
	v_add_co_u32 v1, vcc_lo, s6, v16
	s_delay_alu instid0(VALU_DEP_2) | instskip(SKIP_3) | instid1(VALU_DEP_1)
	v_add_co_ci_u32_e32 v2, vcc_lo, s7, v2, vcc_lo
	global_load_u8 v1, v[1:2], off
	s_waitcnt vmcnt(0)
	v_and_b32_e32 v1, 1, v1
	v_cmp_eq_u32_e32 vcc_lo, 1, v1
	s_xor_b32 s2, vcc_lo, -1
	s_delay_alu instid0(SALU_CYCLE_1)
	s_or_not1_b32 s19, s2, exec_lo
.LBB320_3:
	v_lshlrev_b32_e32 v1, 5, v16
	v_and_b32_e32 v17, 3, v0
	s_load_b64 s[10:11], s[0:1], 0x40
	s_delay_alu instid0(VALU_DEP_2) | instskip(NEXT) | instid1(VALU_DEP_1)
	v_ashrrev_i32_e32 v2, 31, v1
	v_lshlrev_b64 v[0:1], 1, v[1:2]
	s_delay_alu instid0(VALU_DEP_3) | instskip(NEXT) | instid1(VALU_DEP_2)
	v_lshlrev_b32_e32 v2, 4, v17
	v_add_co_u32 v0, vcc_lo, s4, v0
	s_delay_alu instid0(VALU_DEP_3) | instskip(NEXT) | instid1(VALU_DEP_2)
	v_add_co_ci_u32_e32 v1, vcc_lo, s5, v1, vcc_lo
	v_add_co_u32 v0, vcc_lo, v0, v2
	s_delay_alu instid0(VALU_DEP_2)
	v_add_co_ci_u32_e32 v1, vcc_lo, 0, v1, vcc_lo
	s_waitcnt lgkmcnt(0)
	s_cmp_eq_u64 s[10:11], 0
	global_load_b128 v[0:3], v[0:1], off
	s_waitcnt vmcnt(0)
	v_lshlrev_b32_e32 v5, 16, v1
	s_delay_alu instid0(VALU_DEP_1) | instskip(NEXT) | instid1(VALU_DEP_1)
	v_dual_mul_f32 v5, 0xbfb8aa3b, v5 :: v_dual_lshlrev_b32 v4, 16, v0
	v_mul_f32_e32 v4, 0xbfb8aa3b, v4
	s_delay_alu instid0(VALU_DEP_2) | instskip(NEXT) | instid1(VALU_DEP_1)
	v_exp_f32_e32 v5, v5
	v_exp_f32_e32 v4, v4
	v_and_b32_e32 v1, 0xffff0000, v1
	s_waitcnt_depctr 0xfff
	v_dual_add_f32 v5, 1.0, v5 :: v_dual_and_b32 v0, 0xffff0000, v0
	v_add_f32_e32 v4, 1.0, v4
	v_dual_mul_f32 v1, 0xbfb8aa3b, v1 :: v_dual_lshlrev_b32 v6, 16, v2
	s_delay_alu instid0(VALU_DEP_3) | instskip(NEXT) | instid1(VALU_DEP_4)
	v_dual_mul_f32 v0, 0xbfb8aa3b, v0 :: v_dual_lshlrev_b32 v7, 16, v3
	v_div_scale_f32 v12, null, v5, v5, 1.0
	s_delay_alu instid0(VALU_DEP_3) | instskip(SKIP_1) | instid1(VALU_DEP_3)
	v_exp_f32_e32 v1, v1
	v_and_b32_e32 v2, 0xffff0000, v2
	v_exp_f32_e32 v0, v0
	v_and_b32_e32 v3, 0xffff0000, v3
	v_dual_mul_f32 v6, 0xbfb8aa3b, v6 :: v_dual_mul_f32 v7, 0xbfb8aa3b, v7
	v_rcp_f32_e32 v28, v12
	v_div_scale_f32 v13, s3, 1.0, v5, 1.0
	s_delay_alu instid0(VALU_DEP_2) | instskip(SKIP_1) | instid1(TRANS32_DEP_3)
	v_exp_f32_e32 v6, v6
	v_dual_add_f32 v1, 1.0, v1 :: v_dual_mul_f32 v2, 0xbfb8aa3b, v2
	v_dual_add_f32 v0, 1.0, v0 :: v_dual_mul_f32 v3, 0xbfb8aa3b, v3
	v_lshlrev_b32_e32 v18, 3, v17
	v_exp_f32_e32 v7, v7
	s_delay_alu instid0(VALU_DEP_3) | instskip(NEXT) | instid1(VALU_DEP_2)
	v_exp_f32_e32 v2, v2
	v_div_scale_f32 v10, null, v0, v0, 1.0
	v_exp_f32_e32 v3, v3
	v_add_f32_e32 v6, 1.0, v6
	v_div_scale_f32 v14, null, v1, v1, 1.0
	s_delay_alu instid0(VALU_DEP_3) | instskip(SKIP_1) | instid1(TRANS32_DEP_3)
	v_rcp_f32_e32 v27, v10
	v_fma_f32 v37, -v12, v28, 1.0
	v_dual_add_f32 v7, 1.0, v7 :: v_dual_add_f32 v8, 1.0, v2
	v_div_scale_f32 v2, null, v4, v4, 1.0
	s_delay_alu instid0(TRANS32_DEP_2) | instskip(SKIP_1) | instid1(VALU_DEP_4)
	v_add_f32_e32 v9, 1.0, v3
	v_div_scale_f32 v19, null, v6, v6, 1.0
	v_div_scale_f32 v21, null, v8, v8, 1.0
	s_delay_alu instid0(VALU_DEP_4) | instskip(NEXT) | instid1(VALU_DEP_2)
	v_rcp_f32_e32 v26, v2
	v_rcp_f32_e32 v30, v19
	v_rcp_f32_e32 v29, v14
	s_delay_alu instid0(VALU_DEP_1)
	v_rcp_f32_e32 v31, v21
	v_div_scale_f32 v23, null, v7, v7, 1.0
	v_fma_f32 v36, -v10, v27, 1.0
	v_div_scale_f32 v3, vcc_lo, 1.0, v4, 1.0
	v_div_scale_f32 v11, s2, 1.0, v0, 1.0
	v_fma_f32 v35, -v2, v26, 1.0
	s_delay_alu instid0(TRANS32_DEP_3) | instskip(NEXT) | instid1(TRANS32_DEP_1)
	v_fma_f32 v39, -v19, v30, 1.0
	v_fma_f32 v40, -v21, v31, 1.0
	s_delay_alu instid0(TRANS32_DEP_2) | instskip(SKIP_3) | instid1(VALU_DEP_3)
	v_fma_f32 v38, -v14, v29, 1.0
	v_div_scale_f32 v25, null, v9, v9, 1.0
	v_dual_fmac_f32 v26, v35, v26 :: v_dual_fmac_f32 v27, v36, v27
	v_rcp_f32_e32 v32, v23
	v_dual_fmac_f32 v28, v37, v28 :: v_dual_fmac_f32 v29, v38, v29
	v_div_scale_f32 v22, s6, 1.0, v8, 1.0
	v_dual_fmac_f32 v30, v39, v30 :: v_dual_fmac_f32 v31, v40, v31
	v_mul_f32_e32 v35, v3, v26
	v_div_scale_f32 v15, s4, 1.0, v1, 1.0
	v_rcp_f32_e32 v33, v25
	s_delay_alu instid0(VALU_DEP_3)
	v_mul_f32_e32 v40, v22, v31
	v_dual_mul_f32 v36, v11, v27 :: v_dual_mul_f32 v37, v13, v28
	v_div_scale_f32 v20, s5, 1.0, v6, 1.0
	v_fma_f32 v43, -v2, v35, v3
	v_mul_f32_e32 v38, v15, v29
	v_fma_f32 v41, -v23, v32, 1.0
	s_delay_alu instid0(VALU_DEP_4)
	v_mul_f32_e32 v39, v20, v30
	v_fma_f32 v44, -v10, v36, v11
	v_fma_f32 v45, -v12, v37, v13
	v_fmac_f32_e32 v35, v43, v26
	v_fma_f32 v46, -v14, v38, v15
	v_div_scale_f32 v24, s7, 1.0, v7, 1.0
	v_fmac_f32_e32 v36, v44, v27
	v_fma_f32 v42, -v25, v33, 1.0
	v_fmac_f32_e32 v32, v41, v32
	v_fma_f32 v47, -v19, v39, v20
	v_dual_fmac_f32 v37, v45, v28 :: v_dual_fmac_f32 v38, v46, v29
	v_fma_f32 v48, -v21, v40, v22
	v_fma_f32 v2, -v2, v35, v3
	v_div_scale_f32 v34, s8, 1.0, v9, 1.0
	v_fmac_f32_e32 v33, v42, v33
	v_mul_f32_e32 v41, v24, v32
	v_fma_f32 v3, -v10, v36, v11
	v_dual_fmac_f32 v39, v47, v30 :: v_dual_fmac_f32 v40, v48, v31
	v_fma_f32 v10, -v12, v37, v13
	v_div_fmas_f32 v2, v2, v26, v35
	s_mov_b32 vcc_lo, s2
	v_fma_f32 v11, -v14, v38, v15
	v_mul_f32_e32 v42, v34, v33
	v_fma_f32 v49, -v23, v41, v24
	v_div_fmas_f32 v3, v3, v27, v36
	s_mov_b32 vcc_lo, s3
	v_fma_f32 v12, -v19, v39, v20
	v_div_fmas_f32 v10, v10, v28, v37
	s_mov_b32 vcc_lo, s4
	v_fma_f32 v13, -v21, v40, v22
	v_div_fixup_f32 v2, v2, v4, 1.0
	v_div_fmas_f32 v4, v11, v29, v38
	s_mov_b32 vcc_lo, s5
	v_fma_f32 v50, -v25, v42, v34
	v_fmac_f32_e32 v41, v49, v32
	v_div_fmas_f32 v11, v12, v30, v39
	s_mov_b32 vcc_lo, s6
	v_div_fixup_f32 v5, v10, v5, 1.0
	v_fmac_f32_e32 v42, v50, v33
	v_div_fmas_f32 v10, v13, v31, v40
	v_cmp_class_f32_e64 vcc_lo, v2, 0x1f8
	v_fma_f32 v14, -v23, v41, v24
	v_div_fixup_f32 v3, v3, v0, 1.0
	v_fma_f32 v15, -v25, v42, v34
	v_div_fixup_f32 v4, v4, v1, 1.0
	v_cndmask_b32_e32 v0, 0, v2, vcc_lo
	s_mov_b32 vcc_lo, s7
	v_div_fixup_f32 v6, v11, v6, 1.0
	v_div_fmas_f32 v12, v14, v32, v41
	v_cmp_class_f32_e64 vcc_lo, v3, 0x1f8
	s_delay_alu instid0(VALU_DEP_2)
	v_div_fixup_f32 v7, v12, v7, 1.0
	v_cndmask_b32_e32 v1, 0, v3, vcc_lo
	s_mov_b32 vcc_lo, s8
	v_div_fmas_f32 v11, v15, v33, v42
	v_cmp_class_f32_e64 vcc_lo, v5, 0x1f8
	v_cndmask_b32_e32 v2, 0, v5, vcc_lo
	v_cmp_class_f32_e64 vcc_lo, v4, 0x1f8
	v_div_fixup_f32 v5, v10, v8, 1.0
	v_div_fixup_f32 v8, v11, v9, 1.0
	v_cndmask_b32_e32 v3, 0, v4, vcc_lo
	v_cmp_class_f32_e64 vcc_lo, v6, 0x1f8
	v_cndmask_b32_e32 v4, 0, v6, vcc_lo
	v_cmp_class_f32_e64 vcc_lo, v5, 0x1f8
	;; [unrolled: 2-line block ×4, first 2 shown]
	v_cndmask_b32_e32 v7, 0, v8, vcc_lo
	s_cbranch_scc1 .LBB320_23
; %bb.4:
	v_lshlrev_b32_e32 v12, 2, v18
	s_clause 0x1
	global_load_b128 v[8:11], v12, s[10:11]
	global_load_b128 v[12:15], v12, s[10:11] offset:16
	s_waitcnt vmcnt(1)
	v_dual_add_f32 v9, v9, v1 :: v_dual_add_f32 v8, v8, v0
	v_dual_add_f32 v11, v11, v3 :: v_dual_add_f32 v10, v10, v2
	s_waitcnt vmcnt(0)
	v_dual_add_f32 v13, v13, v5 :: v_dual_add_f32 v12, v12, v4
	v_dual_add_f32 v15, v15, v7 :: v_dual_add_f32 v14, v14, v6
	s_cbranch_execnz .LBB320_6
.LBB320_5:
	v_dual_mov_b32 v15, v7 :: v_dual_mov_b32 v14, v6
	v_dual_mov_b32 v13, v5 :: v_dual_mov_b32 v12, v4
	;; [unrolled: 1-line block ×4, first 2 shown]
.LBB320_6:
	s_load_b128 s[8:11], s[0:1], 0x30
	v_cmp_eq_u32_e64 s2, 0, v17
	s_mov_b32 s6, 0
	s_waitcnt lgkmcnt(0)
	s_bitcmp1_b32 s11, 0
	s_cselect_b32 vcc_lo, -1, 0
	s_cmp_gt_i32 s8, 0
	s_cselect_b32 s5, -1, 0
	s_cmp_lt_i32 s8, 1
	s_cbranch_scc1 .LBB320_24
; %bb.7:
	v_mbcnt_lo_u32_b32 v19, -1, 0
	s_load_b128 s[12:15], s[0:1], 0x20
	s_delay_alu instid0(VALU_DEP_1) | instskip(SKIP_2) | instid1(VALU_DEP_3)
	v_dual_mov_b32 v23, v16 :: v_dual_and_b32 v20, 28, v19
	v_xor_b32_e32 v21, 2, v19
	v_xor_b32_e32 v22, 1, v19
	v_add_nc_u32_e32 v20, 4, v20
	s_delay_alu instid0(VALU_DEP_1) | instskip(NEXT) | instid1(VALU_DEP_1)
	v_cmp_lt_i32_e64 s0, v21, v20
	v_cndmask_b32_e64 v21, v19, v21, s0
	s_delay_alu instid0(VALU_DEP_4) | instskip(SKIP_1) | instid1(VALU_DEP_3)
	v_cmp_lt_i32_e64 s0, v22, v20
	v_mul_lo_u32 v20, v16, s8
	v_lshlrev_b32_e32 v21, 2, v21
	s_delay_alu instid0(VALU_DEP_3) | instskip(NEXT) | instid1(VALU_DEP_1)
	v_cndmask_b32_e64 v22, v19, v22, s0
	v_dual_mov_b32 v19, 0 :: v_dual_lshlrev_b32 v22, 2, v22
	s_branch .LBB320_10
.LBB320_8:                              ;   in Loop: Header=BB320_10 Depth=1
	s_or_b32 exec_lo, exec_lo, s1
.LBB320_9:                              ;   in Loop: Header=BB320_10 Depth=1
	v_add_nc_u32_e32 v23, s18, v23
	s_cmp_eq_u32 s8, s6
	s_cbranch_scc1 .LBB320_25
.LBB320_10:                             ; =>This Inner Loop Header: Depth=1
	v_cmp_gt_f32_e64 s0, v9, v8
	s_delay_alu instid0(VALU_DEP_1) | instskip(SKIP_2) | instid1(VALU_DEP_3)
	v_cndmask_b32_e64 v25, v8, v9, s0
	v_cndmask_b32_e64 v24, 0, 1, s0
	;; [unrolled: 1-line block ×3, first 2 shown]
	v_cmp_gt_f32_e64 s1, v10, v25
	s_delay_alu instid0(VALU_DEP_1) | instskip(NEXT) | instid1(VALU_DEP_4)
	v_cndmask_b32_e64 v25, v25, v10, s1
	v_cndmask_b32_e64 v24, v24, 2, s1
	s_delay_alu instid0(VALU_DEP_4) | instskip(NEXT) | instid1(VALU_DEP_3)
	v_cndmask_b32_e64 v26, v26, v2, s1
	v_cmp_gt_f32_e64 s3, v11, v25
	s_delay_alu instid0(VALU_DEP_1) | instskip(NEXT) | instid1(VALU_DEP_4)
	v_cndmask_b32_e64 v25, v25, v11, s3
	v_cndmask_b32_e64 v24, v24, 3, s3
	s_delay_alu instid0(VALU_DEP_4) | instskip(NEXT) | instid1(VALU_DEP_3)
	v_cndmask_b32_e64 v26, v26, v3, s3
	v_cmp_gt_f32_e64 s4, v12, v25
	s_delay_alu instid0(VALU_DEP_1) | instskip(NEXT) | instid1(VALU_DEP_4)
	v_cndmask_b32_e64 v25, v25, v12, s4
	v_cndmask_b32_e64 v24, v24, 4, s4
	s_delay_alu instid0(VALU_DEP_4) | instskip(SKIP_1) | instid1(VALU_DEP_3)
	v_cndmask_b32_e64 v26, v26, v4, s4
	s_mov_b32 s4, exec_lo
	v_cmp_gt_f32_e64 s0, v13, v25
	s_delay_alu instid0(VALU_DEP_1) | instskip(SKIP_2) | instid1(VALU_DEP_3)
	v_cndmask_b32_e64 v25, v25, v13, s0
	v_cndmask_b32_e64 v24, v24, 5, s0
	;; [unrolled: 1-line block ×3, first 2 shown]
	v_cmp_gt_f32_e64 s1, v14, v25
	s_delay_alu instid0(VALU_DEP_1) | instskip(NEXT) | instid1(VALU_DEP_4)
	v_cndmask_b32_e64 v25, v25, v14, s1
	v_cndmask_b32_e64 v24, v24, 6, s1
	s_waitcnt lgkmcnt(0)
	v_cndmask_b32_e64 v27, v26, v6, s1
	s_delay_alu instid0(VALU_DEP_3) | instskip(NEXT) | instid1(VALU_DEP_1)
	v_cmp_gt_f32_e64 s0, v15, v25
	v_cndmask_b32_e64 v24, v24, 7, s0
	v_cndmask_b32_e64 v26, v25, v15, s0
	s_delay_alu instid0(VALU_DEP_4) | instskip(NEXT) | instid1(VALU_DEP_3)
	v_cndmask_b32_e64 v25, v27, v7, s0
	v_or_b32_e32 v24, v18, v24
	ds_bpermute_b32 v27, v21, v26
	ds_bpermute_b32 v29, v21, v25
	;; [unrolled: 1-line block ×3, first 2 shown]
	s_waitcnt lgkmcnt(0)
	v_cmp_lt_f32_e64 s3, v26, v27
	v_cmpx_nlt_f32_e32 v26, v27
; %bb.11:                               ;   in Loop: Header=BB320_10 Depth=1
	v_cmp_eq_f32_e64 s0, v26, v27
	v_cmp_lt_i32_e64 s1, v28, v24
	s_delay_alu instid0(VALU_DEP_1) | instskip(SKIP_2) | instid1(SALU_CYCLE_1)
	s_and_b32 s0, s0, s1
	s_and_not1_b32 s1, s3, exec_lo
	s_and_b32 s0, s0, exec_lo
	s_or_b32 s3, s1, s0
; %bb.12:                               ;   in Loop: Header=BB320_10 Depth=1
	s_or_b32 exec_lo, exec_lo, s4
	s_and_saveexec_b32 s0, s3
; %bb.13:                               ;   in Loop: Header=BB320_10 Depth=1
	v_dual_mov_b32 v25, v29 :: v_dual_mov_b32 v26, v27
	v_mov_b32_e32 v24, v28
; %bb.14:                               ;   in Loop: Header=BB320_10 Depth=1
	s_or_b32 exec_lo, exec_lo, s0
	ds_bpermute_b32 v29, v22, v26
	ds_bpermute_b32 v27, v22, v25
	ds_bpermute_b32 v28, v22, v24
	s_mov_b32 s4, exec_lo
	s_waitcnt lgkmcnt(2)
	v_cmp_lt_f32_e64 s3, v26, v29
	v_cmpx_nlt_f32_e32 v26, v29
	s_cbranch_execnz .LBB320_18
; %bb.15:                               ;   in Loop: Header=BB320_10 Depth=1
	s_or_b32 exec_lo, exec_lo, s4
	s_delay_alu instid0(VALU_DEP_2)
	s_and_saveexec_b32 s0, s3
	s_cbranch_execnz .LBB320_19
.LBB320_16:                             ;   in Loop: Header=BB320_10 Depth=1
	s_or_b32 exec_lo, exec_lo, s0
	s_and_saveexec_b32 s3, s2
	s_cbranch_execnz .LBB320_20
.LBB320_17:                             ;   in Loop: Header=BB320_10 Depth=1
	s_or_b32 exec_lo, exec_lo, s3
	s_add_i32 s6, s6, 1
	s_delay_alu instid0(SALU_CYCLE_1)
	s_cmp_ge_i32 s6, s8
	s_cbranch_scc1 .LBB320_9
	s_branch .LBB320_21
.LBB320_18:                             ;   in Loop: Header=BB320_10 Depth=1
	v_cmp_eq_f32_e64 s0, v26, v29
	s_waitcnt lgkmcnt(0)
	v_cmp_lt_i32_e64 s1, v28, v24
	s_delay_alu instid0(VALU_DEP_1) | instskip(SKIP_2) | instid1(SALU_CYCLE_1)
	s_and_b32 s0, s0, s1
	s_and_not1_b32 s1, s3, exec_lo
	s_and_b32 s0, s0, exec_lo
	s_or_b32 s3, s1, s0
	s_or_b32 exec_lo, exec_lo, s4
	s_and_saveexec_b32 s0, s3
	s_cbranch_execz .LBB320_16
.LBB320_19:                             ;   in Loop: Header=BB320_10 Depth=1
	s_waitcnt lgkmcnt(0)
	v_dual_mov_b32 v24, v28 :: v_dual_mov_b32 v25, v27
	s_or_b32 exec_lo, exec_lo, s0
	s_and_saveexec_b32 s3, s2
	s_cbranch_execz .LBB320_17
.LBB320_20:                             ;   in Loop: Header=BB320_10 Depth=1
	s_delay_alu instid0(VALU_DEP_1)
	v_dual_add_f32 v33, v19, v25 :: v_dual_add_nc_u32 v26, s6, v20
	v_cmp_le_i32_e64 s0, s9, v24
	v_cmp_gt_i32_e64 s1, s10, v24
	s_waitcnt lgkmcnt(0)
	v_subrev_nc_u32_e32 v28, s9, v24
	v_ashrrev_i32_e32 v27, 31, v26
	v_cndmask_b32_e32 v19, v19, v33, vcc_lo
	s_and_b32 s0, s0, s1
	s_delay_alu instid0(SALU_CYCLE_1) | instskip(NEXT) | instid1(VALU_DEP_2)
	s_and_b32 s0, s19, s0
	v_lshlrev_b64 v[26:27], 2, v[26:27]
	v_cndmask_b32_e64 v32, 32, v28, s0
	s_delay_alu instid0(VALU_DEP_2) | instskip(NEXT) | instid1(VALU_DEP_1)
	v_add_co_u32 v28, s0, s16, v26
	v_add_co_ci_u32_e64 v29, s0, s17, v27, s0
	v_add_co_u32 v30, s0, s12, v26
	s_delay_alu instid0(VALU_DEP_1) | instskip(SKIP_1) | instid1(VALU_DEP_1)
	v_add_co_ci_u32_e64 v31, s0, s13, v27, s0
	v_add_co_u32 v26, s0, s14, v26
	v_add_co_ci_u32_e64 v27, s0, s15, v27, s0
	global_store_b32 v[28:29], v25, off
	global_store_b32 v[30:31], v32, off
	;; [unrolled: 1-line block ×3, first 2 shown]
	s_or_b32 exec_lo, exec_lo, s3
	s_add_i32 s6, s6, 1
	s_delay_alu instid0(SALU_CYCLE_1)
	s_cmp_ge_i32 s6, s8
	s_cbranch_scc1 .LBB320_9
.LBB320_21:                             ;   in Loop: Header=BB320_10 Depth=1
	v_ashrrev_i32_e32 v26, 31, v24
	s_mov_b32 s1, exec_lo
	s_delay_alu instid0(VALU_DEP_1) | instskip(NEXT) | instid1(VALU_DEP_1)
	v_lshrrev_b32_e32 v25, 29, v26
	v_add_nc_u32_e32 v25, v24, v25
	s_delay_alu instid0(VALU_DEP_1) | instskip(SKIP_1) | instid1(VALU_DEP_1)
	v_ashrrev_i32_e32 v25, 3, v25
	s_waitcnt lgkmcnt(1)
	v_lshrrev_b32_e32 v27, 30, v25
	s_delay_alu instid0(VALU_DEP_1) | instskip(NEXT) | instid1(VALU_DEP_1)
	v_add_nc_u32_e32 v27, v25, v27
	v_and_b32_e32 v27, -4, v27
	s_delay_alu instid0(VALU_DEP_1) | instskip(NEXT) | instid1(VALU_DEP_1)
	v_sub_nc_u32_e32 v27, v25, v27
	v_cmpx_eq_u32_e64 v17, v27
	s_cbranch_execz .LBB320_8
; %bb.22:                               ;   in Loop: Header=BB320_10 Depth=1
	v_lshrrev_b32_e32 v26, 27, v26
	v_lshlrev_b32_e32 v25, 3, v25
	s_delay_alu instid0(VALU_DEP_2) | instskip(NEXT) | instid1(VALU_DEP_2)
	v_add_nc_u32_e32 v26, v24, v26
	v_sub_nc_u32_e32 v24, v24, v25
	s_delay_alu instid0(VALU_DEP_2) | instskip(NEXT) | instid1(VALU_DEP_1)
	v_ashrrev_i32_e32 v25, 5, v26
	v_lshl_add_u32 v24, v25, 3, v24
	s_delay_alu instid0(VALU_DEP_1) | instskip(NEXT) | instid1(VALU_DEP_1)
	v_cmp_ne_u32_e64 s0, 7, v24
	v_cndmask_b32_e64 v15, 0xc61c4000, v15, s0
	v_cmp_ne_u32_e64 s0, 6, v24
	s_delay_alu instid0(VALU_DEP_1) | instskip(SKIP_1) | instid1(VALU_DEP_1)
	v_cndmask_b32_e64 v14, 0xc61c4000, v14, s0
	v_cmp_ne_u32_e64 s0, 5, v24
	v_cndmask_b32_e64 v13, 0xc61c4000, v13, s0
	v_cmp_ne_u32_e64 s0, 4, v24
	s_delay_alu instid0(VALU_DEP_1) | instskip(SKIP_1) | instid1(VALU_DEP_1)
	v_cndmask_b32_e64 v12, 0xc61c4000, v12, s0
	;; [unrolled: 5-line block ×3, first 2 shown]
	v_cmp_ne_u32_e64 s0, 1, v24
	v_cndmask_b32_e64 v9, 0xc61c4000, v9, s0
	v_cmp_ne_u32_e64 s0, 0, v24
	s_delay_alu instid0(VALU_DEP_1)
	v_cndmask_b32_e64 v8, 0xc61c4000, v8, s0
	s_branch .LBB320_8
.LBB320_23:
                                        ; implicit-def: $vgpr8_vgpr9_vgpr10_vgpr11_vgpr12_vgpr13_vgpr14_vgpr15
	s_and_not1_b32 vcc_lo, exec_lo, s9
	s_cbranch_vccz .LBB320_5
	s_branch .LBB320_6
.LBB320_24:
	v_mov_b32_e32 v19, 0
.LBB320_25:
	v_cmp_eq_u32_e64 s0, 0, v17
	s_delay_alu instid0(VALU_DEP_1) | instskip(NEXT) | instid1(SALU_CYCLE_1)
	s_and_b32 s0, s0, vcc_lo
	s_and_b32 exec_lo, exec_lo, s0
	s_cbranch_execz .LBB320_29
; %bb.26:
	s_and_not1_b32 vcc_lo, exec_lo, s5
	s_cbranch_vccnz .LBB320_29
; %bb.27:
	v_mul_lo_u32 v0, v16, s8
	v_cmp_lt_f32_e32 vcc_lo, 0, v19
	v_cndmask_b32_e32 v2, 1.0, v19, vcc_lo
	s_delay_alu instid0(VALU_DEP_3) | instskip(NEXT) | instid1(VALU_DEP_1)
	v_ashrrev_i32_e32 v1, 31, v0
	v_lshlrev_b64 v[0:1], 2, v[0:1]
	s_delay_alu instid0(VALU_DEP_1) | instskip(NEXT) | instid1(VALU_DEP_2)
	v_add_co_u32 v0, vcc_lo, s16, v0
	v_add_co_ci_u32_e32 v1, vcc_lo, s17, v1, vcc_lo
	.p2align	6
.LBB320_28:                             ; =>This Inner Loop Header: Depth=1
	global_load_b32 v3, v[0:1], off
	s_add_i32 s8, s8, -1
	s_delay_alu instid0(SALU_CYCLE_1) | instskip(SKIP_3) | instid1(VALU_DEP_2)
	s_cmp_lg_u32 s8, 0
	s_waitcnt vmcnt(0)
	v_div_scale_f32 v4, null, v2, v2, v3
	v_div_scale_f32 v7, vcc_lo, v3, v2, v3
	v_rcp_f32_e32 v5, v4
	s_waitcnt_depctr 0xfff
	v_fma_f32 v6, -v4, v5, 1.0
	s_delay_alu instid0(VALU_DEP_1) | instskip(NEXT) | instid1(VALU_DEP_1)
	v_fmac_f32_e32 v5, v6, v5
	v_mul_f32_e32 v6, v7, v5
	s_delay_alu instid0(VALU_DEP_1) | instskip(NEXT) | instid1(VALU_DEP_1)
	v_fma_f32 v8, -v4, v6, v7
	v_fmac_f32_e32 v6, v8, v5
	s_delay_alu instid0(VALU_DEP_1) | instskip(NEXT) | instid1(VALU_DEP_1)
	v_fma_f32 v4, -v4, v6, v7
	v_div_fmas_f32 v4, v4, v5, v6
	s_delay_alu instid0(VALU_DEP_1)
	v_div_fixup_f32 v3, v4, v2, v3
	global_store_b32 v[0:1], v3, off
	v_add_co_u32 v0, vcc_lo, v0, 4
	v_add_co_ci_u32_e32 v1, vcc_lo, 0, v1, vcc_lo
	s_cbranch_scc1 .LBB320_28
.LBB320_29:
	s_nop 0
	s_sendmsg sendmsg(MSG_DEALLOC_VGPRS)
	s_endpgm
	.section	.rodata,"a",@progbits
	.p2align	6, 0x0
	.amdhsa_kernel _ZN4vllm3moe10topkGatingILi8ELi32ELi4ELi16ELi64Ei14__hip_bfloat16LNS0_11ScoringFuncE1EEEvPKT5_PKbPfiPT4_PiiiibPKf
		.amdhsa_group_segment_fixed_size 0
		.amdhsa_private_segment_fixed_size 0
		.amdhsa_kernarg_size 72
		.amdhsa_user_sgpr_count 15
		.amdhsa_user_sgpr_dispatch_ptr 0
		.amdhsa_user_sgpr_queue_ptr 0
		.amdhsa_user_sgpr_kernarg_segment_ptr 1
		.amdhsa_user_sgpr_dispatch_id 0
		.amdhsa_user_sgpr_private_segment_size 0
		.amdhsa_wavefront_size32 1
		.amdhsa_uses_dynamic_stack 0
		.amdhsa_enable_private_segment 0
		.amdhsa_system_sgpr_workgroup_id_x 1
		.amdhsa_system_sgpr_workgroup_id_y 0
		.amdhsa_system_sgpr_workgroup_id_z 0
		.amdhsa_system_sgpr_workgroup_info 0
		.amdhsa_system_vgpr_workitem_id 1
		.amdhsa_next_free_vgpr 51
		.amdhsa_next_free_sgpr 20
		.amdhsa_reserve_vcc 1
		.amdhsa_float_round_mode_32 0
		.amdhsa_float_round_mode_16_64 0
		.amdhsa_float_denorm_mode_32 3
		.amdhsa_float_denorm_mode_16_64 3
		.amdhsa_dx10_clamp 1
		.amdhsa_ieee_mode 1
		.amdhsa_fp16_overflow 0
		.amdhsa_workgroup_processor_mode 1
		.amdhsa_memory_ordered 1
		.amdhsa_forward_progress 0
		.amdhsa_shared_vgpr_count 0
		.amdhsa_exception_fp_ieee_invalid_op 0
		.amdhsa_exception_fp_denorm_src 0
		.amdhsa_exception_fp_ieee_div_zero 0
		.amdhsa_exception_fp_ieee_overflow 0
		.amdhsa_exception_fp_ieee_underflow 0
		.amdhsa_exception_fp_ieee_inexact 0
		.amdhsa_exception_int_div_zero 0
	.end_amdhsa_kernel
	.section	.text._ZN4vllm3moe10topkGatingILi8ELi32ELi4ELi16ELi64Ei14__hip_bfloat16LNS0_11ScoringFuncE1EEEvPKT5_PKbPfiPT4_PiiiibPKf,"axG",@progbits,_ZN4vllm3moe10topkGatingILi8ELi32ELi4ELi16ELi64Ei14__hip_bfloat16LNS0_11ScoringFuncE1EEEvPKT5_PKbPfiPT4_PiiiibPKf,comdat
.Lfunc_end320:
	.size	_ZN4vllm3moe10topkGatingILi8ELi32ELi4ELi16ELi64Ei14__hip_bfloat16LNS0_11ScoringFuncE1EEEvPKT5_PKbPfiPT4_PiiiibPKf, .Lfunc_end320-_ZN4vllm3moe10topkGatingILi8ELi32ELi4ELi16ELi64Ei14__hip_bfloat16LNS0_11ScoringFuncE1EEEvPKT5_PKbPfiPT4_PiiiibPKf
                                        ; -- End function
	.section	.AMDGPU.csdata,"",@progbits
; Kernel info:
; codeLenInByte = 2768
; NumSgprs: 22
; NumVgprs: 51
; ScratchSize: 0
; MemoryBound: 0
; FloatMode: 240
; IeeeMode: 1
; LDSByteSize: 0 bytes/workgroup (compile time only)
; SGPRBlocks: 2
; VGPRBlocks: 6
; NumSGPRsForWavesPerEU: 22
; NumVGPRsForWavesPerEU: 51
; Occupancy: 16
; WaveLimiterHint : 0
; COMPUTE_PGM_RSRC2:SCRATCH_EN: 0
; COMPUTE_PGM_RSRC2:USER_SGPR: 15
; COMPUTE_PGM_RSRC2:TRAP_HANDLER: 0
; COMPUTE_PGM_RSRC2:TGID_X_EN: 1
; COMPUTE_PGM_RSRC2:TGID_Y_EN: 0
; COMPUTE_PGM_RSRC2:TGID_Z_EN: 0
; COMPUTE_PGM_RSRC2:TIDIG_COMP_CNT: 1
	.section	.text._ZN4vllm3moe10topkGatingILi8ELi32ELi4ELi16ELi32Ei14__hip_bfloat16LNS0_11ScoringFuncE1EEEvPKT5_PKbPfiPT4_PiiiibPKf,"axG",@progbits,_ZN4vllm3moe10topkGatingILi8ELi32ELi4ELi16ELi32Ei14__hip_bfloat16LNS0_11ScoringFuncE1EEEvPKT5_PKbPfiPT4_PiiiibPKf,comdat
	.protected	_ZN4vllm3moe10topkGatingILi8ELi32ELi4ELi16ELi32Ei14__hip_bfloat16LNS0_11ScoringFuncE1EEEvPKT5_PKbPfiPT4_PiiiibPKf ; -- Begin function _ZN4vllm3moe10topkGatingILi8ELi32ELi4ELi16ELi32Ei14__hip_bfloat16LNS0_11ScoringFuncE1EEEvPKT5_PKbPfiPT4_PiiiibPKf
	.globl	_ZN4vllm3moe10topkGatingILi8ELi32ELi4ELi16ELi32Ei14__hip_bfloat16LNS0_11ScoringFuncE1EEEvPKT5_PKbPfiPT4_PiiiibPKf
	.p2align	8
	.type	_ZN4vllm3moe10topkGatingILi8ELi32ELi4ELi16ELi32Ei14__hip_bfloat16LNS0_11ScoringFuncE1EEEvPKT5_PKbPfiPT4_PiiiibPKf,@function
_ZN4vllm3moe10topkGatingILi8ELi32ELi4ELi16ELi32Ei14__hip_bfloat16LNS0_11ScoringFuncE1EEEvPKT5_PKbPfiPT4_PiiiibPKf: ; @_ZN4vllm3moe10topkGatingILi8ELi32ELi4ELi16ELi32Ei14__hip_bfloat16LNS0_11ScoringFuncE1EEEvPKT5_PKbPfiPT4_PiiiibPKf
; %bb.0:
	s_load_b32 s18, s[0:1], 0x18
	v_bfe_u32 v1, v0, 10, 10
	v_and_b32_e32 v0, 0x3ff, v0
	s_lshl_b32 s2, s15, 5
	s_delay_alu instid0(VALU_DEP_2) | instskip(NEXT) | instid1(VALU_DEP_2)
	v_lshlrev_b32_e32 v1, 3, v1
	v_lshrrev_b32_e32 v2, 2, v0
	s_delay_alu instid0(VALU_DEP_1) | instskip(SKIP_2) | instid1(VALU_DEP_1)
	v_add3_u32 v16, s2, v1, v2
	s_mov_b32 s2, exec_lo
	s_waitcnt lgkmcnt(0)
	v_cmpx_gt_i32_e64 s18, v16
	s_cbranch_execz .LBB321_29
; %bb.1:
	s_clause 0x1
	s_load_b128 s[4:7], s[0:1], 0x0
	s_load_b64 s[16:17], s[0:1], 0x10
	s_mov_b32 s9, -1
	s_mov_b32 s19, -1
	s_waitcnt lgkmcnt(0)
	s_cmp_eq_u64 s[6:7], 0
	s_cbranch_scc1 .LBB321_3
; %bb.2:
	v_ashrrev_i32_e32 v2, 31, v16
	v_add_co_u32 v1, vcc_lo, s6, v16
	s_delay_alu instid0(VALU_DEP_2) | instskip(SKIP_3) | instid1(VALU_DEP_1)
	v_add_co_ci_u32_e32 v2, vcc_lo, s7, v2, vcc_lo
	global_load_u8 v1, v[1:2], off
	s_waitcnt vmcnt(0)
	v_and_b32_e32 v1, 1, v1
	v_cmp_eq_u32_e32 vcc_lo, 1, v1
	s_xor_b32 s2, vcc_lo, -1
	s_delay_alu instid0(SALU_CYCLE_1)
	s_or_not1_b32 s19, s2, exec_lo
.LBB321_3:
	v_lshlrev_b32_e32 v1, 5, v16
	v_and_b32_e32 v17, 3, v0
	s_load_b64 s[10:11], s[0:1], 0x40
	s_delay_alu instid0(VALU_DEP_2) | instskip(NEXT) | instid1(VALU_DEP_1)
	v_ashrrev_i32_e32 v2, 31, v1
	v_lshlrev_b64 v[0:1], 1, v[1:2]
	s_delay_alu instid0(VALU_DEP_3) | instskip(NEXT) | instid1(VALU_DEP_2)
	v_lshlrev_b32_e32 v2, 4, v17
	v_add_co_u32 v0, vcc_lo, s4, v0
	s_delay_alu instid0(VALU_DEP_3) | instskip(NEXT) | instid1(VALU_DEP_2)
	v_add_co_ci_u32_e32 v1, vcc_lo, s5, v1, vcc_lo
	v_add_co_u32 v0, vcc_lo, v0, v2
	s_delay_alu instid0(VALU_DEP_2)
	v_add_co_ci_u32_e32 v1, vcc_lo, 0, v1, vcc_lo
	s_waitcnt lgkmcnt(0)
	s_cmp_eq_u64 s[10:11], 0
	global_load_b128 v[0:3], v[0:1], off
	s_waitcnt vmcnt(0)
	v_lshlrev_b32_e32 v5, 16, v1
	s_delay_alu instid0(VALU_DEP_1) | instskip(NEXT) | instid1(VALU_DEP_1)
	v_dual_mul_f32 v5, 0xbfb8aa3b, v5 :: v_dual_lshlrev_b32 v4, 16, v0
	v_mul_f32_e32 v4, 0xbfb8aa3b, v4
	s_delay_alu instid0(VALU_DEP_2) | instskip(NEXT) | instid1(VALU_DEP_1)
	v_exp_f32_e32 v5, v5
	v_exp_f32_e32 v4, v4
	v_and_b32_e32 v1, 0xffff0000, v1
	s_waitcnt_depctr 0xfff
	v_dual_add_f32 v5, 1.0, v5 :: v_dual_and_b32 v0, 0xffff0000, v0
	v_add_f32_e32 v4, 1.0, v4
	v_dual_mul_f32 v1, 0xbfb8aa3b, v1 :: v_dual_lshlrev_b32 v6, 16, v2
	s_delay_alu instid0(VALU_DEP_3) | instskip(NEXT) | instid1(VALU_DEP_4)
	v_dual_mul_f32 v0, 0xbfb8aa3b, v0 :: v_dual_lshlrev_b32 v7, 16, v3
	v_div_scale_f32 v12, null, v5, v5, 1.0
	s_delay_alu instid0(VALU_DEP_3) | instskip(SKIP_1) | instid1(VALU_DEP_3)
	v_exp_f32_e32 v1, v1
	v_and_b32_e32 v2, 0xffff0000, v2
	v_exp_f32_e32 v0, v0
	v_and_b32_e32 v3, 0xffff0000, v3
	v_dual_mul_f32 v6, 0xbfb8aa3b, v6 :: v_dual_mul_f32 v7, 0xbfb8aa3b, v7
	v_rcp_f32_e32 v28, v12
	v_div_scale_f32 v13, s3, 1.0, v5, 1.0
	s_delay_alu instid0(VALU_DEP_2) | instskip(SKIP_1) | instid1(TRANS32_DEP_3)
	v_exp_f32_e32 v6, v6
	v_dual_add_f32 v1, 1.0, v1 :: v_dual_mul_f32 v2, 0xbfb8aa3b, v2
	v_dual_add_f32 v0, 1.0, v0 :: v_dual_mul_f32 v3, 0xbfb8aa3b, v3
	v_lshlrev_b32_e32 v18, 3, v17
	v_exp_f32_e32 v7, v7
	s_delay_alu instid0(VALU_DEP_3) | instskip(NEXT) | instid1(VALU_DEP_2)
	v_exp_f32_e32 v2, v2
	v_div_scale_f32 v10, null, v0, v0, 1.0
	v_exp_f32_e32 v3, v3
	v_add_f32_e32 v6, 1.0, v6
	v_div_scale_f32 v14, null, v1, v1, 1.0
	s_delay_alu instid0(VALU_DEP_3) | instskip(SKIP_1) | instid1(TRANS32_DEP_3)
	v_rcp_f32_e32 v27, v10
	v_fma_f32 v37, -v12, v28, 1.0
	v_dual_add_f32 v7, 1.0, v7 :: v_dual_add_f32 v8, 1.0, v2
	v_div_scale_f32 v2, null, v4, v4, 1.0
	s_delay_alu instid0(TRANS32_DEP_2) | instskip(SKIP_1) | instid1(VALU_DEP_4)
	v_add_f32_e32 v9, 1.0, v3
	v_div_scale_f32 v19, null, v6, v6, 1.0
	v_div_scale_f32 v21, null, v8, v8, 1.0
	s_delay_alu instid0(VALU_DEP_4) | instskip(NEXT) | instid1(VALU_DEP_2)
	v_rcp_f32_e32 v26, v2
	v_rcp_f32_e32 v30, v19
	;; [unrolled: 1-line block ×3, first 2 shown]
	s_delay_alu instid0(VALU_DEP_1)
	v_rcp_f32_e32 v31, v21
	v_div_scale_f32 v23, null, v7, v7, 1.0
	v_fma_f32 v36, -v10, v27, 1.0
	v_div_scale_f32 v3, vcc_lo, 1.0, v4, 1.0
	v_div_scale_f32 v11, s2, 1.0, v0, 1.0
	v_fma_f32 v35, -v2, v26, 1.0
	s_delay_alu instid0(TRANS32_DEP_3) | instskip(NEXT) | instid1(TRANS32_DEP_1)
	v_fma_f32 v39, -v19, v30, 1.0
	v_fma_f32 v40, -v21, v31, 1.0
	s_delay_alu instid0(TRANS32_DEP_2) | instskip(SKIP_3) | instid1(VALU_DEP_3)
	v_fma_f32 v38, -v14, v29, 1.0
	v_div_scale_f32 v25, null, v9, v9, 1.0
	v_dual_fmac_f32 v26, v35, v26 :: v_dual_fmac_f32 v27, v36, v27
	v_rcp_f32_e32 v32, v23
	v_dual_fmac_f32 v28, v37, v28 :: v_dual_fmac_f32 v29, v38, v29
	v_div_scale_f32 v22, s6, 1.0, v8, 1.0
	v_dual_fmac_f32 v30, v39, v30 :: v_dual_fmac_f32 v31, v40, v31
	v_mul_f32_e32 v35, v3, v26
	v_div_scale_f32 v15, s4, 1.0, v1, 1.0
	v_rcp_f32_e32 v33, v25
	s_delay_alu instid0(VALU_DEP_3)
	v_mul_f32_e32 v40, v22, v31
	v_dual_mul_f32 v36, v11, v27 :: v_dual_mul_f32 v37, v13, v28
	v_div_scale_f32 v20, s5, 1.0, v6, 1.0
	v_fma_f32 v43, -v2, v35, v3
	v_mul_f32_e32 v38, v15, v29
	v_fma_f32 v41, -v23, v32, 1.0
	s_delay_alu instid0(VALU_DEP_4)
	v_mul_f32_e32 v39, v20, v30
	v_fma_f32 v44, -v10, v36, v11
	v_fma_f32 v45, -v12, v37, v13
	v_fmac_f32_e32 v35, v43, v26
	v_fma_f32 v46, -v14, v38, v15
	v_div_scale_f32 v24, s7, 1.0, v7, 1.0
	v_fmac_f32_e32 v36, v44, v27
	v_fma_f32 v42, -v25, v33, 1.0
	v_fmac_f32_e32 v32, v41, v32
	v_fma_f32 v47, -v19, v39, v20
	v_dual_fmac_f32 v37, v45, v28 :: v_dual_fmac_f32 v38, v46, v29
	v_fma_f32 v48, -v21, v40, v22
	v_fma_f32 v2, -v2, v35, v3
	v_div_scale_f32 v34, s8, 1.0, v9, 1.0
	v_fmac_f32_e32 v33, v42, v33
	v_mul_f32_e32 v41, v24, v32
	v_fma_f32 v3, -v10, v36, v11
	v_dual_fmac_f32 v39, v47, v30 :: v_dual_fmac_f32 v40, v48, v31
	v_fma_f32 v10, -v12, v37, v13
	v_div_fmas_f32 v2, v2, v26, v35
	s_mov_b32 vcc_lo, s2
	v_fma_f32 v11, -v14, v38, v15
	v_mul_f32_e32 v42, v34, v33
	v_fma_f32 v49, -v23, v41, v24
	v_div_fmas_f32 v3, v3, v27, v36
	s_mov_b32 vcc_lo, s3
	v_fma_f32 v12, -v19, v39, v20
	v_div_fmas_f32 v10, v10, v28, v37
	s_mov_b32 vcc_lo, s4
	v_fma_f32 v13, -v21, v40, v22
	v_div_fixup_f32 v2, v2, v4, 1.0
	v_div_fmas_f32 v4, v11, v29, v38
	s_mov_b32 vcc_lo, s5
	v_fma_f32 v50, -v25, v42, v34
	v_fmac_f32_e32 v41, v49, v32
	v_div_fmas_f32 v11, v12, v30, v39
	s_mov_b32 vcc_lo, s6
	v_div_fixup_f32 v5, v10, v5, 1.0
	v_fmac_f32_e32 v42, v50, v33
	v_div_fmas_f32 v10, v13, v31, v40
	v_cmp_class_f32_e64 vcc_lo, v2, 0x1f8
	v_fma_f32 v14, -v23, v41, v24
	v_div_fixup_f32 v3, v3, v0, 1.0
	v_fma_f32 v15, -v25, v42, v34
	v_div_fixup_f32 v4, v4, v1, 1.0
	v_cndmask_b32_e32 v0, 0, v2, vcc_lo
	s_mov_b32 vcc_lo, s7
	v_div_fixup_f32 v6, v11, v6, 1.0
	v_div_fmas_f32 v12, v14, v32, v41
	v_cmp_class_f32_e64 vcc_lo, v3, 0x1f8
	s_delay_alu instid0(VALU_DEP_2)
	v_div_fixup_f32 v7, v12, v7, 1.0
	v_cndmask_b32_e32 v1, 0, v3, vcc_lo
	s_mov_b32 vcc_lo, s8
	v_div_fmas_f32 v11, v15, v33, v42
	v_cmp_class_f32_e64 vcc_lo, v5, 0x1f8
	v_cndmask_b32_e32 v2, 0, v5, vcc_lo
	v_cmp_class_f32_e64 vcc_lo, v4, 0x1f8
	v_div_fixup_f32 v5, v10, v8, 1.0
	v_div_fixup_f32 v8, v11, v9, 1.0
	v_cndmask_b32_e32 v3, 0, v4, vcc_lo
	v_cmp_class_f32_e64 vcc_lo, v6, 0x1f8
	v_cndmask_b32_e32 v4, 0, v6, vcc_lo
	v_cmp_class_f32_e64 vcc_lo, v5, 0x1f8
	;; [unrolled: 2-line block ×4, first 2 shown]
	v_cndmask_b32_e32 v7, 0, v8, vcc_lo
	s_cbranch_scc1 .LBB321_23
; %bb.4:
	v_lshlrev_b32_e32 v12, 2, v18
	s_clause 0x1
	global_load_b128 v[8:11], v12, s[10:11]
	global_load_b128 v[12:15], v12, s[10:11] offset:16
	s_waitcnt vmcnt(1)
	v_dual_add_f32 v9, v9, v1 :: v_dual_add_f32 v8, v8, v0
	v_dual_add_f32 v11, v11, v3 :: v_dual_add_f32 v10, v10, v2
	s_waitcnt vmcnt(0)
	v_dual_add_f32 v13, v13, v5 :: v_dual_add_f32 v12, v12, v4
	v_dual_add_f32 v15, v15, v7 :: v_dual_add_f32 v14, v14, v6
	s_cbranch_execnz .LBB321_6
.LBB321_5:
	v_dual_mov_b32 v15, v7 :: v_dual_mov_b32 v14, v6
	v_dual_mov_b32 v13, v5 :: v_dual_mov_b32 v12, v4
	;; [unrolled: 1-line block ×4, first 2 shown]
.LBB321_6:
	s_load_b128 s[8:11], s[0:1], 0x30
	v_cmp_eq_u32_e64 s2, 0, v17
	s_mov_b32 s6, 0
	s_waitcnt lgkmcnt(0)
	s_bitcmp1_b32 s11, 0
	s_cselect_b32 vcc_lo, -1, 0
	s_cmp_gt_i32 s8, 0
	s_cselect_b32 s5, -1, 0
	s_cmp_lt_i32 s8, 1
	s_cbranch_scc1 .LBB321_24
; %bb.7:
	v_mbcnt_lo_u32_b32 v19, -1, 0
	s_load_b128 s[12:15], s[0:1], 0x20
	s_delay_alu instid0(VALU_DEP_1) | instskip(SKIP_2) | instid1(VALU_DEP_3)
	v_dual_mov_b32 v23, v16 :: v_dual_and_b32 v20, 28, v19
	v_xor_b32_e32 v21, 2, v19
	v_xor_b32_e32 v22, 1, v19
	v_add_nc_u32_e32 v20, 4, v20
	s_delay_alu instid0(VALU_DEP_1) | instskip(NEXT) | instid1(VALU_DEP_1)
	v_cmp_lt_i32_e64 s0, v21, v20
	v_cndmask_b32_e64 v21, v19, v21, s0
	s_delay_alu instid0(VALU_DEP_4) | instskip(SKIP_1) | instid1(VALU_DEP_3)
	v_cmp_lt_i32_e64 s0, v22, v20
	v_mul_lo_u32 v20, v16, s8
	v_lshlrev_b32_e32 v21, 2, v21
	s_delay_alu instid0(VALU_DEP_3) | instskip(NEXT) | instid1(VALU_DEP_1)
	v_cndmask_b32_e64 v22, v19, v22, s0
	v_dual_mov_b32 v19, 0 :: v_dual_lshlrev_b32 v22, 2, v22
	s_branch .LBB321_10
.LBB321_8:                              ;   in Loop: Header=BB321_10 Depth=1
	s_or_b32 exec_lo, exec_lo, s1
.LBB321_9:                              ;   in Loop: Header=BB321_10 Depth=1
	v_add_nc_u32_e32 v23, s18, v23
	s_cmp_eq_u32 s8, s6
	s_cbranch_scc1 .LBB321_25
.LBB321_10:                             ; =>This Inner Loop Header: Depth=1
	v_cmp_gt_f32_e64 s0, v9, v8
	s_delay_alu instid0(VALU_DEP_1) | instskip(SKIP_2) | instid1(VALU_DEP_3)
	v_cndmask_b32_e64 v25, v8, v9, s0
	v_cndmask_b32_e64 v24, 0, 1, s0
	;; [unrolled: 1-line block ×3, first 2 shown]
	v_cmp_gt_f32_e64 s1, v10, v25
	s_delay_alu instid0(VALU_DEP_1) | instskip(NEXT) | instid1(VALU_DEP_4)
	v_cndmask_b32_e64 v25, v25, v10, s1
	v_cndmask_b32_e64 v24, v24, 2, s1
	s_delay_alu instid0(VALU_DEP_4) | instskip(NEXT) | instid1(VALU_DEP_3)
	v_cndmask_b32_e64 v26, v26, v2, s1
	v_cmp_gt_f32_e64 s3, v11, v25
	s_delay_alu instid0(VALU_DEP_1) | instskip(NEXT) | instid1(VALU_DEP_4)
	v_cndmask_b32_e64 v25, v25, v11, s3
	v_cndmask_b32_e64 v24, v24, 3, s3
	s_delay_alu instid0(VALU_DEP_4) | instskip(NEXT) | instid1(VALU_DEP_3)
	v_cndmask_b32_e64 v26, v26, v3, s3
	v_cmp_gt_f32_e64 s4, v12, v25
	s_delay_alu instid0(VALU_DEP_1) | instskip(NEXT) | instid1(VALU_DEP_4)
	v_cndmask_b32_e64 v25, v25, v12, s4
	v_cndmask_b32_e64 v24, v24, 4, s4
	s_delay_alu instid0(VALU_DEP_4) | instskip(SKIP_1) | instid1(VALU_DEP_3)
	v_cndmask_b32_e64 v26, v26, v4, s4
	s_mov_b32 s4, exec_lo
	v_cmp_gt_f32_e64 s0, v13, v25
	s_delay_alu instid0(VALU_DEP_1) | instskip(SKIP_2) | instid1(VALU_DEP_3)
	v_cndmask_b32_e64 v25, v25, v13, s0
	v_cndmask_b32_e64 v24, v24, 5, s0
	;; [unrolled: 1-line block ×3, first 2 shown]
	v_cmp_gt_f32_e64 s1, v14, v25
	s_delay_alu instid0(VALU_DEP_1) | instskip(NEXT) | instid1(VALU_DEP_4)
	v_cndmask_b32_e64 v25, v25, v14, s1
	v_cndmask_b32_e64 v24, v24, 6, s1
	s_waitcnt lgkmcnt(0)
	v_cndmask_b32_e64 v27, v26, v6, s1
	s_delay_alu instid0(VALU_DEP_3) | instskip(NEXT) | instid1(VALU_DEP_1)
	v_cmp_gt_f32_e64 s0, v15, v25
	v_cndmask_b32_e64 v24, v24, 7, s0
	v_cndmask_b32_e64 v26, v25, v15, s0
	s_delay_alu instid0(VALU_DEP_4) | instskip(NEXT) | instid1(VALU_DEP_3)
	v_cndmask_b32_e64 v25, v27, v7, s0
	v_or_b32_e32 v24, v18, v24
	ds_bpermute_b32 v27, v21, v26
	ds_bpermute_b32 v29, v21, v25
	;; [unrolled: 1-line block ×3, first 2 shown]
	s_waitcnt lgkmcnt(0)
	v_cmp_lt_f32_e64 s3, v26, v27
	v_cmpx_nlt_f32_e32 v26, v27
; %bb.11:                               ;   in Loop: Header=BB321_10 Depth=1
	v_cmp_eq_f32_e64 s0, v26, v27
	v_cmp_lt_i32_e64 s1, v28, v24
	s_delay_alu instid0(VALU_DEP_1) | instskip(SKIP_2) | instid1(SALU_CYCLE_1)
	s_and_b32 s0, s0, s1
	s_and_not1_b32 s1, s3, exec_lo
	s_and_b32 s0, s0, exec_lo
	s_or_b32 s3, s1, s0
; %bb.12:                               ;   in Loop: Header=BB321_10 Depth=1
	s_or_b32 exec_lo, exec_lo, s4
	s_and_saveexec_b32 s0, s3
; %bb.13:                               ;   in Loop: Header=BB321_10 Depth=1
	v_dual_mov_b32 v25, v29 :: v_dual_mov_b32 v26, v27
	v_mov_b32_e32 v24, v28
; %bb.14:                               ;   in Loop: Header=BB321_10 Depth=1
	s_or_b32 exec_lo, exec_lo, s0
	ds_bpermute_b32 v29, v22, v26
	ds_bpermute_b32 v27, v22, v25
	;; [unrolled: 1-line block ×3, first 2 shown]
	s_mov_b32 s4, exec_lo
	s_waitcnt lgkmcnt(2)
	v_cmp_lt_f32_e64 s3, v26, v29
	v_cmpx_nlt_f32_e32 v26, v29
	s_cbranch_execnz .LBB321_18
; %bb.15:                               ;   in Loop: Header=BB321_10 Depth=1
	s_or_b32 exec_lo, exec_lo, s4
	s_delay_alu instid0(VALU_DEP_2)
	s_and_saveexec_b32 s0, s3
	s_cbranch_execnz .LBB321_19
.LBB321_16:                             ;   in Loop: Header=BB321_10 Depth=1
	s_or_b32 exec_lo, exec_lo, s0
	s_and_saveexec_b32 s3, s2
	s_cbranch_execnz .LBB321_20
.LBB321_17:                             ;   in Loop: Header=BB321_10 Depth=1
	s_or_b32 exec_lo, exec_lo, s3
	s_add_i32 s6, s6, 1
	s_delay_alu instid0(SALU_CYCLE_1)
	s_cmp_ge_i32 s6, s8
	s_cbranch_scc1 .LBB321_9
	s_branch .LBB321_21
.LBB321_18:                             ;   in Loop: Header=BB321_10 Depth=1
	v_cmp_eq_f32_e64 s0, v26, v29
	s_waitcnt lgkmcnt(0)
	v_cmp_lt_i32_e64 s1, v28, v24
	s_delay_alu instid0(VALU_DEP_1) | instskip(SKIP_2) | instid1(SALU_CYCLE_1)
	s_and_b32 s0, s0, s1
	s_and_not1_b32 s1, s3, exec_lo
	s_and_b32 s0, s0, exec_lo
	s_or_b32 s3, s1, s0
	s_or_b32 exec_lo, exec_lo, s4
	s_and_saveexec_b32 s0, s3
	s_cbranch_execz .LBB321_16
.LBB321_19:                             ;   in Loop: Header=BB321_10 Depth=1
	s_waitcnt lgkmcnt(0)
	v_dual_mov_b32 v24, v28 :: v_dual_mov_b32 v25, v27
	s_or_b32 exec_lo, exec_lo, s0
	s_and_saveexec_b32 s3, s2
	s_cbranch_execz .LBB321_17
.LBB321_20:                             ;   in Loop: Header=BB321_10 Depth=1
	s_delay_alu instid0(VALU_DEP_1)
	v_dual_add_f32 v33, v19, v25 :: v_dual_add_nc_u32 v26, s6, v20
	v_cmp_le_i32_e64 s0, s9, v24
	v_cmp_gt_i32_e64 s1, s10, v24
	s_waitcnt lgkmcnt(0)
	v_subrev_nc_u32_e32 v28, s9, v24
	v_ashrrev_i32_e32 v27, 31, v26
	v_cndmask_b32_e32 v19, v19, v33, vcc_lo
	s_and_b32 s0, s0, s1
	s_delay_alu instid0(SALU_CYCLE_1) | instskip(NEXT) | instid1(VALU_DEP_2)
	s_and_b32 s0, s19, s0
	v_lshlrev_b64 v[26:27], 2, v[26:27]
	v_cndmask_b32_e64 v32, 32, v28, s0
	s_delay_alu instid0(VALU_DEP_2) | instskip(NEXT) | instid1(VALU_DEP_1)
	v_add_co_u32 v28, s0, s16, v26
	v_add_co_ci_u32_e64 v29, s0, s17, v27, s0
	v_add_co_u32 v30, s0, s12, v26
	s_delay_alu instid0(VALU_DEP_1) | instskip(SKIP_1) | instid1(VALU_DEP_1)
	v_add_co_ci_u32_e64 v31, s0, s13, v27, s0
	v_add_co_u32 v26, s0, s14, v26
	v_add_co_ci_u32_e64 v27, s0, s15, v27, s0
	global_store_b32 v[28:29], v25, off
	global_store_b32 v[30:31], v32, off
	;; [unrolled: 1-line block ×3, first 2 shown]
	s_or_b32 exec_lo, exec_lo, s3
	s_add_i32 s6, s6, 1
	s_delay_alu instid0(SALU_CYCLE_1)
	s_cmp_ge_i32 s6, s8
	s_cbranch_scc1 .LBB321_9
.LBB321_21:                             ;   in Loop: Header=BB321_10 Depth=1
	v_ashrrev_i32_e32 v26, 31, v24
	s_mov_b32 s1, exec_lo
	s_delay_alu instid0(VALU_DEP_1) | instskip(NEXT) | instid1(VALU_DEP_1)
	v_lshrrev_b32_e32 v25, 29, v26
	v_add_nc_u32_e32 v25, v24, v25
	s_delay_alu instid0(VALU_DEP_1) | instskip(SKIP_1) | instid1(VALU_DEP_1)
	v_ashrrev_i32_e32 v25, 3, v25
	s_waitcnt lgkmcnt(1)
	v_lshrrev_b32_e32 v27, 30, v25
	s_delay_alu instid0(VALU_DEP_1) | instskip(NEXT) | instid1(VALU_DEP_1)
	v_add_nc_u32_e32 v27, v25, v27
	v_and_b32_e32 v27, -4, v27
	s_delay_alu instid0(VALU_DEP_1) | instskip(NEXT) | instid1(VALU_DEP_1)
	v_sub_nc_u32_e32 v27, v25, v27
	v_cmpx_eq_u32_e64 v17, v27
	s_cbranch_execz .LBB321_8
; %bb.22:                               ;   in Loop: Header=BB321_10 Depth=1
	v_lshrrev_b32_e32 v26, 27, v26
	v_lshlrev_b32_e32 v25, 3, v25
	s_delay_alu instid0(VALU_DEP_2) | instskip(NEXT) | instid1(VALU_DEP_2)
	v_add_nc_u32_e32 v26, v24, v26
	v_sub_nc_u32_e32 v24, v24, v25
	s_delay_alu instid0(VALU_DEP_2) | instskip(NEXT) | instid1(VALU_DEP_1)
	v_ashrrev_i32_e32 v25, 5, v26
	v_lshl_add_u32 v24, v25, 3, v24
	s_delay_alu instid0(VALU_DEP_1) | instskip(NEXT) | instid1(VALU_DEP_1)
	v_cmp_ne_u32_e64 s0, 7, v24
	v_cndmask_b32_e64 v15, 0xc61c4000, v15, s0
	v_cmp_ne_u32_e64 s0, 6, v24
	s_delay_alu instid0(VALU_DEP_1) | instskip(SKIP_1) | instid1(VALU_DEP_1)
	v_cndmask_b32_e64 v14, 0xc61c4000, v14, s0
	v_cmp_ne_u32_e64 s0, 5, v24
	v_cndmask_b32_e64 v13, 0xc61c4000, v13, s0
	v_cmp_ne_u32_e64 s0, 4, v24
	s_delay_alu instid0(VALU_DEP_1) | instskip(SKIP_1) | instid1(VALU_DEP_1)
	v_cndmask_b32_e64 v12, 0xc61c4000, v12, s0
	;; [unrolled: 5-line block ×3, first 2 shown]
	v_cmp_ne_u32_e64 s0, 1, v24
	v_cndmask_b32_e64 v9, 0xc61c4000, v9, s0
	v_cmp_ne_u32_e64 s0, 0, v24
	s_delay_alu instid0(VALU_DEP_1)
	v_cndmask_b32_e64 v8, 0xc61c4000, v8, s0
	s_branch .LBB321_8
.LBB321_23:
                                        ; implicit-def: $vgpr8_vgpr9_vgpr10_vgpr11_vgpr12_vgpr13_vgpr14_vgpr15
	s_and_not1_b32 vcc_lo, exec_lo, s9
	s_cbranch_vccz .LBB321_5
	s_branch .LBB321_6
.LBB321_24:
	v_mov_b32_e32 v19, 0
.LBB321_25:
	v_cmp_eq_u32_e64 s0, 0, v17
	s_delay_alu instid0(VALU_DEP_1) | instskip(NEXT) | instid1(SALU_CYCLE_1)
	s_and_b32 s0, s0, vcc_lo
	s_and_b32 exec_lo, exec_lo, s0
	s_cbranch_execz .LBB321_29
; %bb.26:
	s_and_not1_b32 vcc_lo, exec_lo, s5
	s_cbranch_vccnz .LBB321_29
; %bb.27:
	v_mul_lo_u32 v0, v16, s8
	v_cmp_lt_f32_e32 vcc_lo, 0, v19
	v_cndmask_b32_e32 v2, 1.0, v19, vcc_lo
	s_delay_alu instid0(VALU_DEP_3) | instskip(NEXT) | instid1(VALU_DEP_1)
	v_ashrrev_i32_e32 v1, 31, v0
	v_lshlrev_b64 v[0:1], 2, v[0:1]
	s_delay_alu instid0(VALU_DEP_1) | instskip(NEXT) | instid1(VALU_DEP_2)
	v_add_co_u32 v0, vcc_lo, s16, v0
	v_add_co_ci_u32_e32 v1, vcc_lo, s17, v1, vcc_lo
	.p2align	6
.LBB321_28:                             ; =>This Inner Loop Header: Depth=1
	global_load_b32 v3, v[0:1], off
	s_add_i32 s8, s8, -1
	s_delay_alu instid0(SALU_CYCLE_1) | instskip(SKIP_3) | instid1(VALU_DEP_2)
	s_cmp_lg_u32 s8, 0
	s_waitcnt vmcnt(0)
	v_div_scale_f32 v4, null, v2, v2, v3
	v_div_scale_f32 v7, vcc_lo, v3, v2, v3
	v_rcp_f32_e32 v5, v4
	s_waitcnt_depctr 0xfff
	v_fma_f32 v6, -v4, v5, 1.0
	s_delay_alu instid0(VALU_DEP_1) | instskip(NEXT) | instid1(VALU_DEP_1)
	v_fmac_f32_e32 v5, v6, v5
	v_mul_f32_e32 v6, v7, v5
	s_delay_alu instid0(VALU_DEP_1) | instskip(NEXT) | instid1(VALU_DEP_1)
	v_fma_f32 v8, -v4, v6, v7
	v_fmac_f32_e32 v6, v8, v5
	s_delay_alu instid0(VALU_DEP_1) | instskip(NEXT) | instid1(VALU_DEP_1)
	v_fma_f32 v4, -v4, v6, v7
	v_div_fmas_f32 v4, v4, v5, v6
	s_delay_alu instid0(VALU_DEP_1)
	v_div_fixup_f32 v3, v4, v2, v3
	global_store_b32 v[0:1], v3, off
	v_add_co_u32 v0, vcc_lo, v0, 4
	v_add_co_ci_u32_e32 v1, vcc_lo, 0, v1, vcc_lo
	s_cbranch_scc1 .LBB321_28
.LBB321_29:
	s_nop 0
	s_sendmsg sendmsg(MSG_DEALLOC_VGPRS)
	s_endpgm
	.section	.rodata,"a",@progbits
	.p2align	6, 0x0
	.amdhsa_kernel _ZN4vllm3moe10topkGatingILi8ELi32ELi4ELi16ELi32Ei14__hip_bfloat16LNS0_11ScoringFuncE1EEEvPKT5_PKbPfiPT4_PiiiibPKf
		.amdhsa_group_segment_fixed_size 0
		.amdhsa_private_segment_fixed_size 0
		.amdhsa_kernarg_size 72
		.amdhsa_user_sgpr_count 15
		.amdhsa_user_sgpr_dispatch_ptr 0
		.amdhsa_user_sgpr_queue_ptr 0
		.amdhsa_user_sgpr_kernarg_segment_ptr 1
		.amdhsa_user_sgpr_dispatch_id 0
		.amdhsa_user_sgpr_private_segment_size 0
		.amdhsa_wavefront_size32 1
		.amdhsa_uses_dynamic_stack 0
		.amdhsa_enable_private_segment 0
		.amdhsa_system_sgpr_workgroup_id_x 1
		.amdhsa_system_sgpr_workgroup_id_y 0
		.amdhsa_system_sgpr_workgroup_id_z 0
		.amdhsa_system_sgpr_workgroup_info 0
		.amdhsa_system_vgpr_workitem_id 1
		.amdhsa_next_free_vgpr 51
		.amdhsa_next_free_sgpr 20
		.amdhsa_reserve_vcc 1
		.amdhsa_float_round_mode_32 0
		.amdhsa_float_round_mode_16_64 0
		.amdhsa_float_denorm_mode_32 3
		.amdhsa_float_denorm_mode_16_64 3
		.amdhsa_dx10_clamp 1
		.amdhsa_ieee_mode 1
		.amdhsa_fp16_overflow 0
		.amdhsa_workgroup_processor_mode 1
		.amdhsa_memory_ordered 1
		.amdhsa_forward_progress 0
		.amdhsa_shared_vgpr_count 0
		.amdhsa_exception_fp_ieee_invalid_op 0
		.amdhsa_exception_fp_denorm_src 0
		.amdhsa_exception_fp_ieee_div_zero 0
		.amdhsa_exception_fp_ieee_overflow 0
		.amdhsa_exception_fp_ieee_underflow 0
		.amdhsa_exception_fp_ieee_inexact 0
		.amdhsa_exception_int_div_zero 0
	.end_amdhsa_kernel
	.section	.text._ZN4vllm3moe10topkGatingILi8ELi32ELi4ELi16ELi32Ei14__hip_bfloat16LNS0_11ScoringFuncE1EEEvPKT5_PKbPfiPT4_PiiiibPKf,"axG",@progbits,_ZN4vllm3moe10topkGatingILi8ELi32ELi4ELi16ELi32Ei14__hip_bfloat16LNS0_11ScoringFuncE1EEEvPKT5_PKbPfiPT4_PiiiibPKf,comdat
.Lfunc_end321:
	.size	_ZN4vllm3moe10topkGatingILi8ELi32ELi4ELi16ELi32Ei14__hip_bfloat16LNS0_11ScoringFuncE1EEEvPKT5_PKbPfiPT4_PiiiibPKf, .Lfunc_end321-_ZN4vllm3moe10topkGatingILi8ELi32ELi4ELi16ELi32Ei14__hip_bfloat16LNS0_11ScoringFuncE1EEEvPKT5_PKbPfiPT4_PiiiibPKf
                                        ; -- End function
	.section	.AMDGPU.csdata,"",@progbits
; Kernel info:
; codeLenInByte = 2768
; NumSgprs: 22
; NumVgprs: 51
; ScratchSize: 0
; MemoryBound: 0
; FloatMode: 240
; IeeeMode: 1
; LDSByteSize: 0 bytes/workgroup (compile time only)
; SGPRBlocks: 2
; VGPRBlocks: 6
; NumSGPRsForWavesPerEU: 22
; NumVGPRsForWavesPerEU: 51
; Occupancy: 16
; WaveLimiterHint : 0
; COMPUTE_PGM_RSRC2:SCRATCH_EN: 0
; COMPUTE_PGM_RSRC2:USER_SGPR: 15
; COMPUTE_PGM_RSRC2:TRAP_HANDLER: 0
; COMPUTE_PGM_RSRC2:TGID_X_EN: 1
; COMPUTE_PGM_RSRC2:TGID_Y_EN: 0
; COMPUTE_PGM_RSRC2:TGID_Z_EN: 0
; COMPUTE_PGM_RSRC2:TIDIG_COMP_CNT: 1
	.section	.text._ZN4vllm3moe10topkGatingILi8ELi64ELi4ELi16ELi64Ei14__hip_bfloat16LNS0_11ScoringFuncE1EEEvPKT5_PKbPfiPT4_PiiiibPKf,"axG",@progbits,_ZN4vllm3moe10topkGatingILi8ELi64ELi4ELi16ELi64Ei14__hip_bfloat16LNS0_11ScoringFuncE1EEEvPKT5_PKbPfiPT4_PiiiibPKf,comdat
	.protected	_ZN4vllm3moe10topkGatingILi8ELi64ELi4ELi16ELi64Ei14__hip_bfloat16LNS0_11ScoringFuncE1EEEvPKT5_PKbPfiPT4_PiiiibPKf ; -- Begin function _ZN4vllm3moe10topkGatingILi8ELi64ELi4ELi16ELi64Ei14__hip_bfloat16LNS0_11ScoringFuncE1EEEvPKT5_PKbPfiPT4_PiiiibPKf
	.globl	_ZN4vllm3moe10topkGatingILi8ELi64ELi4ELi16ELi64Ei14__hip_bfloat16LNS0_11ScoringFuncE1EEEvPKT5_PKbPfiPT4_PiiiibPKf
	.p2align	8
	.type	_ZN4vllm3moe10topkGatingILi8ELi64ELi4ELi16ELi64Ei14__hip_bfloat16LNS0_11ScoringFuncE1EEEvPKT5_PKbPfiPT4_PiiiibPKf,@function
_ZN4vllm3moe10topkGatingILi8ELi64ELi4ELi16ELi64Ei14__hip_bfloat16LNS0_11ScoringFuncE1EEEvPKT5_PKbPfiPT4_PiiiibPKf: ; @_ZN4vllm3moe10topkGatingILi8ELi64ELi4ELi16ELi64Ei14__hip_bfloat16LNS0_11ScoringFuncE1EEEvPKT5_PKbPfiPT4_PiiiibPKf
; %bb.0:
	s_load_b32 s18, s[0:1], 0x18
	v_bfe_u32 v1, v0, 10, 10
	v_and_b32_e32 v0, 0x3ff, v0
	s_lshl_b32 s2, s15, 5
	s_delay_alu instid0(VALU_DEP_2) | instskip(NEXT) | instid1(VALU_DEP_2)
	v_lshlrev_b32_e32 v1, 3, v1
	v_lshrrev_b32_e32 v2, 3, v0
	s_delay_alu instid0(VALU_DEP_1) | instskip(SKIP_2) | instid1(VALU_DEP_1)
	v_add3_u32 v16, s2, v1, v2
	s_mov_b32 s2, exec_lo
	s_waitcnt lgkmcnt(0)
	v_cmpx_gt_i32_e64 s18, v16
	s_cbranch_execz .LBB322_33
; %bb.1:
	s_clause 0x1
	s_load_b128 s[4:7], s[0:1], 0x0
	s_load_b64 s[16:17], s[0:1], 0x10
	s_mov_b32 s9, -1
	s_mov_b32 s19, -1
	s_waitcnt lgkmcnt(0)
	s_cmp_eq_u64 s[6:7], 0
	s_cbranch_scc1 .LBB322_3
; %bb.2:
	v_ashrrev_i32_e32 v2, 31, v16
	v_add_co_u32 v1, vcc_lo, s6, v16
	s_delay_alu instid0(VALU_DEP_2) | instskip(SKIP_3) | instid1(VALU_DEP_1)
	v_add_co_ci_u32_e32 v2, vcc_lo, s7, v2, vcc_lo
	global_load_u8 v1, v[1:2], off
	s_waitcnt vmcnt(0)
	v_and_b32_e32 v1, 1, v1
	v_cmp_eq_u32_e32 vcc_lo, 1, v1
	s_xor_b32 s2, vcc_lo, -1
	s_delay_alu instid0(SALU_CYCLE_1)
	s_or_not1_b32 s19, s2, exec_lo
.LBB322_3:
	v_lshlrev_b32_e32 v1, 6, v16
	v_and_b32_e32 v17, 7, v0
	s_load_b64 s[10:11], s[0:1], 0x40
	s_delay_alu instid0(VALU_DEP_2) | instskip(NEXT) | instid1(VALU_DEP_1)
	v_ashrrev_i32_e32 v2, 31, v1
	v_lshlrev_b64 v[0:1], 1, v[1:2]
	s_delay_alu instid0(VALU_DEP_3) | instskip(NEXT) | instid1(VALU_DEP_2)
	v_lshlrev_b32_e32 v2, 4, v17
	v_add_co_u32 v0, vcc_lo, s4, v0
	s_delay_alu instid0(VALU_DEP_3) | instskip(NEXT) | instid1(VALU_DEP_2)
	v_add_co_ci_u32_e32 v1, vcc_lo, s5, v1, vcc_lo
	v_add_co_u32 v0, vcc_lo, v0, v2
	s_delay_alu instid0(VALU_DEP_2)
	v_add_co_ci_u32_e32 v1, vcc_lo, 0, v1, vcc_lo
	s_waitcnt lgkmcnt(0)
	s_cmp_eq_u64 s[10:11], 0
	global_load_b128 v[0:3], v[0:1], off
	s_waitcnt vmcnt(0)
	v_lshlrev_b32_e32 v5, 16, v1
	s_delay_alu instid0(VALU_DEP_1) | instskip(NEXT) | instid1(VALU_DEP_1)
	v_dual_mul_f32 v5, 0xbfb8aa3b, v5 :: v_dual_lshlrev_b32 v4, 16, v0
	v_mul_f32_e32 v4, 0xbfb8aa3b, v4
	s_delay_alu instid0(VALU_DEP_2) | instskip(NEXT) | instid1(VALU_DEP_1)
	v_exp_f32_e32 v5, v5
	v_exp_f32_e32 v4, v4
	v_and_b32_e32 v1, 0xffff0000, v1
	s_waitcnt_depctr 0xfff
	v_dual_add_f32 v5, 1.0, v5 :: v_dual_and_b32 v0, 0xffff0000, v0
	v_add_f32_e32 v4, 1.0, v4
	v_dual_mul_f32 v1, 0xbfb8aa3b, v1 :: v_dual_lshlrev_b32 v6, 16, v2
	s_delay_alu instid0(VALU_DEP_3) | instskip(NEXT) | instid1(VALU_DEP_4)
	v_dual_mul_f32 v0, 0xbfb8aa3b, v0 :: v_dual_lshlrev_b32 v7, 16, v3
	v_div_scale_f32 v12, null, v5, v5, 1.0
	s_delay_alu instid0(VALU_DEP_3) | instskip(SKIP_1) | instid1(VALU_DEP_3)
	v_exp_f32_e32 v1, v1
	v_and_b32_e32 v2, 0xffff0000, v2
	v_exp_f32_e32 v0, v0
	v_and_b32_e32 v3, 0xffff0000, v3
	v_dual_mul_f32 v6, 0xbfb8aa3b, v6 :: v_dual_mul_f32 v7, 0xbfb8aa3b, v7
	v_rcp_f32_e32 v28, v12
	v_div_scale_f32 v13, s3, 1.0, v5, 1.0
	s_delay_alu instid0(VALU_DEP_2) | instskip(SKIP_1) | instid1(TRANS32_DEP_3)
	v_exp_f32_e32 v6, v6
	v_dual_add_f32 v1, 1.0, v1 :: v_dual_mul_f32 v2, 0xbfb8aa3b, v2
	v_dual_add_f32 v0, 1.0, v0 :: v_dual_mul_f32 v3, 0xbfb8aa3b, v3
	v_lshlrev_b32_e32 v18, 3, v17
	v_exp_f32_e32 v7, v7
	s_delay_alu instid0(VALU_DEP_3) | instskip(NEXT) | instid1(VALU_DEP_2)
	v_exp_f32_e32 v2, v2
	v_div_scale_f32 v10, null, v0, v0, 1.0
	v_exp_f32_e32 v3, v3
	v_add_f32_e32 v6, 1.0, v6
	v_div_scale_f32 v14, null, v1, v1, 1.0
	s_delay_alu instid0(VALU_DEP_3) | instskip(SKIP_1) | instid1(TRANS32_DEP_3)
	v_rcp_f32_e32 v27, v10
	v_fma_f32 v37, -v12, v28, 1.0
	v_dual_add_f32 v7, 1.0, v7 :: v_dual_add_f32 v8, 1.0, v2
	v_div_scale_f32 v2, null, v4, v4, 1.0
	s_delay_alu instid0(TRANS32_DEP_2) | instskip(SKIP_1) | instid1(VALU_DEP_4)
	v_add_f32_e32 v9, 1.0, v3
	v_div_scale_f32 v19, null, v6, v6, 1.0
	v_div_scale_f32 v21, null, v8, v8, 1.0
	s_delay_alu instid0(VALU_DEP_4) | instskip(NEXT) | instid1(VALU_DEP_2)
	v_rcp_f32_e32 v26, v2
	v_rcp_f32_e32 v30, v19
	v_rcp_f32_e32 v29, v14
	s_delay_alu instid0(VALU_DEP_1)
	v_rcp_f32_e32 v31, v21
	v_div_scale_f32 v23, null, v7, v7, 1.0
	v_fma_f32 v36, -v10, v27, 1.0
	v_div_scale_f32 v3, vcc_lo, 1.0, v4, 1.0
	v_div_scale_f32 v11, s2, 1.0, v0, 1.0
	v_fma_f32 v35, -v2, v26, 1.0
	s_delay_alu instid0(TRANS32_DEP_3) | instskip(NEXT) | instid1(TRANS32_DEP_1)
	v_fma_f32 v39, -v19, v30, 1.0
	v_fma_f32 v40, -v21, v31, 1.0
	s_delay_alu instid0(TRANS32_DEP_2) | instskip(SKIP_3) | instid1(VALU_DEP_3)
	v_fma_f32 v38, -v14, v29, 1.0
	v_div_scale_f32 v25, null, v9, v9, 1.0
	v_dual_fmac_f32 v26, v35, v26 :: v_dual_fmac_f32 v27, v36, v27
	v_rcp_f32_e32 v32, v23
	v_dual_fmac_f32 v28, v37, v28 :: v_dual_fmac_f32 v29, v38, v29
	v_div_scale_f32 v22, s6, 1.0, v8, 1.0
	v_dual_fmac_f32 v30, v39, v30 :: v_dual_fmac_f32 v31, v40, v31
	v_mul_f32_e32 v35, v3, v26
	v_div_scale_f32 v15, s4, 1.0, v1, 1.0
	v_rcp_f32_e32 v33, v25
	s_delay_alu instid0(VALU_DEP_3)
	v_mul_f32_e32 v40, v22, v31
	v_dual_mul_f32 v36, v11, v27 :: v_dual_mul_f32 v37, v13, v28
	v_div_scale_f32 v20, s5, 1.0, v6, 1.0
	v_fma_f32 v43, -v2, v35, v3
	v_mul_f32_e32 v38, v15, v29
	v_fma_f32 v41, -v23, v32, 1.0
	s_delay_alu instid0(VALU_DEP_4)
	v_mul_f32_e32 v39, v20, v30
	v_fma_f32 v44, -v10, v36, v11
	v_fma_f32 v45, -v12, v37, v13
	v_fmac_f32_e32 v35, v43, v26
	v_fma_f32 v46, -v14, v38, v15
	v_div_scale_f32 v24, s7, 1.0, v7, 1.0
	v_fmac_f32_e32 v36, v44, v27
	v_fma_f32 v42, -v25, v33, 1.0
	v_fmac_f32_e32 v32, v41, v32
	v_fma_f32 v47, -v19, v39, v20
	v_dual_fmac_f32 v37, v45, v28 :: v_dual_fmac_f32 v38, v46, v29
	v_fma_f32 v48, -v21, v40, v22
	v_fma_f32 v2, -v2, v35, v3
	v_div_scale_f32 v34, s8, 1.0, v9, 1.0
	v_fmac_f32_e32 v33, v42, v33
	v_mul_f32_e32 v41, v24, v32
	v_fma_f32 v3, -v10, v36, v11
	v_dual_fmac_f32 v39, v47, v30 :: v_dual_fmac_f32 v40, v48, v31
	v_fma_f32 v10, -v12, v37, v13
	v_div_fmas_f32 v2, v2, v26, v35
	s_mov_b32 vcc_lo, s2
	v_fma_f32 v11, -v14, v38, v15
	v_mul_f32_e32 v42, v34, v33
	v_fma_f32 v49, -v23, v41, v24
	v_div_fmas_f32 v3, v3, v27, v36
	s_mov_b32 vcc_lo, s3
	v_fma_f32 v12, -v19, v39, v20
	v_div_fmas_f32 v10, v10, v28, v37
	s_mov_b32 vcc_lo, s4
	v_fma_f32 v13, -v21, v40, v22
	v_div_fixup_f32 v2, v2, v4, 1.0
	v_div_fmas_f32 v4, v11, v29, v38
	s_mov_b32 vcc_lo, s5
	v_fma_f32 v50, -v25, v42, v34
	v_fmac_f32_e32 v41, v49, v32
	v_div_fmas_f32 v11, v12, v30, v39
	s_mov_b32 vcc_lo, s6
	v_div_fixup_f32 v5, v10, v5, 1.0
	v_fmac_f32_e32 v42, v50, v33
	v_div_fmas_f32 v10, v13, v31, v40
	v_cmp_class_f32_e64 vcc_lo, v2, 0x1f8
	v_fma_f32 v14, -v23, v41, v24
	v_div_fixup_f32 v3, v3, v0, 1.0
	v_fma_f32 v15, -v25, v42, v34
	v_div_fixup_f32 v4, v4, v1, 1.0
	v_cndmask_b32_e32 v0, 0, v2, vcc_lo
	s_mov_b32 vcc_lo, s7
	v_div_fixup_f32 v6, v11, v6, 1.0
	v_div_fmas_f32 v12, v14, v32, v41
	v_cmp_class_f32_e64 vcc_lo, v3, 0x1f8
	s_delay_alu instid0(VALU_DEP_2)
	v_div_fixup_f32 v7, v12, v7, 1.0
	v_cndmask_b32_e32 v1, 0, v3, vcc_lo
	s_mov_b32 vcc_lo, s8
	v_div_fmas_f32 v11, v15, v33, v42
	v_cmp_class_f32_e64 vcc_lo, v5, 0x1f8
	v_cndmask_b32_e32 v2, 0, v5, vcc_lo
	v_cmp_class_f32_e64 vcc_lo, v4, 0x1f8
	v_div_fixup_f32 v5, v10, v8, 1.0
	v_div_fixup_f32 v8, v11, v9, 1.0
	v_cndmask_b32_e32 v3, 0, v4, vcc_lo
	v_cmp_class_f32_e64 vcc_lo, v6, 0x1f8
	v_cndmask_b32_e32 v4, 0, v6, vcc_lo
	v_cmp_class_f32_e64 vcc_lo, v5, 0x1f8
	;; [unrolled: 2-line block ×4, first 2 shown]
	v_cndmask_b32_e32 v7, 0, v8, vcc_lo
	s_cbranch_scc1 .LBB322_27
; %bb.4:
	v_lshlrev_b32_e32 v12, 2, v18
	s_clause 0x1
	global_load_b128 v[8:11], v12, s[10:11]
	global_load_b128 v[12:15], v12, s[10:11] offset:16
	s_waitcnt vmcnt(1)
	v_dual_add_f32 v9, v9, v1 :: v_dual_add_f32 v8, v8, v0
	v_dual_add_f32 v11, v11, v3 :: v_dual_add_f32 v10, v10, v2
	s_waitcnt vmcnt(0)
	v_dual_add_f32 v13, v13, v5 :: v_dual_add_f32 v12, v12, v4
	v_dual_add_f32 v15, v15, v7 :: v_dual_add_f32 v14, v14, v6
	s_cbranch_execnz .LBB322_6
.LBB322_5:
	v_dual_mov_b32 v15, v7 :: v_dual_mov_b32 v14, v6
	v_dual_mov_b32 v13, v5 :: v_dual_mov_b32 v12, v4
	;; [unrolled: 1-line block ×4, first 2 shown]
.LBB322_6:
	s_load_b128 s[8:11], s[0:1], 0x30
	v_cmp_eq_u32_e64 s2, 0, v17
	s_mov_b32 s6, 0
	s_waitcnt lgkmcnt(0)
	s_bitcmp1_b32 s11, 0
	s_cselect_b32 vcc_lo, -1, 0
	s_cmp_gt_i32 s8, 0
	s_cselect_b32 s5, -1, 0
	s_cmp_lt_i32 s8, 1
	s_cbranch_scc1 .LBB322_28
; %bb.7:
	v_mbcnt_lo_u32_b32 v19, -1, 0
	s_load_b128 s[12:15], s[0:1], 0x20
	v_mov_b32_e32 v24, v16
	s_delay_alu instid0(VALU_DEP_2) | instskip(SKIP_3) | instid1(VALU_DEP_4)
	v_and_b32_e32 v20, 24, v19
	v_xor_b32_e32 v21, 4, v19
	v_xor_b32_e32 v22, 2, v19
	;; [unrolled: 1-line block ×3, first 2 shown]
	v_add_nc_u32_e32 v20, 8, v20
	s_delay_alu instid0(VALU_DEP_1) | instskip(NEXT) | instid1(VALU_DEP_1)
	v_cmp_lt_i32_e64 s0, v21, v20
	v_cndmask_b32_e64 v21, v19, v21, s0
	v_cmp_lt_i32_e64 s0, v22, v20
	s_delay_alu instid0(VALU_DEP_2) | instskip(NEXT) | instid1(VALU_DEP_2)
	v_lshlrev_b32_e32 v21, 2, v21
	v_cndmask_b32_e64 v22, v19, v22, s0
	v_cmp_lt_i32_e64 s0, v23, v20
	v_mul_lo_u32 v20, v16, s8
	s_delay_alu instid0(VALU_DEP_3) | instskip(NEXT) | instid1(VALU_DEP_3)
	v_lshlrev_b32_e32 v22, 2, v22
	v_cndmask_b32_e64 v23, v19, v23, s0
	v_mov_b32_e32 v19, 0
	s_delay_alu instid0(VALU_DEP_2)
	v_lshlrev_b32_e32 v23, 2, v23
	s_branch .LBB322_10
.LBB322_8:                              ;   in Loop: Header=BB322_10 Depth=1
	s_or_b32 exec_lo, exec_lo, s1
.LBB322_9:                              ;   in Loop: Header=BB322_10 Depth=1
	v_add_nc_u32_e32 v24, s18, v24
	s_cmp_eq_u32 s8, s6
	s_cbranch_scc1 .LBB322_29
.LBB322_10:                             ; =>This Inner Loop Header: Depth=1
	v_cmp_gt_f32_e64 s0, v9, v8
	s_delay_alu instid0(VALU_DEP_1) | instskip(SKIP_2) | instid1(VALU_DEP_3)
	v_cndmask_b32_e64 v26, v8, v9, s0
	v_cndmask_b32_e64 v25, 0, 1, s0
	;; [unrolled: 1-line block ×3, first 2 shown]
	v_cmp_gt_f32_e64 s1, v10, v26
	s_delay_alu instid0(VALU_DEP_1) | instskip(NEXT) | instid1(VALU_DEP_4)
	v_cndmask_b32_e64 v26, v26, v10, s1
	v_cndmask_b32_e64 v25, v25, 2, s1
	s_delay_alu instid0(VALU_DEP_4) | instskip(NEXT) | instid1(VALU_DEP_3)
	v_cndmask_b32_e64 v27, v27, v2, s1
	v_cmp_gt_f32_e64 s3, v11, v26
	s_delay_alu instid0(VALU_DEP_1) | instskip(NEXT) | instid1(VALU_DEP_4)
	v_cndmask_b32_e64 v26, v26, v11, s3
	v_cndmask_b32_e64 v25, v25, 3, s3
	s_delay_alu instid0(VALU_DEP_4) | instskip(NEXT) | instid1(VALU_DEP_3)
	v_cndmask_b32_e64 v27, v27, v3, s3
	v_cmp_gt_f32_e64 s4, v12, v26
	s_delay_alu instid0(VALU_DEP_1) | instskip(NEXT) | instid1(VALU_DEP_4)
	v_cndmask_b32_e64 v26, v26, v12, s4
	v_cndmask_b32_e64 v25, v25, 4, s4
	s_delay_alu instid0(VALU_DEP_4) | instskip(SKIP_1) | instid1(VALU_DEP_3)
	v_cndmask_b32_e64 v27, v27, v4, s4
	s_mov_b32 s4, exec_lo
	v_cmp_gt_f32_e64 s0, v13, v26
	s_delay_alu instid0(VALU_DEP_1) | instskip(SKIP_2) | instid1(VALU_DEP_3)
	v_cndmask_b32_e64 v26, v26, v13, s0
	v_cndmask_b32_e64 v25, v25, 5, s0
	;; [unrolled: 1-line block ×3, first 2 shown]
	v_cmp_gt_f32_e64 s1, v14, v26
	s_delay_alu instid0(VALU_DEP_1) | instskip(NEXT) | instid1(VALU_DEP_4)
	v_cndmask_b32_e64 v26, v26, v14, s1
	v_cndmask_b32_e64 v25, v25, 6, s1
	s_waitcnt lgkmcnt(0)
	v_cndmask_b32_e64 v28, v27, v6, s1
	s_delay_alu instid0(VALU_DEP_3) | instskip(NEXT) | instid1(VALU_DEP_1)
	v_cmp_gt_f32_e64 s0, v15, v26
	v_cndmask_b32_e64 v25, v25, 7, s0
	v_cndmask_b32_e64 v27, v26, v15, s0
	s_delay_alu instid0(VALU_DEP_4) | instskip(NEXT) | instid1(VALU_DEP_3)
	v_cndmask_b32_e64 v26, v28, v7, s0
	v_or_b32_e32 v25, v18, v25
	ds_bpermute_b32 v28, v21, v27
	ds_bpermute_b32 v30, v21, v26
	;; [unrolled: 1-line block ×3, first 2 shown]
	s_waitcnt lgkmcnt(0)
	v_cmp_lt_f32_e64 s3, v27, v28
	v_cmpx_nlt_f32_e32 v27, v28
; %bb.11:                               ;   in Loop: Header=BB322_10 Depth=1
	v_cmp_eq_f32_e64 s0, v27, v28
	v_cmp_lt_i32_e64 s1, v29, v25
	s_delay_alu instid0(VALU_DEP_1) | instskip(SKIP_2) | instid1(SALU_CYCLE_1)
	s_and_b32 s0, s0, s1
	s_and_not1_b32 s1, s3, exec_lo
	s_and_b32 s0, s0, exec_lo
	s_or_b32 s3, s1, s0
; %bb.12:                               ;   in Loop: Header=BB322_10 Depth=1
	s_or_b32 exec_lo, exec_lo, s4
	s_and_saveexec_b32 s0, s3
; %bb.13:                               ;   in Loop: Header=BB322_10 Depth=1
	v_dual_mov_b32 v26, v30 :: v_dual_mov_b32 v27, v28
	v_mov_b32_e32 v25, v29
; %bb.14:                               ;   in Loop: Header=BB322_10 Depth=1
	s_or_b32 exec_lo, exec_lo, s0
	ds_bpermute_b32 v28, v22, v27
	ds_bpermute_b32 v30, v22, v26
	;; [unrolled: 1-line block ×3, first 2 shown]
	s_mov_b32 s4, exec_lo
	s_waitcnt lgkmcnt(2)
	v_cmp_lt_f32_e64 s3, v27, v28
	v_cmpx_nlt_f32_e32 v27, v28
	s_cbranch_execz .LBB322_16
; %bb.15:                               ;   in Loop: Header=BB322_10 Depth=1
	v_cmp_eq_f32_e64 s0, v27, v28
	s_waitcnt lgkmcnt(0)
	v_cmp_lt_i32_e64 s1, v29, v25
	s_delay_alu instid0(VALU_DEP_1) | instskip(SKIP_2) | instid1(SALU_CYCLE_1)
	s_and_b32 s0, s0, s1
	s_and_not1_b32 s1, s3, exec_lo
	s_and_b32 s0, s0, exec_lo
	s_or_b32 s3, s1, s0
.LBB322_16:                             ;   in Loop: Header=BB322_10 Depth=1
	s_or_b32 exec_lo, exec_lo, s4
	s_delay_alu instid0(VALU_DEP_2)
	s_and_saveexec_b32 s0, s3
	s_cbranch_execz .LBB322_18
; %bb.17:                               ;   in Loop: Header=BB322_10 Depth=1
	s_waitcnt lgkmcnt(1)
	v_dual_mov_b32 v26, v30 :: v_dual_mov_b32 v27, v28
	s_waitcnt lgkmcnt(0)
	v_mov_b32_e32 v25, v29
.LBB322_18:                             ;   in Loop: Header=BB322_10 Depth=1
	s_or_b32 exec_lo, exec_lo, s0
	s_waitcnt lgkmcnt(1)
	ds_bpermute_b32 v30, v23, v27
	ds_bpermute_b32 v28, v23, v26
	s_waitcnt lgkmcnt(2)
	ds_bpermute_b32 v29, v23, v25
	s_mov_b32 s4, exec_lo
	s_waitcnt lgkmcnt(2)
	v_cmp_lt_f32_e64 s3, v27, v30
	v_cmpx_nlt_f32_e32 v27, v30
	s_cbranch_execnz .LBB322_22
; %bb.19:                               ;   in Loop: Header=BB322_10 Depth=1
	s_or_b32 exec_lo, exec_lo, s4
	s_delay_alu instid0(VALU_DEP_2)
	s_and_saveexec_b32 s0, s3
	s_cbranch_execnz .LBB322_23
.LBB322_20:                             ;   in Loop: Header=BB322_10 Depth=1
	s_or_b32 exec_lo, exec_lo, s0
	s_and_saveexec_b32 s3, s2
	s_cbranch_execnz .LBB322_24
.LBB322_21:                             ;   in Loop: Header=BB322_10 Depth=1
	s_or_b32 exec_lo, exec_lo, s3
	s_add_i32 s6, s6, 1
	s_delay_alu instid0(SALU_CYCLE_1)
	s_cmp_ge_i32 s6, s8
	s_cbranch_scc1 .LBB322_9
	s_branch .LBB322_25
.LBB322_22:                             ;   in Loop: Header=BB322_10 Depth=1
	v_cmp_eq_f32_e64 s0, v27, v30
	s_waitcnt lgkmcnt(0)
	v_cmp_lt_i32_e64 s1, v29, v25
	s_delay_alu instid0(VALU_DEP_1) | instskip(SKIP_2) | instid1(SALU_CYCLE_1)
	s_and_b32 s0, s0, s1
	s_and_not1_b32 s1, s3, exec_lo
	s_and_b32 s0, s0, exec_lo
	s_or_b32 s3, s1, s0
	s_or_b32 exec_lo, exec_lo, s4
	s_and_saveexec_b32 s0, s3
	s_cbranch_execz .LBB322_20
.LBB322_23:                             ;   in Loop: Header=BB322_10 Depth=1
	s_waitcnt lgkmcnt(0)
	v_dual_mov_b32 v25, v29 :: v_dual_mov_b32 v26, v28
	s_or_b32 exec_lo, exec_lo, s0
	s_and_saveexec_b32 s3, s2
	s_cbranch_execz .LBB322_21
.LBB322_24:                             ;   in Loop: Header=BB322_10 Depth=1
	s_delay_alu instid0(VALU_DEP_1)
	v_dual_add_f32 v34, v19, v26 :: v_dual_add_nc_u32 v27, s6, v20
	v_cmp_le_i32_e64 s0, s9, v25
	v_cmp_gt_i32_e64 s1, s10, v25
	s_waitcnt lgkmcnt(0)
	v_subrev_nc_u32_e32 v29, s9, v25
	v_ashrrev_i32_e32 v28, 31, v27
	v_cndmask_b32_e32 v19, v19, v34, vcc_lo
	s_and_b32 s0, s0, s1
	s_delay_alu instid0(SALU_CYCLE_1) | instskip(NEXT) | instid1(VALU_DEP_2)
	s_and_b32 s0, s19, s0
	v_lshlrev_b64 v[27:28], 2, v[27:28]
	v_cndmask_b32_e64 v33, 64, v29, s0
	s_delay_alu instid0(VALU_DEP_2) | instskip(NEXT) | instid1(VALU_DEP_1)
	v_add_co_u32 v29, s0, s16, v27
	v_add_co_ci_u32_e64 v30, s0, s17, v28, s0
	v_add_co_u32 v31, s0, s12, v27
	s_delay_alu instid0(VALU_DEP_1) | instskip(SKIP_1) | instid1(VALU_DEP_1)
	v_add_co_ci_u32_e64 v32, s0, s13, v28, s0
	v_add_co_u32 v27, s0, s14, v27
	v_add_co_ci_u32_e64 v28, s0, s15, v28, s0
	global_store_b32 v[29:30], v26, off
	global_store_b32 v[31:32], v33, off
	;; [unrolled: 1-line block ×3, first 2 shown]
	s_or_b32 exec_lo, exec_lo, s3
	s_add_i32 s6, s6, 1
	s_delay_alu instid0(SALU_CYCLE_1)
	s_cmp_ge_i32 s6, s8
	s_cbranch_scc1 .LBB322_9
.LBB322_25:                             ;   in Loop: Header=BB322_10 Depth=1
	v_ashrrev_i32_e32 v27, 31, v25
	s_mov_b32 s1, exec_lo
	s_delay_alu instid0(VALU_DEP_1) | instskip(NEXT) | instid1(VALU_DEP_1)
	v_lshrrev_b32_e32 v26, 29, v27
	v_add_nc_u32_e32 v26, v25, v26
	s_delay_alu instid0(VALU_DEP_1) | instskip(SKIP_1) | instid1(VALU_DEP_1)
	v_ashrrev_i32_e32 v26, 3, v26
	s_waitcnt lgkmcnt(1)
	v_lshrrev_b32_e32 v28, 29, v26
	s_delay_alu instid0(VALU_DEP_1) | instskip(NEXT) | instid1(VALU_DEP_1)
	v_add_nc_u32_e32 v28, v26, v28
	v_and_b32_e32 v28, -8, v28
	s_delay_alu instid0(VALU_DEP_1) | instskip(NEXT) | instid1(VALU_DEP_1)
	v_sub_nc_u32_e32 v28, v26, v28
	v_cmpx_eq_u32_e64 v17, v28
	s_cbranch_execz .LBB322_8
; %bb.26:                               ;   in Loop: Header=BB322_10 Depth=1
	v_lshrrev_b32_e32 v27, 26, v27
	v_lshlrev_b32_e32 v26, 3, v26
	s_delay_alu instid0(VALU_DEP_2) | instskip(NEXT) | instid1(VALU_DEP_2)
	v_add_nc_u32_e32 v27, v25, v27
	v_sub_nc_u32_e32 v25, v25, v26
	s_delay_alu instid0(VALU_DEP_2) | instskip(NEXT) | instid1(VALU_DEP_1)
	v_ashrrev_i32_e32 v26, 6, v27
	v_lshl_add_u32 v25, v26, 3, v25
	s_delay_alu instid0(VALU_DEP_1) | instskip(NEXT) | instid1(VALU_DEP_1)
	v_cmp_ne_u32_e64 s0, 7, v25
	v_cndmask_b32_e64 v15, 0xc61c4000, v15, s0
	v_cmp_ne_u32_e64 s0, 6, v25
	s_delay_alu instid0(VALU_DEP_1) | instskip(SKIP_1) | instid1(VALU_DEP_1)
	v_cndmask_b32_e64 v14, 0xc61c4000, v14, s0
	v_cmp_ne_u32_e64 s0, 5, v25
	v_cndmask_b32_e64 v13, 0xc61c4000, v13, s0
	v_cmp_ne_u32_e64 s0, 4, v25
	s_delay_alu instid0(VALU_DEP_1) | instskip(SKIP_1) | instid1(VALU_DEP_1)
	v_cndmask_b32_e64 v12, 0xc61c4000, v12, s0
	;; [unrolled: 5-line block ×3, first 2 shown]
	v_cmp_ne_u32_e64 s0, 1, v25
	v_cndmask_b32_e64 v9, 0xc61c4000, v9, s0
	v_cmp_ne_u32_e64 s0, 0, v25
	s_delay_alu instid0(VALU_DEP_1)
	v_cndmask_b32_e64 v8, 0xc61c4000, v8, s0
	s_branch .LBB322_8
.LBB322_27:
                                        ; implicit-def: $vgpr8_vgpr9_vgpr10_vgpr11_vgpr12_vgpr13_vgpr14_vgpr15
	s_and_not1_b32 vcc_lo, exec_lo, s9
	s_cbranch_vccz .LBB322_5
	s_branch .LBB322_6
.LBB322_28:
	v_mov_b32_e32 v19, 0
.LBB322_29:
	v_cmp_eq_u32_e64 s0, 0, v17
	s_delay_alu instid0(VALU_DEP_1) | instskip(NEXT) | instid1(SALU_CYCLE_1)
	s_and_b32 s0, s0, vcc_lo
	s_and_b32 exec_lo, exec_lo, s0
	s_cbranch_execz .LBB322_33
; %bb.30:
	s_and_not1_b32 vcc_lo, exec_lo, s5
	s_cbranch_vccnz .LBB322_33
; %bb.31:
	v_mul_lo_u32 v0, v16, s8
	v_cmp_lt_f32_e32 vcc_lo, 0, v19
	v_cndmask_b32_e32 v2, 1.0, v19, vcc_lo
	s_delay_alu instid0(VALU_DEP_3) | instskip(NEXT) | instid1(VALU_DEP_1)
	v_ashrrev_i32_e32 v1, 31, v0
	v_lshlrev_b64 v[0:1], 2, v[0:1]
	s_delay_alu instid0(VALU_DEP_1) | instskip(NEXT) | instid1(VALU_DEP_2)
	v_add_co_u32 v0, vcc_lo, s16, v0
	v_add_co_ci_u32_e32 v1, vcc_lo, s17, v1, vcc_lo
	.p2align	6
.LBB322_32:                             ; =>This Inner Loop Header: Depth=1
	global_load_b32 v3, v[0:1], off
	s_add_i32 s8, s8, -1
	s_delay_alu instid0(SALU_CYCLE_1) | instskip(SKIP_3) | instid1(VALU_DEP_2)
	s_cmp_lg_u32 s8, 0
	s_waitcnt vmcnt(0)
	v_div_scale_f32 v4, null, v2, v2, v3
	v_div_scale_f32 v7, vcc_lo, v3, v2, v3
	v_rcp_f32_e32 v5, v4
	s_waitcnt_depctr 0xfff
	v_fma_f32 v6, -v4, v5, 1.0
	s_delay_alu instid0(VALU_DEP_1) | instskip(NEXT) | instid1(VALU_DEP_1)
	v_fmac_f32_e32 v5, v6, v5
	v_mul_f32_e32 v6, v7, v5
	s_delay_alu instid0(VALU_DEP_1) | instskip(NEXT) | instid1(VALU_DEP_1)
	v_fma_f32 v8, -v4, v6, v7
	v_fmac_f32_e32 v6, v8, v5
	s_delay_alu instid0(VALU_DEP_1) | instskip(NEXT) | instid1(VALU_DEP_1)
	v_fma_f32 v4, -v4, v6, v7
	v_div_fmas_f32 v4, v4, v5, v6
	s_delay_alu instid0(VALU_DEP_1)
	v_div_fixup_f32 v3, v4, v2, v3
	global_store_b32 v[0:1], v3, off
	v_add_co_u32 v0, vcc_lo, v0, 4
	v_add_co_ci_u32_e32 v1, vcc_lo, 0, v1, vcc_lo
	s_cbranch_scc1 .LBB322_32
.LBB322_33:
	s_nop 0
	s_sendmsg sendmsg(MSG_DEALLOC_VGPRS)
	s_endpgm
	.section	.rodata,"a",@progbits
	.p2align	6, 0x0
	.amdhsa_kernel _ZN4vllm3moe10topkGatingILi8ELi64ELi4ELi16ELi64Ei14__hip_bfloat16LNS0_11ScoringFuncE1EEEvPKT5_PKbPfiPT4_PiiiibPKf
		.amdhsa_group_segment_fixed_size 0
		.amdhsa_private_segment_fixed_size 0
		.amdhsa_kernarg_size 72
		.amdhsa_user_sgpr_count 15
		.amdhsa_user_sgpr_dispatch_ptr 0
		.amdhsa_user_sgpr_queue_ptr 0
		.amdhsa_user_sgpr_kernarg_segment_ptr 1
		.amdhsa_user_sgpr_dispatch_id 0
		.amdhsa_user_sgpr_private_segment_size 0
		.amdhsa_wavefront_size32 1
		.amdhsa_uses_dynamic_stack 0
		.amdhsa_enable_private_segment 0
		.amdhsa_system_sgpr_workgroup_id_x 1
		.amdhsa_system_sgpr_workgroup_id_y 0
		.amdhsa_system_sgpr_workgroup_id_z 0
		.amdhsa_system_sgpr_workgroup_info 0
		.amdhsa_system_vgpr_workitem_id 1
		.amdhsa_next_free_vgpr 51
		.amdhsa_next_free_sgpr 20
		.amdhsa_reserve_vcc 1
		.amdhsa_float_round_mode_32 0
		.amdhsa_float_round_mode_16_64 0
		.amdhsa_float_denorm_mode_32 3
		.amdhsa_float_denorm_mode_16_64 3
		.amdhsa_dx10_clamp 1
		.amdhsa_ieee_mode 1
		.amdhsa_fp16_overflow 0
		.amdhsa_workgroup_processor_mode 1
		.amdhsa_memory_ordered 1
		.amdhsa_forward_progress 0
		.amdhsa_shared_vgpr_count 0
		.amdhsa_exception_fp_ieee_invalid_op 0
		.amdhsa_exception_fp_denorm_src 0
		.amdhsa_exception_fp_ieee_div_zero 0
		.amdhsa_exception_fp_ieee_overflow 0
		.amdhsa_exception_fp_ieee_underflow 0
		.amdhsa_exception_fp_ieee_inexact 0
		.amdhsa_exception_int_div_zero 0
	.end_amdhsa_kernel
	.section	.text._ZN4vllm3moe10topkGatingILi8ELi64ELi4ELi16ELi64Ei14__hip_bfloat16LNS0_11ScoringFuncE1EEEvPKT5_PKbPfiPT4_PiiiibPKf,"axG",@progbits,_ZN4vllm3moe10topkGatingILi8ELi64ELi4ELi16ELi64Ei14__hip_bfloat16LNS0_11ScoringFuncE1EEEvPKT5_PKbPfiPT4_PiiiibPKf,comdat
.Lfunc_end322:
	.size	_ZN4vllm3moe10topkGatingILi8ELi64ELi4ELi16ELi64Ei14__hip_bfloat16LNS0_11ScoringFuncE1EEEvPKT5_PKbPfiPT4_PiiiibPKf, .Lfunc_end322-_ZN4vllm3moe10topkGatingILi8ELi64ELi4ELi16ELi64Ei14__hip_bfloat16LNS0_11ScoringFuncE1EEEvPKT5_PKbPfiPT4_PiiiibPKf
                                        ; -- End function
	.section	.AMDGPU.csdata,"",@progbits
; Kernel info:
; codeLenInByte = 2932
; NumSgprs: 22
; NumVgprs: 51
; ScratchSize: 0
; MemoryBound: 0
; FloatMode: 240
; IeeeMode: 1
; LDSByteSize: 0 bytes/workgroup (compile time only)
; SGPRBlocks: 2
; VGPRBlocks: 6
; NumSGPRsForWavesPerEU: 22
; NumVGPRsForWavesPerEU: 51
; Occupancy: 16
; WaveLimiterHint : 0
; COMPUTE_PGM_RSRC2:SCRATCH_EN: 0
; COMPUTE_PGM_RSRC2:USER_SGPR: 15
; COMPUTE_PGM_RSRC2:TRAP_HANDLER: 0
; COMPUTE_PGM_RSRC2:TGID_X_EN: 1
; COMPUTE_PGM_RSRC2:TGID_Y_EN: 0
; COMPUTE_PGM_RSRC2:TGID_Z_EN: 0
; COMPUTE_PGM_RSRC2:TIDIG_COMP_CNT: 1
	.section	.text._ZN4vllm3moe10topkGatingILi8ELi64ELi4ELi16ELi32Ei14__hip_bfloat16LNS0_11ScoringFuncE1EEEvPKT5_PKbPfiPT4_PiiiibPKf,"axG",@progbits,_ZN4vllm3moe10topkGatingILi8ELi64ELi4ELi16ELi32Ei14__hip_bfloat16LNS0_11ScoringFuncE1EEEvPKT5_PKbPfiPT4_PiiiibPKf,comdat
	.protected	_ZN4vllm3moe10topkGatingILi8ELi64ELi4ELi16ELi32Ei14__hip_bfloat16LNS0_11ScoringFuncE1EEEvPKT5_PKbPfiPT4_PiiiibPKf ; -- Begin function _ZN4vllm3moe10topkGatingILi8ELi64ELi4ELi16ELi32Ei14__hip_bfloat16LNS0_11ScoringFuncE1EEEvPKT5_PKbPfiPT4_PiiiibPKf
	.globl	_ZN4vllm3moe10topkGatingILi8ELi64ELi4ELi16ELi32Ei14__hip_bfloat16LNS0_11ScoringFuncE1EEEvPKT5_PKbPfiPT4_PiiiibPKf
	.p2align	8
	.type	_ZN4vllm3moe10topkGatingILi8ELi64ELi4ELi16ELi32Ei14__hip_bfloat16LNS0_11ScoringFuncE1EEEvPKT5_PKbPfiPT4_PiiiibPKf,@function
_ZN4vllm3moe10topkGatingILi8ELi64ELi4ELi16ELi32Ei14__hip_bfloat16LNS0_11ScoringFuncE1EEEvPKT5_PKbPfiPT4_PiiiibPKf: ; @_ZN4vllm3moe10topkGatingILi8ELi64ELi4ELi16ELi32Ei14__hip_bfloat16LNS0_11ScoringFuncE1EEEvPKT5_PKbPfiPT4_PiiiibPKf
; %bb.0:
	s_load_b32 s18, s[0:1], 0x18
	v_bfe_u32 v1, v0, 10, 10
	v_and_b32_e32 v0, 0x3ff, v0
	s_lshl_b32 s2, s15, 4
	s_delay_alu instid0(VALU_DEP_2) | instskip(NEXT) | instid1(VALU_DEP_2)
	v_lshlrev_b32_e32 v1, 2, v1
	v_lshrrev_b32_e32 v2, 3, v0
	s_delay_alu instid0(VALU_DEP_1) | instskip(SKIP_2) | instid1(VALU_DEP_1)
	v_add3_u32 v16, s2, v1, v2
	s_mov_b32 s2, exec_lo
	s_waitcnt lgkmcnt(0)
	v_cmpx_gt_i32_e64 s18, v16
	s_cbranch_execz .LBB323_33
; %bb.1:
	s_clause 0x1
	s_load_b128 s[4:7], s[0:1], 0x0
	s_load_b64 s[16:17], s[0:1], 0x10
	s_mov_b32 s9, -1
	s_mov_b32 s19, -1
	s_waitcnt lgkmcnt(0)
	s_cmp_eq_u64 s[6:7], 0
	s_cbranch_scc1 .LBB323_3
; %bb.2:
	v_ashrrev_i32_e32 v2, 31, v16
	v_add_co_u32 v1, vcc_lo, s6, v16
	s_delay_alu instid0(VALU_DEP_2) | instskip(SKIP_3) | instid1(VALU_DEP_1)
	v_add_co_ci_u32_e32 v2, vcc_lo, s7, v2, vcc_lo
	global_load_u8 v1, v[1:2], off
	s_waitcnt vmcnt(0)
	v_and_b32_e32 v1, 1, v1
	v_cmp_eq_u32_e32 vcc_lo, 1, v1
	s_xor_b32 s2, vcc_lo, -1
	s_delay_alu instid0(SALU_CYCLE_1)
	s_or_not1_b32 s19, s2, exec_lo
.LBB323_3:
	v_lshlrev_b32_e32 v1, 6, v16
	v_and_b32_e32 v17, 7, v0
	s_load_b64 s[10:11], s[0:1], 0x40
	s_delay_alu instid0(VALU_DEP_2) | instskip(NEXT) | instid1(VALU_DEP_1)
	v_ashrrev_i32_e32 v2, 31, v1
	v_lshlrev_b64 v[0:1], 1, v[1:2]
	s_delay_alu instid0(VALU_DEP_3) | instskip(NEXT) | instid1(VALU_DEP_2)
	v_lshlrev_b32_e32 v2, 4, v17
	v_add_co_u32 v0, vcc_lo, s4, v0
	s_delay_alu instid0(VALU_DEP_3) | instskip(NEXT) | instid1(VALU_DEP_2)
	v_add_co_ci_u32_e32 v1, vcc_lo, s5, v1, vcc_lo
	v_add_co_u32 v0, vcc_lo, v0, v2
	s_delay_alu instid0(VALU_DEP_2)
	v_add_co_ci_u32_e32 v1, vcc_lo, 0, v1, vcc_lo
	s_waitcnt lgkmcnt(0)
	s_cmp_eq_u64 s[10:11], 0
	global_load_b128 v[0:3], v[0:1], off
	s_waitcnt vmcnt(0)
	v_lshlrev_b32_e32 v5, 16, v1
	s_delay_alu instid0(VALU_DEP_1) | instskip(NEXT) | instid1(VALU_DEP_1)
	v_dual_mul_f32 v5, 0xbfb8aa3b, v5 :: v_dual_lshlrev_b32 v4, 16, v0
	v_mul_f32_e32 v4, 0xbfb8aa3b, v4
	s_delay_alu instid0(VALU_DEP_2) | instskip(NEXT) | instid1(VALU_DEP_1)
	v_exp_f32_e32 v5, v5
	v_exp_f32_e32 v4, v4
	v_and_b32_e32 v1, 0xffff0000, v1
	s_waitcnt_depctr 0xfff
	v_dual_add_f32 v5, 1.0, v5 :: v_dual_and_b32 v0, 0xffff0000, v0
	v_add_f32_e32 v4, 1.0, v4
	v_dual_mul_f32 v1, 0xbfb8aa3b, v1 :: v_dual_lshlrev_b32 v6, 16, v2
	s_delay_alu instid0(VALU_DEP_3) | instskip(NEXT) | instid1(VALU_DEP_4)
	v_dual_mul_f32 v0, 0xbfb8aa3b, v0 :: v_dual_lshlrev_b32 v7, 16, v3
	v_div_scale_f32 v12, null, v5, v5, 1.0
	s_delay_alu instid0(VALU_DEP_3) | instskip(SKIP_1) | instid1(VALU_DEP_3)
	v_exp_f32_e32 v1, v1
	v_and_b32_e32 v2, 0xffff0000, v2
	v_exp_f32_e32 v0, v0
	v_and_b32_e32 v3, 0xffff0000, v3
	v_dual_mul_f32 v6, 0xbfb8aa3b, v6 :: v_dual_mul_f32 v7, 0xbfb8aa3b, v7
	v_rcp_f32_e32 v28, v12
	v_div_scale_f32 v13, s3, 1.0, v5, 1.0
	s_delay_alu instid0(VALU_DEP_2) | instskip(SKIP_1) | instid1(TRANS32_DEP_3)
	v_exp_f32_e32 v6, v6
	v_dual_add_f32 v1, 1.0, v1 :: v_dual_mul_f32 v2, 0xbfb8aa3b, v2
	v_dual_add_f32 v0, 1.0, v0 :: v_dual_mul_f32 v3, 0xbfb8aa3b, v3
	v_lshlrev_b32_e32 v18, 3, v17
	v_exp_f32_e32 v7, v7
	s_delay_alu instid0(VALU_DEP_3) | instskip(NEXT) | instid1(VALU_DEP_2)
	v_exp_f32_e32 v2, v2
	v_div_scale_f32 v10, null, v0, v0, 1.0
	v_exp_f32_e32 v3, v3
	v_add_f32_e32 v6, 1.0, v6
	v_div_scale_f32 v14, null, v1, v1, 1.0
	s_delay_alu instid0(VALU_DEP_3) | instskip(SKIP_1) | instid1(TRANS32_DEP_3)
	v_rcp_f32_e32 v27, v10
	v_fma_f32 v37, -v12, v28, 1.0
	v_dual_add_f32 v7, 1.0, v7 :: v_dual_add_f32 v8, 1.0, v2
	v_div_scale_f32 v2, null, v4, v4, 1.0
	s_delay_alu instid0(TRANS32_DEP_2) | instskip(SKIP_1) | instid1(VALU_DEP_4)
	v_add_f32_e32 v9, 1.0, v3
	v_div_scale_f32 v19, null, v6, v6, 1.0
	v_div_scale_f32 v21, null, v8, v8, 1.0
	s_delay_alu instid0(VALU_DEP_4) | instskip(NEXT) | instid1(VALU_DEP_2)
	v_rcp_f32_e32 v26, v2
	v_rcp_f32_e32 v30, v19
	;; [unrolled: 1-line block ×3, first 2 shown]
	s_delay_alu instid0(VALU_DEP_1)
	v_rcp_f32_e32 v31, v21
	v_div_scale_f32 v23, null, v7, v7, 1.0
	v_fma_f32 v36, -v10, v27, 1.0
	v_div_scale_f32 v3, vcc_lo, 1.0, v4, 1.0
	v_div_scale_f32 v11, s2, 1.0, v0, 1.0
	v_fma_f32 v35, -v2, v26, 1.0
	s_delay_alu instid0(TRANS32_DEP_3) | instskip(NEXT) | instid1(TRANS32_DEP_1)
	v_fma_f32 v39, -v19, v30, 1.0
	v_fma_f32 v40, -v21, v31, 1.0
	s_delay_alu instid0(TRANS32_DEP_2) | instskip(SKIP_3) | instid1(VALU_DEP_3)
	v_fma_f32 v38, -v14, v29, 1.0
	v_div_scale_f32 v25, null, v9, v9, 1.0
	v_dual_fmac_f32 v26, v35, v26 :: v_dual_fmac_f32 v27, v36, v27
	v_rcp_f32_e32 v32, v23
	v_dual_fmac_f32 v28, v37, v28 :: v_dual_fmac_f32 v29, v38, v29
	v_div_scale_f32 v22, s6, 1.0, v8, 1.0
	v_dual_fmac_f32 v30, v39, v30 :: v_dual_fmac_f32 v31, v40, v31
	v_mul_f32_e32 v35, v3, v26
	v_div_scale_f32 v15, s4, 1.0, v1, 1.0
	v_rcp_f32_e32 v33, v25
	s_delay_alu instid0(VALU_DEP_3)
	v_mul_f32_e32 v40, v22, v31
	v_dual_mul_f32 v36, v11, v27 :: v_dual_mul_f32 v37, v13, v28
	v_div_scale_f32 v20, s5, 1.0, v6, 1.0
	v_fma_f32 v43, -v2, v35, v3
	v_mul_f32_e32 v38, v15, v29
	v_fma_f32 v41, -v23, v32, 1.0
	s_delay_alu instid0(VALU_DEP_4)
	v_mul_f32_e32 v39, v20, v30
	v_fma_f32 v44, -v10, v36, v11
	v_fma_f32 v45, -v12, v37, v13
	v_fmac_f32_e32 v35, v43, v26
	v_fma_f32 v46, -v14, v38, v15
	v_div_scale_f32 v24, s7, 1.0, v7, 1.0
	v_fmac_f32_e32 v36, v44, v27
	v_fma_f32 v42, -v25, v33, 1.0
	v_fmac_f32_e32 v32, v41, v32
	v_fma_f32 v47, -v19, v39, v20
	v_dual_fmac_f32 v37, v45, v28 :: v_dual_fmac_f32 v38, v46, v29
	v_fma_f32 v48, -v21, v40, v22
	v_fma_f32 v2, -v2, v35, v3
	v_div_scale_f32 v34, s8, 1.0, v9, 1.0
	v_fmac_f32_e32 v33, v42, v33
	v_mul_f32_e32 v41, v24, v32
	v_fma_f32 v3, -v10, v36, v11
	v_dual_fmac_f32 v39, v47, v30 :: v_dual_fmac_f32 v40, v48, v31
	v_fma_f32 v10, -v12, v37, v13
	v_div_fmas_f32 v2, v2, v26, v35
	s_mov_b32 vcc_lo, s2
	v_fma_f32 v11, -v14, v38, v15
	v_mul_f32_e32 v42, v34, v33
	v_fma_f32 v49, -v23, v41, v24
	v_div_fmas_f32 v3, v3, v27, v36
	s_mov_b32 vcc_lo, s3
	v_fma_f32 v12, -v19, v39, v20
	v_div_fmas_f32 v10, v10, v28, v37
	s_mov_b32 vcc_lo, s4
	v_fma_f32 v13, -v21, v40, v22
	v_div_fixup_f32 v2, v2, v4, 1.0
	v_div_fmas_f32 v4, v11, v29, v38
	s_mov_b32 vcc_lo, s5
	v_fma_f32 v50, -v25, v42, v34
	v_fmac_f32_e32 v41, v49, v32
	v_div_fmas_f32 v11, v12, v30, v39
	s_mov_b32 vcc_lo, s6
	v_div_fixup_f32 v5, v10, v5, 1.0
	v_fmac_f32_e32 v42, v50, v33
	v_div_fmas_f32 v10, v13, v31, v40
	v_cmp_class_f32_e64 vcc_lo, v2, 0x1f8
	v_fma_f32 v14, -v23, v41, v24
	v_div_fixup_f32 v3, v3, v0, 1.0
	v_fma_f32 v15, -v25, v42, v34
	v_div_fixup_f32 v4, v4, v1, 1.0
	v_cndmask_b32_e32 v0, 0, v2, vcc_lo
	s_mov_b32 vcc_lo, s7
	v_div_fixup_f32 v6, v11, v6, 1.0
	v_div_fmas_f32 v12, v14, v32, v41
	v_cmp_class_f32_e64 vcc_lo, v3, 0x1f8
	s_delay_alu instid0(VALU_DEP_2)
	v_div_fixup_f32 v7, v12, v7, 1.0
	v_cndmask_b32_e32 v1, 0, v3, vcc_lo
	s_mov_b32 vcc_lo, s8
	v_div_fmas_f32 v11, v15, v33, v42
	v_cmp_class_f32_e64 vcc_lo, v5, 0x1f8
	v_cndmask_b32_e32 v2, 0, v5, vcc_lo
	v_cmp_class_f32_e64 vcc_lo, v4, 0x1f8
	v_div_fixup_f32 v5, v10, v8, 1.0
	v_div_fixup_f32 v8, v11, v9, 1.0
	v_cndmask_b32_e32 v3, 0, v4, vcc_lo
	v_cmp_class_f32_e64 vcc_lo, v6, 0x1f8
	v_cndmask_b32_e32 v4, 0, v6, vcc_lo
	v_cmp_class_f32_e64 vcc_lo, v5, 0x1f8
	v_cndmask_b32_e32 v5, 0, v5, vcc_lo
	v_cmp_class_f32_e64 vcc_lo, v7, 0x1f8
	v_cndmask_b32_e32 v6, 0, v7, vcc_lo
	v_cmp_class_f32_e64 vcc_lo, v8, 0x1f8
	v_cndmask_b32_e32 v7, 0, v8, vcc_lo
	s_cbranch_scc1 .LBB323_27
; %bb.4:
	v_lshlrev_b32_e32 v12, 2, v18
	s_clause 0x1
	global_load_b128 v[8:11], v12, s[10:11]
	global_load_b128 v[12:15], v12, s[10:11] offset:16
	s_waitcnt vmcnt(1)
	v_dual_add_f32 v9, v9, v1 :: v_dual_add_f32 v8, v8, v0
	v_dual_add_f32 v11, v11, v3 :: v_dual_add_f32 v10, v10, v2
	s_waitcnt vmcnt(0)
	v_dual_add_f32 v13, v13, v5 :: v_dual_add_f32 v12, v12, v4
	v_dual_add_f32 v15, v15, v7 :: v_dual_add_f32 v14, v14, v6
	s_cbranch_execnz .LBB323_6
.LBB323_5:
	v_dual_mov_b32 v15, v7 :: v_dual_mov_b32 v14, v6
	v_dual_mov_b32 v13, v5 :: v_dual_mov_b32 v12, v4
	;; [unrolled: 1-line block ×4, first 2 shown]
.LBB323_6:
	s_load_b128 s[8:11], s[0:1], 0x30
	v_cmp_eq_u32_e64 s2, 0, v17
	s_mov_b32 s6, 0
	s_waitcnt lgkmcnt(0)
	s_bitcmp1_b32 s11, 0
	s_cselect_b32 vcc_lo, -1, 0
	s_cmp_gt_i32 s8, 0
	s_cselect_b32 s5, -1, 0
	s_cmp_lt_i32 s8, 1
	s_cbranch_scc1 .LBB323_28
; %bb.7:
	v_mbcnt_lo_u32_b32 v19, -1, 0
	s_load_b128 s[12:15], s[0:1], 0x20
	v_mov_b32_e32 v24, v16
	s_delay_alu instid0(VALU_DEP_2) | instskip(SKIP_3) | instid1(VALU_DEP_4)
	v_and_b32_e32 v20, 24, v19
	v_xor_b32_e32 v21, 4, v19
	v_xor_b32_e32 v22, 2, v19
	;; [unrolled: 1-line block ×3, first 2 shown]
	v_add_nc_u32_e32 v20, 8, v20
	s_delay_alu instid0(VALU_DEP_1) | instskip(NEXT) | instid1(VALU_DEP_1)
	v_cmp_lt_i32_e64 s0, v21, v20
	v_cndmask_b32_e64 v21, v19, v21, s0
	v_cmp_lt_i32_e64 s0, v22, v20
	s_delay_alu instid0(VALU_DEP_2) | instskip(NEXT) | instid1(VALU_DEP_2)
	v_lshlrev_b32_e32 v21, 2, v21
	v_cndmask_b32_e64 v22, v19, v22, s0
	v_cmp_lt_i32_e64 s0, v23, v20
	v_mul_lo_u32 v20, v16, s8
	s_delay_alu instid0(VALU_DEP_3) | instskip(NEXT) | instid1(VALU_DEP_3)
	v_lshlrev_b32_e32 v22, 2, v22
	v_cndmask_b32_e64 v23, v19, v23, s0
	v_mov_b32_e32 v19, 0
	s_delay_alu instid0(VALU_DEP_2)
	v_lshlrev_b32_e32 v23, 2, v23
	s_branch .LBB323_10
.LBB323_8:                              ;   in Loop: Header=BB323_10 Depth=1
	s_or_b32 exec_lo, exec_lo, s1
.LBB323_9:                              ;   in Loop: Header=BB323_10 Depth=1
	v_add_nc_u32_e32 v24, s18, v24
	s_cmp_eq_u32 s8, s6
	s_cbranch_scc1 .LBB323_29
.LBB323_10:                             ; =>This Inner Loop Header: Depth=1
	v_cmp_gt_f32_e64 s0, v9, v8
	s_delay_alu instid0(VALU_DEP_1) | instskip(SKIP_2) | instid1(VALU_DEP_3)
	v_cndmask_b32_e64 v26, v8, v9, s0
	v_cndmask_b32_e64 v25, 0, 1, s0
	;; [unrolled: 1-line block ×3, first 2 shown]
	v_cmp_gt_f32_e64 s1, v10, v26
	s_delay_alu instid0(VALU_DEP_1) | instskip(NEXT) | instid1(VALU_DEP_4)
	v_cndmask_b32_e64 v26, v26, v10, s1
	v_cndmask_b32_e64 v25, v25, 2, s1
	s_delay_alu instid0(VALU_DEP_4) | instskip(NEXT) | instid1(VALU_DEP_3)
	v_cndmask_b32_e64 v27, v27, v2, s1
	v_cmp_gt_f32_e64 s3, v11, v26
	s_delay_alu instid0(VALU_DEP_1) | instskip(NEXT) | instid1(VALU_DEP_4)
	v_cndmask_b32_e64 v26, v26, v11, s3
	v_cndmask_b32_e64 v25, v25, 3, s3
	s_delay_alu instid0(VALU_DEP_4) | instskip(NEXT) | instid1(VALU_DEP_3)
	v_cndmask_b32_e64 v27, v27, v3, s3
	v_cmp_gt_f32_e64 s4, v12, v26
	s_delay_alu instid0(VALU_DEP_1) | instskip(NEXT) | instid1(VALU_DEP_4)
	v_cndmask_b32_e64 v26, v26, v12, s4
	v_cndmask_b32_e64 v25, v25, 4, s4
	s_delay_alu instid0(VALU_DEP_4) | instskip(SKIP_1) | instid1(VALU_DEP_3)
	v_cndmask_b32_e64 v27, v27, v4, s4
	s_mov_b32 s4, exec_lo
	v_cmp_gt_f32_e64 s0, v13, v26
	s_delay_alu instid0(VALU_DEP_1) | instskip(SKIP_2) | instid1(VALU_DEP_3)
	v_cndmask_b32_e64 v26, v26, v13, s0
	v_cndmask_b32_e64 v25, v25, 5, s0
	;; [unrolled: 1-line block ×3, first 2 shown]
	v_cmp_gt_f32_e64 s1, v14, v26
	s_delay_alu instid0(VALU_DEP_1) | instskip(NEXT) | instid1(VALU_DEP_4)
	v_cndmask_b32_e64 v26, v26, v14, s1
	v_cndmask_b32_e64 v25, v25, 6, s1
	s_waitcnt lgkmcnt(0)
	v_cndmask_b32_e64 v28, v27, v6, s1
	s_delay_alu instid0(VALU_DEP_3) | instskip(NEXT) | instid1(VALU_DEP_1)
	v_cmp_gt_f32_e64 s0, v15, v26
	v_cndmask_b32_e64 v25, v25, 7, s0
	v_cndmask_b32_e64 v27, v26, v15, s0
	s_delay_alu instid0(VALU_DEP_4) | instskip(NEXT) | instid1(VALU_DEP_3)
	v_cndmask_b32_e64 v26, v28, v7, s0
	v_or_b32_e32 v25, v18, v25
	ds_bpermute_b32 v28, v21, v27
	ds_bpermute_b32 v30, v21, v26
	;; [unrolled: 1-line block ×3, first 2 shown]
	s_waitcnt lgkmcnt(0)
	v_cmp_lt_f32_e64 s3, v27, v28
	v_cmpx_nlt_f32_e32 v27, v28
; %bb.11:                               ;   in Loop: Header=BB323_10 Depth=1
	v_cmp_eq_f32_e64 s0, v27, v28
	v_cmp_lt_i32_e64 s1, v29, v25
	s_delay_alu instid0(VALU_DEP_1) | instskip(SKIP_2) | instid1(SALU_CYCLE_1)
	s_and_b32 s0, s0, s1
	s_and_not1_b32 s1, s3, exec_lo
	s_and_b32 s0, s0, exec_lo
	s_or_b32 s3, s1, s0
; %bb.12:                               ;   in Loop: Header=BB323_10 Depth=1
	s_or_b32 exec_lo, exec_lo, s4
	s_and_saveexec_b32 s0, s3
; %bb.13:                               ;   in Loop: Header=BB323_10 Depth=1
	v_dual_mov_b32 v26, v30 :: v_dual_mov_b32 v27, v28
	v_mov_b32_e32 v25, v29
; %bb.14:                               ;   in Loop: Header=BB323_10 Depth=1
	s_or_b32 exec_lo, exec_lo, s0
	ds_bpermute_b32 v28, v22, v27
	ds_bpermute_b32 v30, v22, v26
	ds_bpermute_b32 v29, v22, v25
	s_mov_b32 s4, exec_lo
	s_waitcnt lgkmcnt(2)
	v_cmp_lt_f32_e64 s3, v27, v28
	v_cmpx_nlt_f32_e32 v27, v28
	s_cbranch_execz .LBB323_16
; %bb.15:                               ;   in Loop: Header=BB323_10 Depth=1
	v_cmp_eq_f32_e64 s0, v27, v28
	s_waitcnt lgkmcnt(0)
	v_cmp_lt_i32_e64 s1, v29, v25
	s_delay_alu instid0(VALU_DEP_1) | instskip(SKIP_2) | instid1(SALU_CYCLE_1)
	s_and_b32 s0, s0, s1
	s_and_not1_b32 s1, s3, exec_lo
	s_and_b32 s0, s0, exec_lo
	s_or_b32 s3, s1, s0
.LBB323_16:                             ;   in Loop: Header=BB323_10 Depth=1
	s_or_b32 exec_lo, exec_lo, s4
	s_delay_alu instid0(VALU_DEP_2)
	s_and_saveexec_b32 s0, s3
	s_cbranch_execz .LBB323_18
; %bb.17:                               ;   in Loop: Header=BB323_10 Depth=1
	s_waitcnt lgkmcnt(1)
	v_dual_mov_b32 v26, v30 :: v_dual_mov_b32 v27, v28
	s_waitcnt lgkmcnt(0)
	v_mov_b32_e32 v25, v29
.LBB323_18:                             ;   in Loop: Header=BB323_10 Depth=1
	s_or_b32 exec_lo, exec_lo, s0
	s_waitcnt lgkmcnt(1)
	ds_bpermute_b32 v30, v23, v27
	ds_bpermute_b32 v28, v23, v26
	s_waitcnt lgkmcnt(2)
	ds_bpermute_b32 v29, v23, v25
	s_mov_b32 s4, exec_lo
	s_waitcnt lgkmcnt(2)
	v_cmp_lt_f32_e64 s3, v27, v30
	v_cmpx_nlt_f32_e32 v27, v30
	s_cbranch_execnz .LBB323_22
; %bb.19:                               ;   in Loop: Header=BB323_10 Depth=1
	s_or_b32 exec_lo, exec_lo, s4
	s_delay_alu instid0(VALU_DEP_2)
	s_and_saveexec_b32 s0, s3
	s_cbranch_execnz .LBB323_23
.LBB323_20:                             ;   in Loop: Header=BB323_10 Depth=1
	s_or_b32 exec_lo, exec_lo, s0
	s_and_saveexec_b32 s3, s2
	s_cbranch_execnz .LBB323_24
.LBB323_21:                             ;   in Loop: Header=BB323_10 Depth=1
	s_or_b32 exec_lo, exec_lo, s3
	s_add_i32 s6, s6, 1
	s_delay_alu instid0(SALU_CYCLE_1)
	s_cmp_ge_i32 s6, s8
	s_cbranch_scc1 .LBB323_9
	s_branch .LBB323_25
.LBB323_22:                             ;   in Loop: Header=BB323_10 Depth=1
	v_cmp_eq_f32_e64 s0, v27, v30
	s_waitcnt lgkmcnt(0)
	v_cmp_lt_i32_e64 s1, v29, v25
	s_delay_alu instid0(VALU_DEP_1) | instskip(SKIP_2) | instid1(SALU_CYCLE_1)
	s_and_b32 s0, s0, s1
	s_and_not1_b32 s1, s3, exec_lo
	s_and_b32 s0, s0, exec_lo
	s_or_b32 s3, s1, s0
	s_or_b32 exec_lo, exec_lo, s4
	s_and_saveexec_b32 s0, s3
	s_cbranch_execz .LBB323_20
.LBB323_23:                             ;   in Loop: Header=BB323_10 Depth=1
	s_waitcnt lgkmcnt(0)
	v_dual_mov_b32 v25, v29 :: v_dual_mov_b32 v26, v28
	s_or_b32 exec_lo, exec_lo, s0
	s_and_saveexec_b32 s3, s2
	s_cbranch_execz .LBB323_21
.LBB323_24:                             ;   in Loop: Header=BB323_10 Depth=1
	s_delay_alu instid0(VALU_DEP_1)
	v_dual_add_f32 v34, v19, v26 :: v_dual_add_nc_u32 v27, s6, v20
	v_cmp_le_i32_e64 s0, s9, v25
	v_cmp_gt_i32_e64 s1, s10, v25
	s_waitcnt lgkmcnt(0)
	v_subrev_nc_u32_e32 v29, s9, v25
	v_ashrrev_i32_e32 v28, 31, v27
	v_cndmask_b32_e32 v19, v19, v34, vcc_lo
	s_and_b32 s0, s0, s1
	s_delay_alu instid0(SALU_CYCLE_1) | instskip(NEXT) | instid1(VALU_DEP_2)
	s_and_b32 s0, s19, s0
	v_lshlrev_b64 v[27:28], 2, v[27:28]
	v_cndmask_b32_e64 v33, 64, v29, s0
	s_delay_alu instid0(VALU_DEP_2) | instskip(NEXT) | instid1(VALU_DEP_1)
	v_add_co_u32 v29, s0, s16, v27
	v_add_co_ci_u32_e64 v30, s0, s17, v28, s0
	v_add_co_u32 v31, s0, s12, v27
	s_delay_alu instid0(VALU_DEP_1) | instskip(SKIP_1) | instid1(VALU_DEP_1)
	v_add_co_ci_u32_e64 v32, s0, s13, v28, s0
	v_add_co_u32 v27, s0, s14, v27
	v_add_co_ci_u32_e64 v28, s0, s15, v28, s0
	global_store_b32 v[29:30], v26, off
	global_store_b32 v[31:32], v33, off
	;; [unrolled: 1-line block ×3, first 2 shown]
	s_or_b32 exec_lo, exec_lo, s3
	s_add_i32 s6, s6, 1
	s_delay_alu instid0(SALU_CYCLE_1)
	s_cmp_ge_i32 s6, s8
	s_cbranch_scc1 .LBB323_9
.LBB323_25:                             ;   in Loop: Header=BB323_10 Depth=1
	v_ashrrev_i32_e32 v27, 31, v25
	s_mov_b32 s1, exec_lo
	s_delay_alu instid0(VALU_DEP_1) | instskip(NEXT) | instid1(VALU_DEP_1)
	v_lshrrev_b32_e32 v26, 29, v27
	v_add_nc_u32_e32 v26, v25, v26
	s_delay_alu instid0(VALU_DEP_1) | instskip(SKIP_1) | instid1(VALU_DEP_1)
	v_ashrrev_i32_e32 v26, 3, v26
	s_waitcnt lgkmcnt(1)
	v_lshrrev_b32_e32 v28, 29, v26
	s_delay_alu instid0(VALU_DEP_1) | instskip(NEXT) | instid1(VALU_DEP_1)
	v_add_nc_u32_e32 v28, v26, v28
	v_and_b32_e32 v28, -8, v28
	s_delay_alu instid0(VALU_DEP_1) | instskip(NEXT) | instid1(VALU_DEP_1)
	v_sub_nc_u32_e32 v28, v26, v28
	v_cmpx_eq_u32_e64 v17, v28
	s_cbranch_execz .LBB323_8
; %bb.26:                               ;   in Loop: Header=BB323_10 Depth=1
	v_lshrrev_b32_e32 v27, 26, v27
	v_lshlrev_b32_e32 v26, 3, v26
	s_delay_alu instid0(VALU_DEP_2) | instskip(NEXT) | instid1(VALU_DEP_2)
	v_add_nc_u32_e32 v27, v25, v27
	v_sub_nc_u32_e32 v25, v25, v26
	s_delay_alu instid0(VALU_DEP_2) | instskip(NEXT) | instid1(VALU_DEP_1)
	v_ashrrev_i32_e32 v26, 6, v27
	v_lshl_add_u32 v25, v26, 3, v25
	s_delay_alu instid0(VALU_DEP_1) | instskip(NEXT) | instid1(VALU_DEP_1)
	v_cmp_ne_u32_e64 s0, 7, v25
	v_cndmask_b32_e64 v15, 0xc61c4000, v15, s0
	v_cmp_ne_u32_e64 s0, 6, v25
	s_delay_alu instid0(VALU_DEP_1) | instskip(SKIP_1) | instid1(VALU_DEP_1)
	v_cndmask_b32_e64 v14, 0xc61c4000, v14, s0
	v_cmp_ne_u32_e64 s0, 5, v25
	v_cndmask_b32_e64 v13, 0xc61c4000, v13, s0
	v_cmp_ne_u32_e64 s0, 4, v25
	s_delay_alu instid0(VALU_DEP_1) | instskip(SKIP_1) | instid1(VALU_DEP_1)
	v_cndmask_b32_e64 v12, 0xc61c4000, v12, s0
	;; [unrolled: 5-line block ×3, first 2 shown]
	v_cmp_ne_u32_e64 s0, 1, v25
	v_cndmask_b32_e64 v9, 0xc61c4000, v9, s0
	v_cmp_ne_u32_e64 s0, 0, v25
	s_delay_alu instid0(VALU_DEP_1)
	v_cndmask_b32_e64 v8, 0xc61c4000, v8, s0
	s_branch .LBB323_8
.LBB323_27:
                                        ; implicit-def: $vgpr8_vgpr9_vgpr10_vgpr11_vgpr12_vgpr13_vgpr14_vgpr15
	s_and_not1_b32 vcc_lo, exec_lo, s9
	s_cbranch_vccz .LBB323_5
	s_branch .LBB323_6
.LBB323_28:
	v_mov_b32_e32 v19, 0
.LBB323_29:
	v_cmp_eq_u32_e64 s0, 0, v17
	s_delay_alu instid0(VALU_DEP_1) | instskip(NEXT) | instid1(SALU_CYCLE_1)
	s_and_b32 s0, s0, vcc_lo
	s_and_b32 exec_lo, exec_lo, s0
	s_cbranch_execz .LBB323_33
; %bb.30:
	s_and_not1_b32 vcc_lo, exec_lo, s5
	s_cbranch_vccnz .LBB323_33
; %bb.31:
	v_mul_lo_u32 v0, v16, s8
	v_cmp_lt_f32_e32 vcc_lo, 0, v19
	v_cndmask_b32_e32 v2, 1.0, v19, vcc_lo
	s_delay_alu instid0(VALU_DEP_3) | instskip(NEXT) | instid1(VALU_DEP_1)
	v_ashrrev_i32_e32 v1, 31, v0
	v_lshlrev_b64 v[0:1], 2, v[0:1]
	s_delay_alu instid0(VALU_DEP_1) | instskip(NEXT) | instid1(VALU_DEP_2)
	v_add_co_u32 v0, vcc_lo, s16, v0
	v_add_co_ci_u32_e32 v1, vcc_lo, s17, v1, vcc_lo
	.p2align	6
.LBB323_32:                             ; =>This Inner Loop Header: Depth=1
	global_load_b32 v3, v[0:1], off
	s_add_i32 s8, s8, -1
	s_delay_alu instid0(SALU_CYCLE_1) | instskip(SKIP_3) | instid1(VALU_DEP_2)
	s_cmp_lg_u32 s8, 0
	s_waitcnt vmcnt(0)
	v_div_scale_f32 v4, null, v2, v2, v3
	v_div_scale_f32 v7, vcc_lo, v3, v2, v3
	v_rcp_f32_e32 v5, v4
	s_waitcnt_depctr 0xfff
	v_fma_f32 v6, -v4, v5, 1.0
	s_delay_alu instid0(VALU_DEP_1) | instskip(NEXT) | instid1(VALU_DEP_1)
	v_fmac_f32_e32 v5, v6, v5
	v_mul_f32_e32 v6, v7, v5
	s_delay_alu instid0(VALU_DEP_1) | instskip(NEXT) | instid1(VALU_DEP_1)
	v_fma_f32 v8, -v4, v6, v7
	v_fmac_f32_e32 v6, v8, v5
	s_delay_alu instid0(VALU_DEP_1) | instskip(NEXT) | instid1(VALU_DEP_1)
	v_fma_f32 v4, -v4, v6, v7
	v_div_fmas_f32 v4, v4, v5, v6
	s_delay_alu instid0(VALU_DEP_1)
	v_div_fixup_f32 v3, v4, v2, v3
	global_store_b32 v[0:1], v3, off
	v_add_co_u32 v0, vcc_lo, v0, 4
	v_add_co_ci_u32_e32 v1, vcc_lo, 0, v1, vcc_lo
	s_cbranch_scc1 .LBB323_32
.LBB323_33:
	s_nop 0
	s_sendmsg sendmsg(MSG_DEALLOC_VGPRS)
	s_endpgm
	.section	.rodata,"a",@progbits
	.p2align	6, 0x0
	.amdhsa_kernel _ZN4vllm3moe10topkGatingILi8ELi64ELi4ELi16ELi32Ei14__hip_bfloat16LNS0_11ScoringFuncE1EEEvPKT5_PKbPfiPT4_PiiiibPKf
		.amdhsa_group_segment_fixed_size 0
		.amdhsa_private_segment_fixed_size 0
		.amdhsa_kernarg_size 72
		.amdhsa_user_sgpr_count 15
		.amdhsa_user_sgpr_dispatch_ptr 0
		.amdhsa_user_sgpr_queue_ptr 0
		.amdhsa_user_sgpr_kernarg_segment_ptr 1
		.amdhsa_user_sgpr_dispatch_id 0
		.amdhsa_user_sgpr_private_segment_size 0
		.amdhsa_wavefront_size32 1
		.amdhsa_uses_dynamic_stack 0
		.amdhsa_enable_private_segment 0
		.amdhsa_system_sgpr_workgroup_id_x 1
		.amdhsa_system_sgpr_workgroup_id_y 0
		.amdhsa_system_sgpr_workgroup_id_z 0
		.amdhsa_system_sgpr_workgroup_info 0
		.amdhsa_system_vgpr_workitem_id 1
		.amdhsa_next_free_vgpr 51
		.amdhsa_next_free_sgpr 20
		.amdhsa_reserve_vcc 1
		.amdhsa_float_round_mode_32 0
		.amdhsa_float_round_mode_16_64 0
		.amdhsa_float_denorm_mode_32 3
		.amdhsa_float_denorm_mode_16_64 3
		.amdhsa_dx10_clamp 1
		.amdhsa_ieee_mode 1
		.amdhsa_fp16_overflow 0
		.amdhsa_workgroup_processor_mode 1
		.amdhsa_memory_ordered 1
		.amdhsa_forward_progress 0
		.amdhsa_shared_vgpr_count 0
		.amdhsa_exception_fp_ieee_invalid_op 0
		.amdhsa_exception_fp_denorm_src 0
		.amdhsa_exception_fp_ieee_div_zero 0
		.amdhsa_exception_fp_ieee_overflow 0
		.amdhsa_exception_fp_ieee_underflow 0
		.amdhsa_exception_fp_ieee_inexact 0
		.amdhsa_exception_int_div_zero 0
	.end_amdhsa_kernel
	.section	.text._ZN4vllm3moe10topkGatingILi8ELi64ELi4ELi16ELi32Ei14__hip_bfloat16LNS0_11ScoringFuncE1EEEvPKT5_PKbPfiPT4_PiiiibPKf,"axG",@progbits,_ZN4vllm3moe10topkGatingILi8ELi64ELi4ELi16ELi32Ei14__hip_bfloat16LNS0_11ScoringFuncE1EEEvPKT5_PKbPfiPT4_PiiiibPKf,comdat
.Lfunc_end323:
	.size	_ZN4vllm3moe10topkGatingILi8ELi64ELi4ELi16ELi32Ei14__hip_bfloat16LNS0_11ScoringFuncE1EEEvPKT5_PKbPfiPT4_PiiiibPKf, .Lfunc_end323-_ZN4vllm3moe10topkGatingILi8ELi64ELi4ELi16ELi32Ei14__hip_bfloat16LNS0_11ScoringFuncE1EEEvPKT5_PKbPfiPT4_PiiiibPKf
                                        ; -- End function
	.section	.AMDGPU.csdata,"",@progbits
; Kernel info:
; codeLenInByte = 2932
; NumSgprs: 22
; NumVgprs: 51
; ScratchSize: 0
; MemoryBound: 0
; FloatMode: 240
; IeeeMode: 1
; LDSByteSize: 0 bytes/workgroup (compile time only)
; SGPRBlocks: 2
; VGPRBlocks: 6
; NumSGPRsForWavesPerEU: 22
; NumVGPRsForWavesPerEU: 51
; Occupancy: 16
; WaveLimiterHint : 0
; COMPUTE_PGM_RSRC2:SCRATCH_EN: 0
; COMPUTE_PGM_RSRC2:USER_SGPR: 15
; COMPUTE_PGM_RSRC2:TRAP_HANDLER: 0
; COMPUTE_PGM_RSRC2:TGID_X_EN: 1
; COMPUTE_PGM_RSRC2:TGID_Y_EN: 0
; COMPUTE_PGM_RSRC2:TGID_Z_EN: 0
; COMPUTE_PGM_RSRC2:TIDIG_COMP_CNT: 1
	.section	.text._ZN4vllm3moe10topkGatingILi8ELi128ELi4ELi16ELi64Ei14__hip_bfloat16LNS0_11ScoringFuncE1EEEvPKT5_PKbPfiPT4_PiiiibPKf,"axG",@progbits,_ZN4vllm3moe10topkGatingILi8ELi128ELi4ELi16ELi64Ei14__hip_bfloat16LNS0_11ScoringFuncE1EEEvPKT5_PKbPfiPT4_PiiiibPKf,comdat
	.protected	_ZN4vllm3moe10topkGatingILi8ELi128ELi4ELi16ELi64Ei14__hip_bfloat16LNS0_11ScoringFuncE1EEEvPKT5_PKbPfiPT4_PiiiibPKf ; -- Begin function _ZN4vllm3moe10topkGatingILi8ELi128ELi4ELi16ELi64Ei14__hip_bfloat16LNS0_11ScoringFuncE1EEEvPKT5_PKbPfiPT4_PiiiibPKf
	.globl	_ZN4vllm3moe10topkGatingILi8ELi128ELi4ELi16ELi64Ei14__hip_bfloat16LNS0_11ScoringFuncE1EEEvPKT5_PKbPfiPT4_PiiiibPKf
	.p2align	8
	.type	_ZN4vllm3moe10topkGatingILi8ELi128ELi4ELi16ELi64Ei14__hip_bfloat16LNS0_11ScoringFuncE1EEEvPKT5_PKbPfiPT4_PiiiibPKf,@function
_ZN4vllm3moe10topkGatingILi8ELi128ELi4ELi16ELi64Ei14__hip_bfloat16LNS0_11ScoringFuncE1EEEvPKT5_PKbPfiPT4_PiiiibPKf: ; @_ZN4vllm3moe10topkGatingILi8ELi128ELi4ELi16ELi64Ei14__hip_bfloat16LNS0_11ScoringFuncE1EEEvPKT5_PKbPfiPT4_PiiiibPKf
; %bb.0:
	s_load_b32 s18, s[0:1], 0x18
	v_bfe_u32 v1, v0, 10, 10
	v_and_b32_e32 v0, 0x3ff, v0
	s_lshl_b32 s2, s15, 4
	s_delay_alu instid0(VALU_DEP_2) | instskip(NEXT) | instid1(VALU_DEP_2)
	v_lshlrev_b32_e32 v1, 2, v1
	v_lshrrev_b32_e32 v2, 4, v0
	s_delay_alu instid0(VALU_DEP_1) | instskip(SKIP_2) | instid1(VALU_DEP_1)
	v_add3_u32 v16, s2, v1, v2
	s_mov_b32 s2, exec_lo
	s_waitcnt lgkmcnt(0)
	v_cmpx_gt_i32_e64 s18, v16
	s_cbranch_execz .LBB324_37
; %bb.1:
	s_clause 0x1
	s_load_b128 s[4:7], s[0:1], 0x0
	s_load_b64 s[16:17], s[0:1], 0x10
	s_mov_b32 s9, -1
	s_mov_b32 s19, -1
	s_waitcnt lgkmcnt(0)
	s_cmp_eq_u64 s[6:7], 0
	s_cbranch_scc1 .LBB324_3
; %bb.2:
	v_ashrrev_i32_e32 v2, 31, v16
	v_add_co_u32 v1, vcc_lo, s6, v16
	s_delay_alu instid0(VALU_DEP_2) | instskip(SKIP_3) | instid1(VALU_DEP_1)
	v_add_co_ci_u32_e32 v2, vcc_lo, s7, v2, vcc_lo
	global_load_u8 v1, v[1:2], off
	s_waitcnt vmcnt(0)
	v_and_b32_e32 v1, 1, v1
	v_cmp_eq_u32_e32 vcc_lo, 1, v1
	s_xor_b32 s2, vcc_lo, -1
	s_delay_alu instid0(SALU_CYCLE_1)
	s_or_not1_b32 s19, s2, exec_lo
.LBB324_3:
	v_lshlrev_b32_e32 v1, 7, v16
	v_and_b32_e32 v17, 15, v0
	s_load_b64 s[10:11], s[0:1], 0x40
	s_delay_alu instid0(VALU_DEP_2) | instskip(NEXT) | instid1(VALU_DEP_1)
	v_ashrrev_i32_e32 v2, 31, v1
	v_lshlrev_b64 v[0:1], 1, v[1:2]
	s_delay_alu instid0(VALU_DEP_3) | instskip(NEXT) | instid1(VALU_DEP_2)
	v_lshlrev_b32_e32 v2, 4, v17
	v_add_co_u32 v0, vcc_lo, s4, v0
	s_delay_alu instid0(VALU_DEP_3) | instskip(NEXT) | instid1(VALU_DEP_2)
	v_add_co_ci_u32_e32 v1, vcc_lo, s5, v1, vcc_lo
	v_add_co_u32 v0, vcc_lo, v0, v2
	s_delay_alu instid0(VALU_DEP_2)
	v_add_co_ci_u32_e32 v1, vcc_lo, 0, v1, vcc_lo
	s_waitcnt lgkmcnt(0)
	s_cmp_eq_u64 s[10:11], 0
	global_load_b128 v[0:3], v[0:1], off
	s_waitcnt vmcnt(0)
	v_lshlrev_b32_e32 v5, 16, v1
	s_delay_alu instid0(VALU_DEP_1) | instskip(NEXT) | instid1(VALU_DEP_1)
	v_dual_mul_f32 v5, 0xbfb8aa3b, v5 :: v_dual_lshlrev_b32 v4, 16, v0
	v_mul_f32_e32 v4, 0xbfb8aa3b, v4
	s_delay_alu instid0(VALU_DEP_2) | instskip(NEXT) | instid1(VALU_DEP_1)
	v_exp_f32_e32 v5, v5
	v_exp_f32_e32 v4, v4
	v_and_b32_e32 v1, 0xffff0000, v1
	s_waitcnt_depctr 0xfff
	v_dual_add_f32 v5, 1.0, v5 :: v_dual_and_b32 v0, 0xffff0000, v0
	v_add_f32_e32 v4, 1.0, v4
	v_dual_mul_f32 v1, 0xbfb8aa3b, v1 :: v_dual_lshlrev_b32 v6, 16, v2
	s_delay_alu instid0(VALU_DEP_3) | instskip(NEXT) | instid1(VALU_DEP_4)
	v_dual_mul_f32 v0, 0xbfb8aa3b, v0 :: v_dual_lshlrev_b32 v7, 16, v3
	v_div_scale_f32 v12, null, v5, v5, 1.0
	s_delay_alu instid0(VALU_DEP_3) | instskip(SKIP_1) | instid1(VALU_DEP_3)
	v_exp_f32_e32 v1, v1
	v_and_b32_e32 v2, 0xffff0000, v2
	v_exp_f32_e32 v0, v0
	v_and_b32_e32 v3, 0xffff0000, v3
	v_dual_mul_f32 v6, 0xbfb8aa3b, v6 :: v_dual_mul_f32 v7, 0xbfb8aa3b, v7
	v_rcp_f32_e32 v28, v12
	v_div_scale_f32 v13, s3, 1.0, v5, 1.0
	s_delay_alu instid0(VALU_DEP_2) | instskip(SKIP_1) | instid1(TRANS32_DEP_3)
	v_exp_f32_e32 v6, v6
	v_dual_add_f32 v1, 1.0, v1 :: v_dual_mul_f32 v2, 0xbfb8aa3b, v2
	v_dual_add_f32 v0, 1.0, v0 :: v_dual_mul_f32 v3, 0xbfb8aa3b, v3
	v_lshlrev_b32_e32 v18, 3, v17
	v_exp_f32_e32 v7, v7
	s_delay_alu instid0(VALU_DEP_3) | instskip(NEXT) | instid1(VALU_DEP_2)
	v_exp_f32_e32 v2, v2
	v_div_scale_f32 v10, null, v0, v0, 1.0
	v_exp_f32_e32 v3, v3
	v_add_f32_e32 v6, 1.0, v6
	v_div_scale_f32 v14, null, v1, v1, 1.0
	s_delay_alu instid0(VALU_DEP_3) | instskip(SKIP_1) | instid1(TRANS32_DEP_3)
	v_rcp_f32_e32 v27, v10
	v_fma_f32 v37, -v12, v28, 1.0
	v_dual_add_f32 v7, 1.0, v7 :: v_dual_add_f32 v8, 1.0, v2
	v_div_scale_f32 v2, null, v4, v4, 1.0
	s_delay_alu instid0(TRANS32_DEP_2) | instskip(SKIP_1) | instid1(VALU_DEP_4)
	v_add_f32_e32 v9, 1.0, v3
	v_div_scale_f32 v19, null, v6, v6, 1.0
	v_div_scale_f32 v21, null, v8, v8, 1.0
	s_delay_alu instid0(VALU_DEP_4) | instskip(NEXT) | instid1(VALU_DEP_2)
	v_rcp_f32_e32 v26, v2
	v_rcp_f32_e32 v30, v19
	;; [unrolled: 1-line block ×3, first 2 shown]
	s_delay_alu instid0(VALU_DEP_1)
	v_rcp_f32_e32 v31, v21
	v_div_scale_f32 v23, null, v7, v7, 1.0
	v_fma_f32 v36, -v10, v27, 1.0
	v_div_scale_f32 v3, vcc_lo, 1.0, v4, 1.0
	v_div_scale_f32 v11, s2, 1.0, v0, 1.0
	v_fma_f32 v35, -v2, v26, 1.0
	s_delay_alu instid0(TRANS32_DEP_3) | instskip(NEXT) | instid1(TRANS32_DEP_1)
	v_fma_f32 v39, -v19, v30, 1.0
	v_fma_f32 v40, -v21, v31, 1.0
	s_delay_alu instid0(TRANS32_DEP_2) | instskip(SKIP_3) | instid1(VALU_DEP_3)
	v_fma_f32 v38, -v14, v29, 1.0
	v_div_scale_f32 v25, null, v9, v9, 1.0
	v_dual_fmac_f32 v26, v35, v26 :: v_dual_fmac_f32 v27, v36, v27
	v_rcp_f32_e32 v32, v23
	v_dual_fmac_f32 v28, v37, v28 :: v_dual_fmac_f32 v29, v38, v29
	v_div_scale_f32 v22, s6, 1.0, v8, 1.0
	v_dual_fmac_f32 v30, v39, v30 :: v_dual_fmac_f32 v31, v40, v31
	v_mul_f32_e32 v35, v3, v26
	v_div_scale_f32 v15, s4, 1.0, v1, 1.0
	v_rcp_f32_e32 v33, v25
	s_delay_alu instid0(VALU_DEP_3)
	v_mul_f32_e32 v40, v22, v31
	v_dual_mul_f32 v36, v11, v27 :: v_dual_mul_f32 v37, v13, v28
	v_div_scale_f32 v20, s5, 1.0, v6, 1.0
	v_fma_f32 v43, -v2, v35, v3
	v_mul_f32_e32 v38, v15, v29
	v_fma_f32 v41, -v23, v32, 1.0
	s_delay_alu instid0(VALU_DEP_4)
	v_mul_f32_e32 v39, v20, v30
	v_fma_f32 v44, -v10, v36, v11
	v_fma_f32 v45, -v12, v37, v13
	v_fmac_f32_e32 v35, v43, v26
	v_fma_f32 v46, -v14, v38, v15
	v_div_scale_f32 v24, s7, 1.0, v7, 1.0
	v_fmac_f32_e32 v36, v44, v27
	v_fma_f32 v42, -v25, v33, 1.0
	v_fmac_f32_e32 v32, v41, v32
	v_fma_f32 v47, -v19, v39, v20
	v_dual_fmac_f32 v37, v45, v28 :: v_dual_fmac_f32 v38, v46, v29
	v_fma_f32 v48, -v21, v40, v22
	v_fma_f32 v2, -v2, v35, v3
	v_div_scale_f32 v34, s8, 1.0, v9, 1.0
	v_fmac_f32_e32 v33, v42, v33
	v_mul_f32_e32 v41, v24, v32
	v_fma_f32 v3, -v10, v36, v11
	v_dual_fmac_f32 v39, v47, v30 :: v_dual_fmac_f32 v40, v48, v31
	v_fma_f32 v10, -v12, v37, v13
	v_div_fmas_f32 v2, v2, v26, v35
	s_mov_b32 vcc_lo, s2
	v_fma_f32 v11, -v14, v38, v15
	v_mul_f32_e32 v42, v34, v33
	v_fma_f32 v49, -v23, v41, v24
	v_div_fmas_f32 v3, v3, v27, v36
	s_mov_b32 vcc_lo, s3
	v_fma_f32 v12, -v19, v39, v20
	v_div_fmas_f32 v10, v10, v28, v37
	s_mov_b32 vcc_lo, s4
	v_fma_f32 v13, -v21, v40, v22
	v_div_fixup_f32 v2, v2, v4, 1.0
	v_div_fmas_f32 v4, v11, v29, v38
	s_mov_b32 vcc_lo, s5
	v_fma_f32 v50, -v25, v42, v34
	v_fmac_f32_e32 v41, v49, v32
	v_div_fmas_f32 v11, v12, v30, v39
	s_mov_b32 vcc_lo, s6
	v_div_fixup_f32 v5, v10, v5, 1.0
	v_fmac_f32_e32 v42, v50, v33
	v_div_fmas_f32 v10, v13, v31, v40
	v_cmp_class_f32_e64 vcc_lo, v2, 0x1f8
	v_fma_f32 v14, -v23, v41, v24
	v_div_fixup_f32 v3, v3, v0, 1.0
	v_fma_f32 v15, -v25, v42, v34
	v_div_fixup_f32 v4, v4, v1, 1.0
	v_cndmask_b32_e32 v0, 0, v2, vcc_lo
	s_mov_b32 vcc_lo, s7
	v_div_fixup_f32 v6, v11, v6, 1.0
	v_div_fmas_f32 v12, v14, v32, v41
	v_cmp_class_f32_e64 vcc_lo, v3, 0x1f8
	s_delay_alu instid0(VALU_DEP_2)
	v_div_fixup_f32 v7, v12, v7, 1.0
	v_cndmask_b32_e32 v1, 0, v3, vcc_lo
	s_mov_b32 vcc_lo, s8
	v_div_fmas_f32 v11, v15, v33, v42
	v_cmp_class_f32_e64 vcc_lo, v5, 0x1f8
	v_cndmask_b32_e32 v2, 0, v5, vcc_lo
	v_cmp_class_f32_e64 vcc_lo, v4, 0x1f8
	v_div_fixup_f32 v5, v10, v8, 1.0
	v_div_fixup_f32 v8, v11, v9, 1.0
	v_cndmask_b32_e32 v3, 0, v4, vcc_lo
	v_cmp_class_f32_e64 vcc_lo, v6, 0x1f8
	v_cndmask_b32_e32 v4, 0, v6, vcc_lo
	v_cmp_class_f32_e64 vcc_lo, v5, 0x1f8
	;; [unrolled: 2-line block ×4, first 2 shown]
	v_cndmask_b32_e32 v7, 0, v8, vcc_lo
	s_cbranch_scc1 .LBB324_31
; %bb.4:
	v_lshlrev_b32_e32 v12, 2, v18
	s_clause 0x1
	global_load_b128 v[8:11], v12, s[10:11]
	global_load_b128 v[12:15], v12, s[10:11] offset:16
	s_waitcnt vmcnt(1)
	v_dual_add_f32 v9, v9, v1 :: v_dual_add_f32 v8, v8, v0
	v_dual_add_f32 v11, v11, v3 :: v_dual_add_f32 v10, v10, v2
	s_waitcnt vmcnt(0)
	v_dual_add_f32 v13, v13, v5 :: v_dual_add_f32 v12, v12, v4
	v_dual_add_f32 v15, v15, v7 :: v_dual_add_f32 v14, v14, v6
	s_cbranch_execnz .LBB324_6
.LBB324_5:
	v_dual_mov_b32 v15, v7 :: v_dual_mov_b32 v14, v6
	v_dual_mov_b32 v13, v5 :: v_dual_mov_b32 v12, v4
	;; [unrolled: 1-line block ×4, first 2 shown]
.LBB324_6:
	s_load_b128 s[8:11], s[0:1], 0x30
	v_cmp_eq_u32_e64 s2, 0, v17
	s_mov_b32 s6, 0
	s_waitcnt lgkmcnt(0)
	s_bitcmp1_b32 s11, 0
	s_cselect_b32 vcc_lo, -1, 0
	s_cmp_gt_i32 s8, 0
	s_cselect_b32 s5, -1, 0
	s_cmp_lt_i32 s8, 1
	s_cbranch_scc1 .LBB324_32
; %bb.7:
	v_mbcnt_lo_u32_b32 v19, -1, 0
	s_load_b128 s[12:15], s[0:1], 0x20
	s_delay_alu instid0(VALU_DEP_1)
	v_dual_mov_b32 v25, v16 :: v_dual_and_b32 v20, 16, v19
	v_xor_b32_e32 v21, 8, v19
	v_xor_b32_e32 v22, 4, v19
	;; [unrolled: 1-line block ×4, first 2 shown]
	v_add_nc_u32_e32 v20, 16, v20
	s_delay_alu instid0(VALU_DEP_1) | instskip(NEXT) | instid1(VALU_DEP_1)
	v_cmp_lt_i32_e64 s0, v21, v20
	v_cndmask_b32_e64 v21, v19, v21, s0
	v_cmp_lt_i32_e64 s0, v22, v20
	s_delay_alu instid0(VALU_DEP_2) | instskip(NEXT) | instid1(VALU_DEP_2)
	v_lshlrev_b32_e32 v21, 2, v21
	v_cndmask_b32_e64 v22, v19, v22, s0
	v_cmp_lt_i32_e64 s0, v23, v20
	s_delay_alu instid0(VALU_DEP_2) | instskip(NEXT) | instid1(VALU_DEP_2)
	v_lshlrev_b32_e32 v22, 2, v22
	v_cndmask_b32_e64 v23, v19, v23, s0
	v_cmp_lt_i32_e64 s0, v24, v20
	v_mul_lo_u32 v20, v16, s8
	s_delay_alu instid0(VALU_DEP_3) | instskip(NEXT) | instid1(VALU_DEP_3)
	v_lshlrev_b32_e32 v23, 2, v23
	v_cndmask_b32_e64 v19, v19, v24, s0
	s_delay_alu instid0(VALU_DEP_1)
	v_dual_mov_b32 v19, 0 :: v_dual_lshlrev_b32 v24, 2, v19
	s_branch .LBB324_10
.LBB324_8:                              ;   in Loop: Header=BB324_10 Depth=1
	s_or_b32 exec_lo, exec_lo, s1
.LBB324_9:                              ;   in Loop: Header=BB324_10 Depth=1
	v_add_nc_u32_e32 v25, s18, v25
	s_cmp_eq_u32 s8, s6
	s_cbranch_scc1 .LBB324_33
.LBB324_10:                             ; =>This Inner Loop Header: Depth=1
	v_cmp_gt_f32_e64 s0, v9, v8
	s_delay_alu instid0(VALU_DEP_1) | instskip(SKIP_2) | instid1(VALU_DEP_3)
	v_cndmask_b32_e64 v27, v8, v9, s0
	v_cndmask_b32_e64 v26, 0, 1, s0
	;; [unrolled: 1-line block ×3, first 2 shown]
	v_cmp_gt_f32_e64 s1, v10, v27
	s_delay_alu instid0(VALU_DEP_1) | instskip(NEXT) | instid1(VALU_DEP_4)
	v_cndmask_b32_e64 v27, v27, v10, s1
	v_cndmask_b32_e64 v26, v26, 2, s1
	s_delay_alu instid0(VALU_DEP_4) | instskip(NEXT) | instid1(VALU_DEP_3)
	v_cndmask_b32_e64 v28, v28, v2, s1
	v_cmp_gt_f32_e64 s3, v11, v27
	s_delay_alu instid0(VALU_DEP_1) | instskip(NEXT) | instid1(VALU_DEP_4)
	v_cndmask_b32_e64 v27, v27, v11, s3
	v_cndmask_b32_e64 v26, v26, 3, s3
	s_delay_alu instid0(VALU_DEP_4) | instskip(NEXT) | instid1(VALU_DEP_3)
	v_cndmask_b32_e64 v28, v28, v3, s3
	v_cmp_gt_f32_e64 s4, v12, v27
	s_delay_alu instid0(VALU_DEP_1) | instskip(NEXT) | instid1(VALU_DEP_4)
	v_cndmask_b32_e64 v27, v27, v12, s4
	v_cndmask_b32_e64 v26, v26, 4, s4
	s_delay_alu instid0(VALU_DEP_4) | instskip(SKIP_1) | instid1(VALU_DEP_3)
	v_cndmask_b32_e64 v28, v28, v4, s4
	s_mov_b32 s4, exec_lo
	v_cmp_gt_f32_e64 s0, v13, v27
	s_delay_alu instid0(VALU_DEP_1) | instskip(SKIP_2) | instid1(VALU_DEP_3)
	v_cndmask_b32_e64 v27, v27, v13, s0
	v_cndmask_b32_e64 v26, v26, 5, s0
	;; [unrolled: 1-line block ×3, first 2 shown]
	v_cmp_gt_f32_e64 s1, v14, v27
	s_delay_alu instid0(VALU_DEP_1) | instskip(NEXT) | instid1(VALU_DEP_4)
	v_cndmask_b32_e64 v27, v27, v14, s1
	v_cndmask_b32_e64 v26, v26, 6, s1
	s_waitcnt lgkmcnt(0)
	v_cndmask_b32_e64 v29, v28, v6, s1
	s_delay_alu instid0(VALU_DEP_3) | instskip(NEXT) | instid1(VALU_DEP_1)
	v_cmp_gt_f32_e64 s0, v15, v27
	v_cndmask_b32_e64 v26, v26, 7, s0
	v_cndmask_b32_e64 v28, v27, v15, s0
	s_delay_alu instid0(VALU_DEP_4) | instskip(NEXT) | instid1(VALU_DEP_3)
	v_cndmask_b32_e64 v27, v29, v7, s0
	v_or_b32_e32 v26, v18, v26
	ds_bpermute_b32 v29, v21, v28
	ds_bpermute_b32 v31, v21, v27
	;; [unrolled: 1-line block ×3, first 2 shown]
	s_waitcnt lgkmcnt(0)
	v_cmp_lt_f32_e64 s3, v28, v29
	v_cmpx_nlt_f32_e32 v28, v29
; %bb.11:                               ;   in Loop: Header=BB324_10 Depth=1
	v_cmp_eq_f32_e64 s0, v28, v29
	v_cmp_lt_i32_e64 s1, v30, v26
	s_delay_alu instid0(VALU_DEP_1) | instskip(SKIP_2) | instid1(SALU_CYCLE_1)
	s_and_b32 s0, s0, s1
	s_and_not1_b32 s1, s3, exec_lo
	s_and_b32 s0, s0, exec_lo
	s_or_b32 s3, s1, s0
; %bb.12:                               ;   in Loop: Header=BB324_10 Depth=1
	s_or_b32 exec_lo, exec_lo, s4
	s_and_saveexec_b32 s0, s3
; %bb.13:                               ;   in Loop: Header=BB324_10 Depth=1
	v_dual_mov_b32 v27, v31 :: v_dual_mov_b32 v28, v29
	v_mov_b32_e32 v26, v30
; %bb.14:                               ;   in Loop: Header=BB324_10 Depth=1
	s_or_b32 exec_lo, exec_lo, s0
	ds_bpermute_b32 v29, v22, v28
	ds_bpermute_b32 v31, v22, v27
	ds_bpermute_b32 v30, v22, v26
	s_mov_b32 s4, exec_lo
	s_waitcnt lgkmcnt(2)
	v_cmp_lt_f32_e64 s3, v28, v29
	v_cmpx_nlt_f32_e32 v28, v29
	s_cbranch_execz .LBB324_16
; %bb.15:                               ;   in Loop: Header=BB324_10 Depth=1
	v_cmp_eq_f32_e64 s0, v28, v29
	s_waitcnt lgkmcnt(0)
	v_cmp_lt_i32_e64 s1, v30, v26
	s_delay_alu instid0(VALU_DEP_1) | instskip(SKIP_2) | instid1(SALU_CYCLE_1)
	s_and_b32 s0, s0, s1
	s_and_not1_b32 s1, s3, exec_lo
	s_and_b32 s0, s0, exec_lo
	s_or_b32 s3, s1, s0
.LBB324_16:                             ;   in Loop: Header=BB324_10 Depth=1
	s_or_b32 exec_lo, exec_lo, s4
	s_delay_alu instid0(VALU_DEP_2)
	s_and_saveexec_b32 s0, s3
	s_cbranch_execz .LBB324_18
; %bb.17:                               ;   in Loop: Header=BB324_10 Depth=1
	s_waitcnt lgkmcnt(1)
	v_dual_mov_b32 v27, v31 :: v_dual_mov_b32 v28, v29
	s_waitcnt lgkmcnt(0)
	v_mov_b32_e32 v26, v30
.LBB324_18:                             ;   in Loop: Header=BB324_10 Depth=1
	s_or_b32 exec_lo, exec_lo, s0
	ds_bpermute_b32 v29, v23, v28
	s_waitcnt lgkmcnt(2)
	ds_bpermute_b32 v31, v23, v27
	s_waitcnt lgkmcnt(2)
	ds_bpermute_b32 v30, v23, v26
	s_mov_b32 s4, exec_lo
	s_waitcnt lgkmcnt(2)
	v_cmp_lt_f32_e64 s3, v28, v29
	v_cmpx_nlt_f32_e32 v28, v29
	s_cbranch_execz .LBB324_20
; %bb.19:                               ;   in Loop: Header=BB324_10 Depth=1
	v_cmp_eq_f32_e64 s0, v28, v29
	s_waitcnt lgkmcnt(0)
	v_cmp_lt_i32_e64 s1, v30, v26
	s_delay_alu instid0(VALU_DEP_1) | instskip(SKIP_2) | instid1(SALU_CYCLE_1)
	s_and_b32 s0, s0, s1
	s_and_not1_b32 s1, s3, exec_lo
	s_and_b32 s0, s0, exec_lo
	s_or_b32 s3, s1, s0
.LBB324_20:                             ;   in Loop: Header=BB324_10 Depth=1
	s_or_b32 exec_lo, exec_lo, s4
	s_delay_alu instid0(VALU_DEP_2)
	s_and_saveexec_b32 s0, s3
	s_cbranch_execz .LBB324_22
; %bb.21:                               ;   in Loop: Header=BB324_10 Depth=1
	s_waitcnt lgkmcnt(1)
	v_dual_mov_b32 v27, v31 :: v_dual_mov_b32 v28, v29
	s_waitcnt lgkmcnt(0)
	v_mov_b32_e32 v26, v30
.LBB324_22:                             ;   in Loop: Header=BB324_10 Depth=1
	s_or_b32 exec_lo, exec_lo, s0
	s_waitcnt lgkmcnt(1)
	ds_bpermute_b32 v31, v24, v28
	ds_bpermute_b32 v29, v24, v27
	s_waitcnt lgkmcnt(2)
	ds_bpermute_b32 v30, v24, v26
	s_mov_b32 s4, exec_lo
	s_waitcnt lgkmcnt(2)
	v_cmp_lt_f32_e64 s3, v28, v31
	v_cmpx_nlt_f32_e32 v28, v31
	s_cbranch_execnz .LBB324_26
; %bb.23:                               ;   in Loop: Header=BB324_10 Depth=1
	s_or_b32 exec_lo, exec_lo, s4
	s_delay_alu instid0(VALU_DEP_2)
	s_and_saveexec_b32 s0, s3
	s_cbranch_execnz .LBB324_27
.LBB324_24:                             ;   in Loop: Header=BB324_10 Depth=1
	s_or_b32 exec_lo, exec_lo, s0
	s_and_saveexec_b32 s3, s2
	s_cbranch_execnz .LBB324_28
.LBB324_25:                             ;   in Loop: Header=BB324_10 Depth=1
	s_or_b32 exec_lo, exec_lo, s3
	s_add_i32 s6, s6, 1
	s_delay_alu instid0(SALU_CYCLE_1)
	s_cmp_ge_i32 s6, s8
	s_cbranch_scc1 .LBB324_9
	s_branch .LBB324_29
.LBB324_26:                             ;   in Loop: Header=BB324_10 Depth=1
	v_cmp_eq_f32_e64 s0, v28, v31
	s_waitcnt lgkmcnt(0)
	v_cmp_lt_i32_e64 s1, v30, v26
	s_delay_alu instid0(VALU_DEP_1) | instskip(SKIP_2) | instid1(SALU_CYCLE_1)
	s_and_b32 s0, s0, s1
	s_and_not1_b32 s1, s3, exec_lo
	s_and_b32 s0, s0, exec_lo
	s_or_b32 s3, s1, s0
	s_or_b32 exec_lo, exec_lo, s4
	s_and_saveexec_b32 s0, s3
	s_cbranch_execz .LBB324_24
.LBB324_27:                             ;   in Loop: Header=BB324_10 Depth=1
	s_waitcnt lgkmcnt(0)
	v_dual_mov_b32 v26, v30 :: v_dual_mov_b32 v27, v29
	s_or_b32 exec_lo, exec_lo, s0
	s_and_saveexec_b32 s3, s2
	s_cbranch_execz .LBB324_25
.LBB324_28:                             ;   in Loop: Header=BB324_10 Depth=1
	s_delay_alu instid0(VALU_DEP_1)
	v_dual_add_f32 v35, v19, v27 :: v_dual_add_nc_u32 v28, s6, v20
	v_cmp_le_i32_e64 s0, s9, v26
	v_cmp_gt_i32_e64 s1, s10, v26
	s_waitcnt lgkmcnt(0)
	v_subrev_nc_u32_e32 v30, s9, v26
	v_ashrrev_i32_e32 v29, 31, v28
	v_cndmask_b32_e32 v19, v19, v35, vcc_lo
	s_and_b32 s0, s0, s1
	s_delay_alu instid0(SALU_CYCLE_1) | instskip(NEXT) | instid1(VALU_DEP_2)
	s_and_b32 s0, s19, s0
	v_lshlrev_b64 v[28:29], 2, v[28:29]
	v_cndmask_b32_e64 v34, 0x80, v30, s0
	s_delay_alu instid0(VALU_DEP_2) | instskip(NEXT) | instid1(VALU_DEP_1)
	v_add_co_u32 v30, s0, s16, v28
	v_add_co_ci_u32_e64 v31, s0, s17, v29, s0
	v_add_co_u32 v32, s0, s12, v28
	s_delay_alu instid0(VALU_DEP_1) | instskip(SKIP_1) | instid1(VALU_DEP_1)
	v_add_co_ci_u32_e64 v33, s0, s13, v29, s0
	v_add_co_u32 v28, s0, s14, v28
	v_add_co_ci_u32_e64 v29, s0, s15, v29, s0
	global_store_b32 v[30:31], v27, off
	global_store_b32 v[32:33], v34, off
	;; [unrolled: 1-line block ×3, first 2 shown]
	s_or_b32 exec_lo, exec_lo, s3
	s_add_i32 s6, s6, 1
	s_delay_alu instid0(SALU_CYCLE_1)
	s_cmp_ge_i32 s6, s8
	s_cbranch_scc1 .LBB324_9
.LBB324_29:                             ;   in Loop: Header=BB324_10 Depth=1
	v_ashrrev_i32_e32 v28, 31, v26
	s_mov_b32 s1, exec_lo
	s_delay_alu instid0(VALU_DEP_1) | instskip(NEXT) | instid1(VALU_DEP_1)
	v_lshrrev_b32_e32 v27, 29, v28
	v_add_nc_u32_e32 v27, v26, v27
	s_delay_alu instid0(VALU_DEP_1) | instskip(SKIP_1) | instid1(VALU_DEP_1)
	v_ashrrev_i32_e32 v27, 3, v27
	s_waitcnt lgkmcnt(1)
	v_lshrrev_b32_e32 v29, 28, v27
	s_delay_alu instid0(VALU_DEP_1) | instskip(NEXT) | instid1(VALU_DEP_1)
	v_add_nc_u32_e32 v29, v27, v29
	v_and_b32_e32 v29, -16, v29
	s_delay_alu instid0(VALU_DEP_1) | instskip(NEXT) | instid1(VALU_DEP_1)
	v_sub_nc_u32_e32 v29, v27, v29
	v_cmpx_eq_u32_e64 v17, v29
	s_cbranch_execz .LBB324_8
; %bb.30:                               ;   in Loop: Header=BB324_10 Depth=1
	v_lshrrev_b32_e32 v28, 25, v28
	v_lshlrev_b32_e32 v27, 3, v27
	s_delay_alu instid0(VALU_DEP_2) | instskip(NEXT) | instid1(VALU_DEP_2)
	v_add_nc_u32_e32 v28, v26, v28
	v_sub_nc_u32_e32 v26, v26, v27
	s_delay_alu instid0(VALU_DEP_2) | instskip(NEXT) | instid1(VALU_DEP_1)
	v_ashrrev_i32_e32 v27, 7, v28
	v_lshl_add_u32 v26, v27, 3, v26
	s_delay_alu instid0(VALU_DEP_1) | instskip(NEXT) | instid1(VALU_DEP_1)
	v_cmp_ne_u32_e64 s0, 7, v26
	v_cndmask_b32_e64 v15, 0xc61c4000, v15, s0
	v_cmp_ne_u32_e64 s0, 6, v26
	s_delay_alu instid0(VALU_DEP_1) | instskip(SKIP_1) | instid1(VALU_DEP_1)
	v_cndmask_b32_e64 v14, 0xc61c4000, v14, s0
	v_cmp_ne_u32_e64 s0, 5, v26
	v_cndmask_b32_e64 v13, 0xc61c4000, v13, s0
	v_cmp_ne_u32_e64 s0, 4, v26
	s_delay_alu instid0(VALU_DEP_1) | instskip(SKIP_1) | instid1(VALU_DEP_1)
	v_cndmask_b32_e64 v12, 0xc61c4000, v12, s0
	;; [unrolled: 5-line block ×3, first 2 shown]
	v_cmp_ne_u32_e64 s0, 1, v26
	v_cndmask_b32_e64 v9, 0xc61c4000, v9, s0
	v_cmp_ne_u32_e64 s0, 0, v26
	s_delay_alu instid0(VALU_DEP_1)
	v_cndmask_b32_e64 v8, 0xc61c4000, v8, s0
	s_branch .LBB324_8
.LBB324_31:
                                        ; implicit-def: $vgpr8_vgpr9_vgpr10_vgpr11_vgpr12_vgpr13_vgpr14_vgpr15
	s_and_not1_b32 vcc_lo, exec_lo, s9
	s_cbranch_vccz .LBB324_5
	s_branch .LBB324_6
.LBB324_32:
	v_mov_b32_e32 v19, 0
.LBB324_33:
	v_cmp_eq_u32_e64 s0, 0, v17
	s_delay_alu instid0(VALU_DEP_1) | instskip(NEXT) | instid1(SALU_CYCLE_1)
	s_and_b32 s0, s0, vcc_lo
	s_and_b32 exec_lo, exec_lo, s0
	s_cbranch_execz .LBB324_37
; %bb.34:
	s_and_not1_b32 vcc_lo, exec_lo, s5
	s_cbranch_vccnz .LBB324_37
; %bb.35:
	v_mul_lo_u32 v0, v16, s8
	v_cmp_lt_f32_e32 vcc_lo, 0, v19
	v_cndmask_b32_e32 v2, 1.0, v19, vcc_lo
	s_delay_alu instid0(VALU_DEP_3) | instskip(NEXT) | instid1(VALU_DEP_1)
	v_ashrrev_i32_e32 v1, 31, v0
	v_lshlrev_b64 v[0:1], 2, v[0:1]
	s_delay_alu instid0(VALU_DEP_1) | instskip(NEXT) | instid1(VALU_DEP_2)
	v_add_co_u32 v0, vcc_lo, s16, v0
	v_add_co_ci_u32_e32 v1, vcc_lo, s17, v1, vcc_lo
	.p2align	6
.LBB324_36:                             ; =>This Inner Loop Header: Depth=1
	global_load_b32 v3, v[0:1], off
	s_add_i32 s8, s8, -1
	s_delay_alu instid0(SALU_CYCLE_1) | instskip(SKIP_3) | instid1(VALU_DEP_2)
	s_cmp_lg_u32 s8, 0
	s_waitcnt vmcnt(0)
	v_div_scale_f32 v4, null, v2, v2, v3
	v_div_scale_f32 v7, vcc_lo, v3, v2, v3
	v_rcp_f32_e32 v5, v4
	s_waitcnt_depctr 0xfff
	v_fma_f32 v6, -v4, v5, 1.0
	s_delay_alu instid0(VALU_DEP_1) | instskip(NEXT) | instid1(VALU_DEP_1)
	v_fmac_f32_e32 v5, v6, v5
	v_mul_f32_e32 v6, v7, v5
	s_delay_alu instid0(VALU_DEP_1) | instskip(NEXT) | instid1(VALU_DEP_1)
	v_fma_f32 v8, -v4, v6, v7
	v_fmac_f32_e32 v6, v8, v5
	s_delay_alu instid0(VALU_DEP_1) | instskip(NEXT) | instid1(VALU_DEP_1)
	v_fma_f32 v4, -v4, v6, v7
	v_div_fmas_f32 v4, v4, v5, v6
	s_delay_alu instid0(VALU_DEP_1)
	v_div_fixup_f32 v3, v4, v2, v3
	global_store_b32 v[0:1], v3, off
	v_add_co_u32 v0, vcc_lo, v0, 4
	v_add_co_ci_u32_e32 v1, vcc_lo, 0, v1, vcc_lo
	s_cbranch_scc1 .LBB324_36
.LBB324_37:
	s_nop 0
	s_sendmsg sendmsg(MSG_DEALLOC_VGPRS)
	s_endpgm
	.section	.rodata,"a",@progbits
	.p2align	6, 0x0
	.amdhsa_kernel _ZN4vllm3moe10topkGatingILi8ELi128ELi4ELi16ELi64Ei14__hip_bfloat16LNS0_11ScoringFuncE1EEEvPKT5_PKbPfiPT4_PiiiibPKf
		.amdhsa_group_segment_fixed_size 0
		.amdhsa_private_segment_fixed_size 0
		.amdhsa_kernarg_size 72
		.amdhsa_user_sgpr_count 15
		.amdhsa_user_sgpr_dispatch_ptr 0
		.amdhsa_user_sgpr_queue_ptr 0
		.amdhsa_user_sgpr_kernarg_segment_ptr 1
		.amdhsa_user_sgpr_dispatch_id 0
		.amdhsa_user_sgpr_private_segment_size 0
		.amdhsa_wavefront_size32 1
		.amdhsa_uses_dynamic_stack 0
		.amdhsa_enable_private_segment 0
		.amdhsa_system_sgpr_workgroup_id_x 1
		.amdhsa_system_sgpr_workgroup_id_y 0
		.amdhsa_system_sgpr_workgroup_id_z 0
		.amdhsa_system_sgpr_workgroup_info 0
		.amdhsa_system_vgpr_workitem_id 1
		.amdhsa_next_free_vgpr 51
		.amdhsa_next_free_sgpr 20
		.amdhsa_reserve_vcc 1
		.amdhsa_float_round_mode_32 0
		.amdhsa_float_round_mode_16_64 0
		.amdhsa_float_denorm_mode_32 3
		.amdhsa_float_denorm_mode_16_64 3
		.amdhsa_dx10_clamp 1
		.amdhsa_ieee_mode 1
		.amdhsa_fp16_overflow 0
		.amdhsa_workgroup_processor_mode 1
		.amdhsa_memory_ordered 1
		.amdhsa_forward_progress 0
		.amdhsa_shared_vgpr_count 0
		.amdhsa_exception_fp_ieee_invalid_op 0
		.amdhsa_exception_fp_denorm_src 0
		.amdhsa_exception_fp_ieee_div_zero 0
		.amdhsa_exception_fp_ieee_overflow 0
		.amdhsa_exception_fp_ieee_underflow 0
		.amdhsa_exception_fp_ieee_inexact 0
		.amdhsa_exception_int_div_zero 0
	.end_amdhsa_kernel
	.section	.text._ZN4vllm3moe10topkGatingILi8ELi128ELi4ELi16ELi64Ei14__hip_bfloat16LNS0_11ScoringFuncE1EEEvPKT5_PKbPfiPT4_PiiiibPKf,"axG",@progbits,_ZN4vllm3moe10topkGatingILi8ELi128ELi4ELi16ELi64Ei14__hip_bfloat16LNS0_11ScoringFuncE1EEEvPKT5_PKbPfiPT4_PiiiibPKf,comdat
.Lfunc_end324:
	.size	_ZN4vllm3moe10topkGatingILi8ELi128ELi4ELi16ELi64Ei14__hip_bfloat16LNS0_11ScoringFuncE1EEEvPKT5_PKbPfiPT4_PiiiibPKf, .Lfunc_end324-_ZN4vllm3moe10topkGatingILi8ELi128ELi4ELi16ELi64Ei14__hip_bfloat16LNS0_11ScoringFuncE1EEEvPKT5_PKbPfiPT4_PiiiibPKf
                                        ; -- End function
	.section	.AMDGPU.csdata,"",@progbits
; Kernel info:
; codeLenInByte = 3100
; NumSgprs: 22
; NumVgprs: 51
; ScratchSize: 0
; MemoryBound: 0
; FloatMode: 240
; IeeeMode: 1
; LDSByteSize: 0 bytes/workgroup (compile time only)
; SGPRBlocks: 2
; VGPRBlocks: 6
; NumSGPRsForWavesPerEU: 22
; NumVGPRsForWavesPerEU: 51
; Occupancy: 16
; WaveLimiterHint : 0
; COMPUTE_PGM_RSRC2:SCRATCH_EN: 0
; COMPUTE_PGM_RSRC2:USER_SGPR: 15
; COMPUTE_PGM_RSRC2:TRAP_HANDLER: 0
; COMPUTE_PGM_RSRC2:TGID_X_EN: 1
; COMPUTE_PGM_RSRC2:TGID_Y_EN: 0
; COMPUTE_PGM_RSRC2:TGID_Z_EN: 0
; COMPUTE_PGM_RSRC2:TIDIG_COMP_CNT: 1
	.section	.text._ZN4vllm3moe10topkGatingILi8ELi128ELi4ELi16ELi32Ei14__hip_bfloat16LNS0_11ScoringFuncE1EEEvPKT5_PKbPfiPT4_PiiiibPKf,"axG",@progbits,_ZN4vllm3moe10topkGatingILi8ELi128ELi4ELi16ELi32Ei14__hip_bfloat16LNS0_11ScoringFuncE1EEEvPKT5_PKbPfiPT4_PiiiibPKf,comdat
	.protected	_ZN4vllm3moe10topkGatingILi8ELi128ELi4ELi16ELi32Ei14__hip_bfloat16LNS0_11ScoringFuncE1EEEvPKT5_PKbPfiPT4_PiiiibPKf ; -- Begin function _ZN4vllm3moe10topkGatingILi8ELi128ELi4ELi16ELi32Ei14__hip_bfloat16LNS0_11ScoringFuncE1EEEvPKT5_PKbPfiPT4_PiiiibPKf
	.globl	_ZN4vllm3moe10topkGatingILi8ELi128ELi4ELi16ELi32Ei14__hip_bfloat16LNS0_11ScoringFuncE1EEEvPKT5_PKbPfiPT4_PiiiibPKf
	.p2align	8
	.type	_ZN4vllm3moe10topkGatingILi8ELi128ELi4ELi16ELi32Ei14__hip_bfloat16LNS0_11ScoringFuncE1EEEvPKT5_PKbPfiPT4_PiiiibPKf,@function
_ZN4vllm3moe10topkGatingILi8ELi128ELi4ELi16ELi32Ei14__hip_bfloat16LNS0_11ScoringFuncE1EEEvPKT5_PKbPfiPT4_PiiiibPKf: ; @_ZN4vllm3moe10topkGatingILi8ELi128ELi4ELi16ELi32Ei14__hip_bfloat16LNS0_11ScoringFuncE1EEEvPKT5_PKbPfiPT4_PiiiibPKf
; %bb.0:
	s_load_b32 s18, s[0:1], 0x18
	v_bfe_u32 v1, v0, 10, 10
	v_and_b32_e32 v0, 0x3ff, v0
	s_lshl_b32 s2, s15, 3
	s_delay_alu instid0(VALU_DEP_2) | instskip(NEXT) | instid1(VALU_DEP_2)
	v_lshlrev_b32_e32 v1, 1, v1
	v_lshrrev_b32_e32 v2, 4, v0
	s_delay_alu instid0(VALU_DEP_1) | instskip(SKIP_2) | instid1(VALU_DEP_1)
	v_add3_u32 v16, s2, v1, v2
	s_mov_b32 s2, exec_lo
	s_waitcnt lgkmcnt(0)
	v_cmpx_gt_i32_e64 s18, v16
	s_cbranch_execz .LBB325_37
; %bb.1:
	s_clause 0x1
	s_load_b128 s[4:7], s[0:1], 0x0
	s_load_b64 s[16:17], s[0:1], 0x10
	s_mov_b32 s9, -1
	s_mov_b32 s19, -1
	s_waitcnt lgkmcnt(0)
	s_cmp_eq_u64 s[6:7], 0
	s_cbranch_scc1 .LBB325_3
; %bb.2:
	v_ashrrev_i32_e32 v2, 31, v16
	v_add_co_u32 v1, vcc_lo, s6, v16
	s_delay_alu instid0(VALU_DEP_2) | instskip(SKIP_3) | instid1(VALU_DEP_1)
	v_add_co_ci_u32_e32 v2, vcc_lo, s7, v2, vcc_lo
	global_load_u8 v1, v[1:2], off
	s_waitcnt vmcnt(0)
	v_and_b32_e32 v1, 1, v1
	v_cmp_eq_u32_e32 vcc_lo, 1, v1
	s_xor_b32 s2, vcc_lo, -1
	s_delay_alu instid0(SALU_CYCLE_1)
	s_or_not1_b32 s19, s2, exec_lo
.LBB325_3:
	v_lshlrev_b32_e32 v1, 7, v16
	v_and_b32_e32 v17, 15, v0
	s_load_b64 s[10:11], s[0:1], 0x40
	s_delay_alu instid0(VALU_DEP_2) | instskip(NEXT) | instid1(VALU_DEP_1)
	v_ashrrev_i32_e32 v2, 31, v1
	v_lshlrev_b64 v[0:1], 1, v[1:2]
	s_delay_alu instid0(VALU_DEP_3) | instskip(NEXT) | instid1(VALU_DEP_2)
	v_lshlrev_b32_e32 v2, 4, v17
	v_add_co_u32 v0, vcc_lo, s4, v0
	s_delay_alu instid0(VALU_DEP_3) | instskip(NEXT) | instid1(VALU_DEP_2)
	v_add_co_ci_u32_e32 v1, vcc_lo, s5, v1, vcc_lo
	v_add_co_u32 v0, vcc_lo, v0, v2
	s_delay_alu instid0(VALU_DEP_2)
	v_add_co_ci_u32_e32 v1, vcc_lo, 0, v1, vcc_lo
	s_waitcnt lgkmcnt(0)
	s_cmp_eq_u64 s[10:11], 0
	global_load_b128 v[0:3], v[0:1], off
	s_waitcnt vmcnt(0)
	v_lshlrev_b32_e32 v5, 16, v1
	s_delay_alu instid0(VALU_DEP_1) | instskip(NEXT) | instid1(VALU_DEP_1)
	v_dual_mul_f32 v5, 0xbfb8aa3b, v5 :: v_dual_lshlrev_b32 v4, 16, v0
	v_mul_f32_e32 v4, 0xbfb8aa3b, v4
	s_delay_alu instid0(VALU_DEP_2) | instskip(NEXT) | instid1(VALU_DEP_1)
	v_exp_f32_e32 v5, v5
	v_exp_f32_e32 v4, v4
	v_and_b32_e32 v1, 0xffff0000, v1
	s_waitcnt_depctr 0xfff
	v_dual_add_f32 v5, 1.0, v5 :: v_dual_and_b32 v0, 0xffff0000, v0
	v_add_f32_e32 v4, 1.0, v4
	v_dual_mul_f32 v1, 0xbfb8aa3b, v1 :: v_dual_lshlrev_b32 v6, 16, v2
	s_delay_alu instid0(VALU_DEP_3) | instskip(NEXT) | instid1(VALU_DEP_4)
	v_dual_mul_f32 v0, 0xbfb8aa3b, v0 :: v_dual_lshlrev_b32 v7, 16, v3
	v_div_scale_f32 v12, null, v5, v5, 1.0
	s_delay_alu instid0(VALU_DEP_3) | instskip(SKIP_1) | instid1(VALU_DEP_3)
	v_exp_f32_e32 v1, v1
	v_and_b32_e32 v2, 0xffff0000, v2
	v_exp_f32_e32 v0, v0
	v_and_b32_e32 v3, 0xffff0000, v3
	v_dual_mul_f32 v6, 0xbfb8aa3b, v6 :: v_dual_mul_f32 v7, 0xbfb8aa3b, v7
	v_rcp_f32_e32 v28, v12
	v_div_scale_f32 v13, s3, 1.0, v5, 1.0
	s_delay_alu instid0(VALU_DEP_2) | instskip(SKIP_1) | instid1(TRANS32_DEP_3)
	v_exp_f32_e32 v6, v6
	v_dual_add_f32 v1, 1.0, v1 :: v_dual_mul_f32 v2, 0xbfb8aa3b, v2
	v_dual_add_f32 v0, 1.0, v0 :: v_dual_mul_f32 v3, 0xbfb8aa3b, v3
	v_lshlrev_b32_e32 v18, 3, v17
	v_exp_f32_e32 v7, v7
	s_delay_alu instid0(VALU_DEP_3) | instskip(NEXT) | instid1(VALU_DEP_2)
	v_exp_f32_e32 v2, v2
	v_div_scale_f32 v10, null, v0, v0, 1.0
	v_exp_f32_e32 v3, v3
	v_add_f32_e32 v6, 1.0, v6
	v_div_scale_f32 v14, null, v1, v1, 1.0
	s_delay_alu instid0(VALU_DEP_3) | instskip(SKIP_1) | instid1(TRANS32_DEP_3)
	v_rcp_f32_e32 v27, v10
	v_fma_f32 v37, -v12, v28, 1.0
	v_dual_add_f32 v7, 1.0, v7 :: v_dual_add_f32 v8, 1.0, v2
	v_div_scale_f32 v2, null, v4, v4, 1.0
	s_delay_alu instid0(TRANS32_DEP_2) | instskip(SKIP_1) | instid1(VALU_DEP_4)
	v_add_f32_e32 v9, 1.0, v3
	v_div_scale_f32 v19, null, v6, v6, 1.0
	v_div_scale_f32 v21, null, v8, v8, 1.0
	s_delay_alu instid0(VALU_DEP_4) | instskip(NEXT) | instid1(VALU_DEP_2)
	v_rcp_f32_e32 v26, v2
	v_rcp_f32_e32 v30, v19
	;; [unrolled: 1-line block ×3, first 2 shown]
	s_delay_alu instid0(VALU_DEP_1)
	v_rcp_f32_e32 v31, v21
	v_div_scale_f32 v23, null, v7, v7, 1.0
	v_fma_f32 v36, -v10, v27, 1.0
	v_div_scale_f32 v3, vcc_lo, 1.0, v4, 1.0
	v_div_scale_f32 v11, s2, 1.0, v0, 1.0
	v_fma_f32 v35, -v2, v26, 1.0
	s_delay_alu instid0(TRANS32_DEP_3) | instskip(NEXT) | instid1(TRANS32_DEP_1)
	v_fma_f32 v39, -v19, v30, 1.0
	v_fma_f32 v40, -v21, v31, 1.0
	s_delay_alu instid0(TRANS32_DEP_2) | instskip(SKIP_3) | instid1(VALU_DEP_3)
	v_fma_f32 v38, -v14, v29, 1.0
	v_div_scale_f32 v25, null, v9, v9, 1.0
	v_dual_fmac_f32 v26, v35, v26 :: v_dual_fmac_f32 v27, v36, v27
	v_rcp_f32_e32 v32, v23
	v_dual_fmac_f32 v28, v37, v28 :: v_dual_fmac_f32 v29, v38, v29
	v_div_scale_f32 v22, s6, 1.0, v8, 1.0
	v_dual_fmac_f32 v30, v39, v30 :: v_dual_fmac_f32 v31, v40, v31
	v_mul_f32_e32 v35, v3, v26
	v_div_scale_f32 v15, s4, 1.0, v1, 1.0
	v_rcp_f32_e32 v33, v25
	s_delay_alu instid0(VALU_DEP_3)
	v_mul_f32_e32 v40, v22, v31
	v_dual_mul_f32 v36, v11, v27 :: v_dual_mul_f32 v37, v13, v28
	v_div_scale_f32 v20, s5, 1.0, v6, 1.0
	v_fma_f32 v43, -v2, v35, v3
	v_mul_f32_e32 v38, v15, v29
	v_fma_f32 v41, -v23, v32, 1.0
	s_delay_alu instid0(VALU_DEP_4)
	v_mul_f32_e32 v39, v20, v30
	v_fma_f32 v44, -v10, v36, v11
	v_fma_f32 v45, -v12, v37, v13
	v_fmac_f32_e32 v35, v43, v26
	v_fma_f32 v46, -v14, v38, v15
	v_div_scale_f32 v24, s7, 1.0, v7, 1.0
	v_fmac_f32_e32 v36, v44, v27
	v_fma_f32 v42, -v25, v33, 1.0
	v_fmac_f32_e32 v32, v41, v32
	v_fma_f32 v47, -v19, v39, v20
	v_dual_fmac_f32 v37, v45, v28 :: v_dual_fmac_f32 v38, v46, v29
	v_fma_f32 v48, -v21, v40, v22
	v_fma_f32 v2, -v2, v35, v3
	v_div_scale_f32 v34, s8, 1.0, v9, 1.0
	v_fmac_f32_e32 v33, v42, v33
	v_mul_f32_e32 v41, v24, v32
	v_fma_f32 v3, -v10, v36, v11
	v_dual_fmac_f32 v39, v47, v30 :: v_dual_fmac_f32 v40, v48, v31
	v_fma_f32 v10, -v12, v37, v13
	v_div_fmas_f32 v2, v2, v26, v35
	s_mov_b32 vcc_lo, s2
	v_fma_f32 v11, -v14, v38, v15
	v_mul_f32_e32 v42, v34, v33
	v_fma_f32 v49, -v23, v41, v24
	v_div_fmas_f32 v3, v3, v27, v36
	s_mov_b32 vcc_lo, s3
	v_fma_f32 v12, -v19, v39, v20
	v_div_fmas_f32 v10, v10, v28, v37
	s_mov_b32 vcc_lo, s4
	v_fma_f32 v13, -v21, v40, v22
	v_div_fixup_f32 v2, v2, v4, 1.0
	v_div_fmas_f32 v4, v11, v29, v38
	s_mov_b32 vcc_lo, s5
	v_fma_f32 v50, -v25, v42, v34
	v_fmac_f32_e32 v41, v49, v32
	v_div_fmas_f32 v11, v12, v30, v39
	s_mov_b32 vcc_lo, s6
	v_div_fixup_f32 v5, v10, v5, 1.0
	v_fmac_f32_e32 v42, v50, v33
	v_div_fmas_f32 v10, v13, v31, v40
	v_cmp_class_f32_e64 vcc_lo, v2, 0x1f8
	v_fma_f32 v14, -v23, v41, v24
	v_div_fixup_f32 v3, v3, v0, 1.0
	v_fma_f32 v15, -v25, v42, v34
	v_div_fixup_f32 v4, v4, v1, 1.0
	v_cndmask_b32_e32 v0, 0, v2, vcc_lo
	s_mov_b32 vcc_lo, s7
	v_div_fixup_f32 v6, v11, v6, 1.0
	v_div_fmas_f32 v12, v14, v32, v41
	v_cmp_class_f32_e64 vcc_lo, v3, 0x1f8
	s_delay_alu instid0(VALU_DEP_2)
	v_div_fixup_f32 v7, v12, v7, 1.0
	v_cndmask_b32_e32 v1, 0, v3, vcc_lo
	s_mov_b32 vcc_lo, s8
	v_div_fmas_f32 v11, v15, v33, v42
	v_cmp_class_f32_e64 vcc_lo, v5, 0x1f8
	v_cndmask_b32_e32 v2, 0, v5, vcc_lo
	v_cmp_class_f32_e64 vcc_lo, v4, 0x1f8
	v_div_fixup_f32 v5, v10, v8, 1.0
	v_div_fixup_f32 v8, v11, v9, 1.0
	v_cndmask_b32_e32 v3, 0, v4, vcc_lo
	v_cmp_class_f32_e64 vcc_lo, v6, 0x1f8
	v_cndmask_b32_e32 v4, 0, v6, vcc_lo
	v_cmp_class_f32_e64 vcc_lo, v5, 0x1f8
	;; [unrolled: 2-line block ×4, first 2 shown]
	v_cndmask_b32_e32 v7, 0, v8, vcc_lo
	s_cbranch_scc1 .LBB325_31
; %bb.4:
	v_lshlrev_b32_e32 v12, 2, v18
	s_clause 0x1
	global_load_b128 v[8:11], v12, s[10:11]
	global_load_b128 v[12:15], v12, s[10:11] offset:16
	s_waitcnt vmcnt(1)
	v_dual_add_f32 v9, v9, v1 :: v_dual_add_f32 v8, v8, v0
	v_dual_add_f32 v11, v11, v3 :: v_dual_add_f32 v10, v10, v2
	s_waitcnt vmcnt(0)
	v_dual_add_f32 v13, v13, v5 :: v_dual_add_f32 v12, v12, v4
	v_dual_add_f32 v15, v15, v7 :: v_dual_add_f32 v14, v14, v6
	s_cbranch_execnz .LBB325_6
.LBB325_5:
	v_dual_mov_b32 v15, v7 :: v_dual_mov_b32 v14, v6
	v_dual_mov_b32 v13, v5 :: v_dual_mov_b32 v12, v4
	;; [unrolled: 1-line block ×4, first 2 shown]
.LBB325_6:
	s_load_b128 s[8:11], s[0:1], 0x30
	v_cmp_eq_u32_e64 s2, 0, v17
	s_mov_b32 s6, 0
	s_waitcnt lgkmcnt(0)
	s_bitcmp1_b32 s11, 0
	s_cselect_b32 vcc_lo, -1, 0
	s_cmp_gt_i32 s8, 0
	s_cselect_b32 s5, -1, 0
	s_cmp_lt_i32 s8, 1
	s_cbranch_scc1 .LBB325_32
; %bb.7:
	v_mbcnt_lo_u32_b32 v19, -1, 0
	s_load_b128 s[12:15], s[0:1], 0x20
	s_delay_alu instid0(VALU_DEP_1)
	v_dual_mov_b32 v25, v16 :: v_dual_and_b32 v20, 16, v19
	v_xor_b32_e32 v21, 8, v19
	v_xor_b32_e32 v22, 4, v19
	v_xor_b32_e32 v23, 2, v19
	v_xor_b32_e32 v24, 1, v19
	v_add_nc_u32_e32 v20, 16, v20
	s_delay_alu instid0(VALU_DEP_1) | instskip(NEXT) | instid1(VALU_DEP_1)
	v_cmp_lt_i32_e64 s0, v21, v20
	v_cndmask_b32_e64 v21, v19, v21, s0
	v_cmp_lt_i32_e64 s0, v22, v20
	s_delay_alu instid0(VALU_DEP_2) | instskip(NEXT) | instid1(VALU_DEP_2)
	v_lshlrev_b32_e32 v21, 2, v21
	v_cndmask_b32_e64 v22, v19, v22, s0
	v_cmp_lt_i32_e64 s0, v23, v20
	s_delay_alu instid0(VALU_DEP_2) | instskip(NEXT) | instid1(VALU_DEP_2)
	v_lshlrev_b32_e32 v22, 2, v22
	v_cndmask_b32_e64 v23, v19, v23, s0
	v_cmp_lt_i32_e64 s0, v24, v20
	v_mul_lo_u32 v20, v16, s8
	s_delay_alu instid0(VALU_DEP_3) | instskip(NEXT) | instid1(VALU_DEP_3)
	v_lshlrev_b32_e32 v23, 2, v23
	v_cndmask_b32_e64 v19, v19, v24, s0
	s_delay_alu instid0(VALU_DEP_1)
	v_dual_mov_b32 v19, 0 :: v_dual_lshlrev_b32 v24, 2, v19
	s_branch .LBB325_10
.LBB325_8:                              ;   in Loop: Header=BB325_10 Depth=1
	s_or_b32 exec_lo, exec_lo, s1
.LBB325_9:                              ;   in Loop: Header=BB325_10 Depth=1
	v_add_nc_u32_e32 v25, s18, v25
	s_cmp_eq_u32 s8, s6
	s_cbranch_scc1 .LBB325_33
.LBB325_10:                             ; =>This Inner Loop Header: Depth=1
	v_cmp_gt_f32_e64 s0, v9, v8
	s_delay_alu instid0(VALU_DEP_1) | instskip(SKIP_2) | instid1(VALU_DEP_3)
	v_cndmask_b32_e64 v27, v8, v9, s0
	v_cndmask_b32_e64 v26, 0, 1, s0
	;; [unrolled: 1-line block ×3, first 2 shown]
	v_cmp_gt_f32_e64 s1, v10, v27
	s_delay_alu instid0(VALU_DEP_1) | instskip(NEXT) | instid1(VALU_DEP_4)
	v_cndmask_b32_e64 v27, v27, v10, s1
	v_cndmask_b32_e64 v26, v26, 2, s1
	s_delay_alu instid0(VALU_DEP_4) | instskip(NEXT) | instid1(VALU_DEP_3)
	v_cndmask_b32_e64 v28, v28, v2, s1
	v_cmp_gt_f32_e64 s3, v11, v27
	s_delay_alu instid0(VALU_DEP_1) | instskip(NEXT) | instid1(VALU_DEP_4)
	v_cndmask_b32_e64 v27, v27, v11, s3
	v_cndmask_b32_e64 v26, v26, 3, s3
	s_delay_alu instid0(VALU_DEP_4) | instskip(NEXT) | instid1(VALU_DEP_3)
	v_cndmask_b32_e64 v28, v28, v3, s3
	v_cmp_gt_f32_e64 s4, v12, v27
	s_delay_alu instid0(VALU_DEP_1) | instskip(NEXT) | instid1(VALU_DEP_4)
	v_cndmask_b32_e64 v27, v27, v12, s4
	v_cndmask_b32_e64 v26, v26, 4, s4
	s_delay_alu instid0(VALU_DEP_4) | instskip(SKIP_1) | instid1(VALU_DEP_3)
	v_cndmask_b32_e64 v28, v28, v4, s4
	s_mov_b32 s4, exec_lo
	v_cmp_gt_f32_e64 s0, v13, v27
	s_delay_alu instid0(VALU_DEP_1) | instskip(SKIP_2) | instid1(VALU_DEP_3)
	v_cndmask_b32_e64 v27, v27, v13, s0
	v_cndmask_b32_e64 v26, v26, 5, s0
	;; [unrolled: 1-line block ×3, first 2 shown]
	v_cmp_gt_f32_e64 s1, v14, v27
	s_delay_alu instid0(VALU_DEP_1) | instskip(NEXT) | instid1(VALU_DEP_4)
	v_cndmask_b32_e64 v27, v27, v14, s1
	v_cndmask_b32_e64 v26, v26, 6, s1
	s_waitcnt lgkmcnt(0)
	v_cndmask_b32_e64 v29, v28, v6, s1
	s_delay_alu instid0(VALU_DEP_3) | instskip(NEXT) | instid1(VALU_DEP_1)
	v_cmp_gt_f32_e64 s0, v15, v27
	v_cndmask_b32_e64 v26, v26, 7, s0
	v_cndmask_b32_e64 v28, v27, v15, s0
	s_delay_alu instid0(VALU_DEP_4) | instskip(NEXT) | instid1(VALU_DEP_3)
	v_cndmask_b32_e64 v27, v29, v7, s0
	v_or_b32_e32 v26, v18, v26
	ds_bpermute_b32 v29, v21, v28
	ds_bpermute_b32 v31, v21, v27
	;; [unrolled: 1-line block ×3, first 2 shown]
	s_waitcnt lgkmcnt(0)
	v_cmp_lt_f32_e64 s3, v28, v29
	v_cmpx_nlt_f32_e32 v28, v29
; %bb.11:                               ;   in Loop: Header=BB325_10 Depth=1
	v_cmp_eq_f32_e64 s0, v28, v29
	v_cmp_lt_i32_e64 s1, v30, v26
	s_delay_alu instid0(VALU_DEP_1) | instskip(SKIP_2) | instid1(SALU_CYCLE_1)
	s_and_b32 s0, s0, s1
	s_and_not1_b32 s1, s3, exec_lo
	s_and_b32 s0, s0, exec_lo
	s_or_b32 s3, s1, s0
; %bb.12:                               ;   in Loop: Header=BB325_10 Depth=1
	s_or_b32 exec_lo, exec_lo, s4
	s_and_saveexec_b32 s0, s3
; %bb.13:                               ;   in Loop: Header=BB325_10 Depth=1
	v_dual_mov_b32 v27, v31 :: v_dual_mov_b32 v28, v29
	v_mov_b32_e32 v26, v30
; %bb.14:                               ;   in Loop: Header=BB325_10 Depth=1
	s_or_b32 exec_lo, exec_lo, s0
	ds_bpermute_b32 v29, v22, v28
	ds_bpermute_b32 v31, v22, v27
	;; [unrolled: 1-line block ×3, first 2 shown]
	s_mov_b32 s4, exec_lo
	s_waitcnt lgkmcnt(2)
	v_cmp_lt_f32_e64 s3, v28, v29
	v_cmpx_nlt_f32_e32 v28, v29
	s_cbranch_execz .LBB325_16
; %bb.15:                               ;   in Loop: Header=BB325_10 Depth=1
	v_cmp_eq_f32_e64 s0, v28, v29
	s_waitcnt lgkmcnt(0)
	v_cmp_lt_i32_e64 s1, v30, v26
	s_delay_alu instid0(VALU_DEP_1) | instskip(SKIP_2) | instid1(SALU_CYCLE_1)
	s_and_b32 s0, s0, s1
	s_and_not1_b32 s1, s3, exec_lo
	s_and_b32 s0, s0, exec_lo
	s_or_b32 s3, s1, s0
.LBB325_16:                             ;   in Loop: Header=BB325_10 Depth=1
	s_or_b32 exec_lo, exec_lo, s4
	s_delay_alu instid0(VALU_DEP_2)
	s_and_saveexec_b32 s0, s3
	s_cbranch_execz .LBB325_18
; %bb.17:                               ;   in Loop: Header=BB325_10 Depth=1
	s_waitcnt lgkmcnt(1)
	v_dual_mov_b32 v27, v31 :: v_dual_mov_b32 v28, v29
	s_waitcnt lgkmcnt(0)
	v_mov_b32_e32 v26, v30
.LBB325_18:                             ;   in Loop: Header=BB325_10 Depth=1
	s_or_b32 exec_lo, exec_lo, s0
	ds_bpermute_b32 v29, v23, v28
	s_waitcnt lgkmcnt(2)
	ds_bpermute_b32 v31, v23, v27
	s_waitcnt lgkmcnt(2)
	ds_bpermute_b32 v30, v23, v26
	s_mov_b32 s4, exec_lo
	s_waitcnt lgkmcnt(2)
	v_cmp_lt_f32_e64 s3, v28, v29
	v_cmpx_nlt_f32_e32 v28, v29
	s_cbranch_execz .LBB325_20
; %bb.19:                               ;   in Loop: Header=BB325_10 Depth=1
	v_cmp_eq_f32_e64 s0, v28, v29
	s_waitcnt lgkmcnt(0)
	v_cmp_lt_i32_e64 s1, v30, v26
	s_delay_alu instid0(VALU_DEP_1) | instskip(SKIP_2) | instid1(SALU_CYCLE_1)
	s_and_b32 s0, s0, s1
	s_and_not1_b32 s1, s3, exec_lo
	s_and_b32 s0, s0, exec_lo
	s_or_b32 s3, s1, s0
.LBB325_20:                             ;   in Loop: Header=BB325_10 Depth=1
	s_or_b32 exec_lo, exec_lo, s4
	s_delay_alu instid0(VALU_DEP_2)
	s_and_saveexec_b32 s0, s3
	s_cbranch_execz .LBB325_22
; %bb.21:                               ;   in Loop: Header=BB325_10 Depth=1
	s_waitcnt lgkmcnt(1)
	v_dual_mov_b32 v27, v31 :: v_dual_mov_b32 v28, v29
	s_waitcnt lgkmcnt(0)
	v_mov_b32_e32 v26, v30
.LBB325_22:                             ;   in Loop: Header=BB325_10 Depth=1
	s_or_b32 exec_lo, exec_lo, s0
	s_waitcnt lgkmcnt(1)
	ds_bpermute_b32 v31, v24, v28
	ds_bpermute_b32 v29, v24, v27
	s_waitcnt lgkmcnt(2)
	ds_bpermute_b32 v30, v24, v26
	s_mov_b32 s4, exec_lo
	s_waitcnt lgkmcnt(2)
	v_cmp_lt_f32_e64 s3, v28, v31
	v_cmpx_nlt_f32_e32 v28, v31
	s_cbranch_execnz .LBB325_26
; %bb.23:                               ;   in Loop: Header=BB325_10 Depth=1
	s_or_b32 exec_lo, exec_lo, s4
	s_delay_alu instid0(VALU_DEP_2)
	s_and_saveexec_b32 s0, s3
	s_cbranch_execnz .LBB325_27
.LBB325_24:                             ;   in Loop: Header=BB325_10 Depth=1
	s_or_b32 exec_lo, exec_lo, s0
	s_and_saveexec_b32 s3, s2
	s_cbranch_execnz .LBB325_28
.LBB325_25:                             ;   in Loop: Header=BB325_10 Depth=1
	s_or_b32 exec_lo, exec_lo, s3
	s_add_i32 s6, s6, 1
	s_delay_alu instid0(SALU_CYCLE_1)
	s_cmp_ge_i32 s6, s8
	s_cbranch_scc1 .LBB325_9
	s_branch .LBB325_29
.LBB325_26:                             ;   in Loop: Header=BB325_10 Depth=1
	v_cmp_eq_f32_e64 s0, v28, v31
	s_waitcnt lgkmcnt(0)
	v_cmp_lt_i32_e64 s1, v30, v26
	s_delay_alu instid0(VALU_DEP_1) | instskip(SKIP_2) | instid1(SALU_CYCLE_1)
	s_and_b32 s0, s0, s1
	s_and_not1_b32 s1, s3, exec_lo
	s_and_b32 s0, s0, exec_lo
	s_or_b32 s3, s1, s0
	s_or_b32 exec_lo, exec_lo, s4
	s_and_saveexec_b32 s0, s3
	s_cbranch_execz .LBB325_24
.LBB325_27:                             ;   in Loop: Header=BB325_10 Depth=1
	s_waitcnt lgkmcnt(0)
	v_dual_mov_b32 v26, v30 :: v_dual_mov_b32 v27, v29
	s_or_b32 exec_lo, exec_lo, s0
	s_and_saveexec_b32 s3, s2
	s_cbranch_execz .LBB325_25
.LBB325_28:                             ;   in Loop: Header=BB325_10 Depth=1
	s_delay_alu instid0(VALU_DEP_1)
	v_dual_add_f32 v35, v19, v27 :: v_dual_add_nc_u32 v28, s6, v20
	v_cmp_le_i32_e64 s0, s9, v26
	v_cmp_gt_i32_e64 s1, s10, v26
	s_waitcnt lgkmcnt(0)
	v_subrev_nc_u32_e32 v30, s9, v26
	v_ashrrev_i32_e32 v29, 31, v28
	v_cndmask_b32_e32 v19, v19, v35, vcc_lo
	s_and_b32 s0, s0, s1
	s_delay_alu instid0(SALU_CYCLE_1) | instskip(NEXT) | instid1(VALU_DEP_2)
	s_and_b32 s0, s19, s0
	v_lshlrev_b64 v[28:29], 2, v[28:29]
	v_cndmask_b32_e64 v34, 0x80, v30, s0
	s_delay_alu instid0(VALU_DEP_2) | instskip(NEXT) | instid1(VALU_DEP_1)
	v_add_co_u32 v30, s0, s16, v28
	v_add_co_ci_u32_e64 v31, s0, s17, v29, s0
	v_add_co_u32 v32, s0, s12, v28
	s_delay_alu instid0(VALU_DEP_1) | instskip(SKIP_1) | instid1(VALU_DEP_1)
	v_add_co_ci_u32_e64 v33, s0, s13, v29, s0
	v_add_co_u32 v28, s0, s14, v28
	v_add_co_ci_u32_e64 v29, s0, s15, v29, s0
	global_store_b32 v[30:31], v27, off
	global_store_b32 v[32:33], v34, off
	;; [unrolled: 1-line block ×3, first 2 shown]
	s_or_b32 exec_lo, exec_lo, s3
	s_add_i32 s6, s6, 1
	s_delay_alu instid0(SALU_CYCLE_1)
	s_cmp_ge_i32 s6, s8
	s_cbranch_scc1 .LBB325_9
.LBB325_29:                             ;   in Loop: Header=BB325_10 Depth=1
	v_ashrrev_i32_e32 v28, 31, v26
	s_mov_b32 s1, exec_lo
	s_delay_alu instid0(VALU_DEP_1) | instskip(NEXT) | instid1(VALU_DEP_1)
	v_lshrrev_b32_e32 v27, 29, v28
	v_add_nc_u32_e32 v27, v26, v27
	s_delay_alu instid0(VALU_DEP_1) | instskip(SKIP_1) | instid1(VALU_DEP_1)
	v_ashrrev_i32_e32 v27, 3, v27
	s_waitcnt lgkmcnt(1)
	v_lshrrev_b32_e32 v29, 28, v27
	s_delay_alu instid0(VALU_DEP_1) | instskip(NEXT) | instid1(VALU_DEP_1)
	v_add_nc_u32_e32 v29, v27, v29
	v_and_b32_e32 v29, -16, v29
	s_delay_alu instid0(VALU_DEP_1) | instskip(NEXT) | instid1(VALU_DEP_1)
	v_sub_nc_u32_e32 v29, v27, v29
	v_cmpx_eq_u32_e64 v17, v29
	s_cbranch_execz .LBB325_8
; %bb.30:                               ;   in Loop: Header=BB325_10 Depth=1
	v_lshrrev_b32_e32 v28, 25, v28
	v_lshlrev_b32_e32 v27, 3, v27
	s_delay_alu instid0(VALU_DEP_2) | instskip(NEXT) | instid1(VALU_DEP_2)
	v_add_nc_u32_e32 v28, v26, v28
	v_sub_nc_u32_e32 v26, v26, v27
	s_delay_alu instid0(VALU_DEP_2) | instskip(NEXT) | instid1(VALU_DEP_1)
	v_ashrrev_i32_e32 v27, 7, v28
	v_lshl_add_u32 v26, v27, 3, v26
	s_delay_alu instid0(VALU_DEP_1) | instskip(NEXT) | instid1(VALU_DEP_1)
	v_cmp_ne_u32_e64 s0, 7, v26
	v_cndmask_b32_e64 v15, 0xc61c4000, v15, s0
	v_cmp_ne_u32_e64 s0, 6, v26
	s_delay_alu instid0(VALU_DEP_1) | instskip(SKIP_1) | instid1(VALU_DEP_1)
	v_cndmask_b32_e64 v14, 0xc61c4000, v14, s0
	v_cmp_ne_u32_e64 s0, 5, v26
	v_cndmask_b32_e64 v13, 0xc61c4000, v13, s0
	v_cmp_ne_u32_e64 s0, 4, v26
	s_delay_alu instid0(VALU_DEP_1) | instskip(SKIP_1) | instid1(VALU_DEP_1)
	v_cndmask_b32_e64 v12, 0xc61c4000, v12, s0
	v_cmp_ne_u32_e64 s0, 3, v26
	v_cndmask_b32_e64 v11, 0xc61c4000, v11, s0
	v_cmp_ne_u32_e64 s0, 2, v26
	s_delay_alu instid0(VALU_DEP_1) | instskip(SKIP_1) | instid1(VALU_DEP_1)
	v_cndmask_b32_e64 v10, 0xc61c4000, v10, s0
	v_cmp_ne_u32_e64 s0, 1, v26
	v_cndmask_b32_e64 v9, 0xc61c4000, v9, s0
	v_cmp_ne_u32_e64 s0, 0, v26
	s_delay_alu instid0(VALU_DEP_1)
	v_cndmask_b32_e64 v8, 0xc61c4000, v8, s0
	s_branch .LBB325_8
.LBB325_31:
                                        ; implicit-def: $vgpr8_vgpr9_vgpr10_vgpr11_vgpr12_vgpr13_vgpr14_vgpr15
	s_and_not1_b32 vcc_lo, exec_lo, s9
	s_cbranch_vccz .LBB325_5
	s_branch .LBB325_6
.LBB325_32:
	v_mov_b32_e32 v19, 0
.LBB325_33:
	v_cmp_eq_u32_e64 s0, 0, v17
	s_delay_alu instid0(VALU_DEP_1) | instskip(NEXT) | instid1(SALU_CYCLE_1)
	s_and_b32 s0, s0, vcc_lo
	s_and_b32 exec_lo, exec_lo, s0
	s_cbranch_execz .LBB325_37
; %bb.34:
	s_and_not1_b32 vcc_lo, exec_lo, s5
	s_cbranch_vccnz .LBB325_37
; %bb.35:
	v_mul_lo_u32 v0, v16, s8
	v_cmp_lt_f32_e32 vcc_lo, 0, v19
	v_cndmask_b32_e32 v2, 1.0, v19, vcc_lo
	s_delay_alu instid0(VALU_DEP_3) | instskip(NEXT) | instid1(VALU_DEP_1)
	v_ashrrev_i32_e32 v1, 31, v0
	v_lshlrev_b64 v[0:1], 2, v[0:1]
	s_delay_alu instid0(VALU_DEP_1) | instskip(NEXT) | instid1(VALU_DEP_2)
	v_add_co_u32 v0, vcc_lo, s16, v0
	v_add_co_ci_u32_e32 v1, vcc_lo, s17, v1, vcc_lo
	.p2align	6
.LBB325_36:                             ; =>This Inner Loop Header: Depth=1
	global_load_b32 v3, v[0:1], off
	s_add_i32 s8, s8, -1
	s_delay_alu instid0(SALU_CYCLE_1) | instskip(SKIP_3) | instid1(VALU_DEP_2)
	s_cmp_lg_u32 s8, 0
	s_waitcnt vmcnt(0)
	v_div_scale_f32 v4, null, v2, v2, v3
	v_div_scale_f32 v7, vcc_lo, v3, v2, v3
	v_rcp_f32_e32 v5, v4
	s_waitcnt_depctr 0xfff
	v_fma_f32 v6, -v4, v5, 1.0
	s_delay_alu instid0(VALU_DEP_1) | instskip(NEXT) | instid1(VALU_DEP_1)
	v_fmac_f32_e32 v5, v6, v5
	v_mul_f32_e32 v6, v7, v5
	s_delay_alu instid0(VALU_DEP_1) | instskip(NEXT) | instid1(VALU_DEP_1)
	v_fma_f32 v8, -v4, v6, v7
	v_fmac_f32_e32 v6, v8, v5
	s_delay_alu instid0(VALU_DEP_1) | instskip(NEXT) | instid1(VALU_DEP_1)
	v_fma_f32 v4, -v4, v6, v7
	v_div_fmas_f32 v4, v4, v5, v6
	s_delay_alu instid0(VALU_DEP_1)
	v_div_fixup_f32 v3, v4, v2, v3
	global_store_b32 v[0:1], v3, off
	v_add_co_u32 v0, vcc_lo, v0, 4
	v_add_co_ci_u32_e32 v1, vcc_lo, 0, v1, vcc_lo
	s_cbranch_scc1 .LBB325_36
.LBB325_37:
	s_nop 0
	s_sendmsg sendmsg(MSG_DEALLOC_VGPRS)
	s_endpgm
	.section	.rodata,"a",@progbits
	.p2align	6, 0x0
	.amdhsa_kernel _ZN4vllm3moe10topkGatingILi8ELi128ELi4ELi16ELi32Ei14__hip_bfloat16LNS0_11ScoringFuncE1EEEvPKT5_PKbPfiPT4_PiiiibPKf
		.amdhsa_group_segment_fixed_size 0
		.amdhsa_private_segment_fixed_size 0
		.amdhsa_kernarg_size 72
		.amdhsa_user_sgpr_count 15
		.amdhsa_user_sgpr_dispatch_ptr 0
		.amdhsa_user_sgpr_queue_ptr 0
		.amdhsa_user_sgpr_kernarg_segment_ptr 1
		.amdhsa_user_sgpr_dispatch_id 0
		.amdhsa_user_sgpr_private_segment_size 0
		.amdhsa_wavefront_size32 1
		.amdhsa_uses_dynamic_stack 0
		.amdhsa_enable_private_segment 0
		.amdhsa_system_sgpr_workgroup_id_x 1
		.amdhsa_system_sgpr_workgroup_id_y 0
		.amdhsa_system_sgpr_workgroup_id_z 0
		.amdhsa_system_sgpr_workgroup_info 0
		.amdhsa_system_vgpr_workitem_id 1
		.amdhsa_next_free_vgpr 51
		.amdhsa_next_free_sgpr 20
		.amdhsa_reserve_vcc 1
		.amdhsa_float_round_mode_32 0
		.amdhsa_float_round_mode_16_64 0
		.amdhsa_float_denorm_mode_32 3
		.amdhsa_float_denorm_mode_16_64 3
		.amdhsa_dx10_clamp 1
		.amdhsa_ieee_mode 1
		.amdhsa_fp16_overflow 0
		.amdhsa_workgroup_processor_mode 1
		.amdhsa_memory_ordered 1
		.amdhsa_forward_progress 0
		.amdhsa_shared_vgpr_count 0
		.amdhsa_exception_fp_ieee_invalid_op 0
		.amdhsa_exception_fp_denorm_src 0
		.amdhsa_exception_fp_ieee_div_zero 0
		.amdhsa_exception_fp_ieee_overflow 0
		.amdhsa_exception_fp_ieee_underflow 0
		.amdhsa_exception_fp_ieee_inexact 0
		.amdhsa_exception_int_div_zero 0
	.end_amdhsa_kernel
	.section	.text._ZN4vllm3moe10topkGatingILi8ELi128ELi4ELi16ELi32Ei14__hip_bfloat16LNS0_11ScoringFuncE1EEEvPKT5_PKbPfiPT4_PiiiibPKf,"axG",@progbits,_ZN4vllm3moe10topkGatingILi8ELi128ELi4ELi16ELi32Ei14__hip_bfloat16LNS0_11ScoringFuncE1EEEvPKT5_PKbPfiPT4_PiiiibPKf,comdat
.Lfunc_end325:
	.size	_ZN4vllm3moe10topkGatingILi8ELi128ELi4ELi16ELi32Ei14__hip_bfloat16LNS0_11ScoringFuncE1EEEvPKT5_PKbPfiPT4_PiiiibPKf, .Lfunc_end325-_ZN4vllm3moe10topkGatingILi8ELi128ELi4ELi16ELi32Ei14__hip_bfloat16LNS0_11ScoringFuncE1EEEvPKT5_PKbPfiPT4_PiiiibPKf
                                        ; -- End function
	.section	.AMDGPU.csdata,"",@progbits
; Kernel info:
; codeLenInByte = 3100
; NumSgprs: 22
; NumVgprs: 51
; ScratchSize: 0
; MemoryBound: 0
; FloatMode: 240
; IeeeMode: 1
; LDSByteSize: 0 bytes/workgroup (compile time only)
; SGPRBlocks: 2
; VGPRBlocks: 6
; NumSGPRsForWavesPerEU: 22
; NumVGPRsForWavesPerEU: 51
; Occupancy: 16
; WaveLimiterHint : 0
; COMPUTE_PGM_RSRC2:SCRATCH_EN: 0
; COMPUTE_PGM_RSRC2:USER_SGPR: 15
; COMPUTE_PGM_RSRC2:TRAP_HANDLER: 0
; COMPUTE_PGM_RSRC2:TGID_X_EN: 1
; COMPUTE_PGM_RSRC2:TGID_Y_EN: 0
; COMPUTE_PGM_RSRC2:TGID_Z_EN: 0
; COMPUTE_PGM_RSRC2:TIDIG_COMP_CNT: 1
	.section	.text._ZN4vllm3moe10topkGatingILi8ELi256ELi4ELi16ELi64Ei14__hip_bfloat16LNS0_11ScoringFuncE1EEEvPKT5_PKbPfiPT4_PiiiibPKf,"axG",@progbits,_ZN4vllm3moe10topkGatingILi8ELi256ELi4ELi16ELi64Ei14__hip_bfloat16LNS0_11ScoringFuncE1EEEvPKT5_PKbPfiPT4_PiiiibPKf,comdat
	.protected	_ZN4vllm3moe10topkGatingILi8ELi256ELi4ELi16ELi64Ei14__hip_bfloat16LNS0_11ScoringFuncE1EEEvPKT5_PKbPfiPT4_PiiiibPKf ; -- Begin function _ZN4vllm3moe10topkGatingILi8ELi256ELi4ELi16ELi64Ei14__hip_bfloat16LNS0_11ScoringFuncE1EEEvPKT5_PKbPfiPT4_PiiiibPKf
	.globl	_ZN4vllm3moe10topkGatingILi8ELi256ELi4ELi16ELi64Ei14__hip_bfloat16LNS0_11ScoringFuncE1EEEvPKT5_PKbPfiPT4_PiiiibPKf
	.p2align	8
	.type	_ZN4vllm3moe10topkGatingILi8ELi256ELi4ELi16ELi64Ei14__hip_bfloat16LNS0_11ScoringFuncE1EEEvPKT5_PKbPfiPT4_PiiiibPKf,@function
_ZN4vllm3moe10topkGatingILi8ELi256ELi4ELi16ELi64Ei14__hip_bfloat16LNS0_11ScoringFuncE1EEEvPKT5_PKbPfiPT4_PiiiibPKf: ; @_ZN4vllm3moe10topkGatingILi8ELi256ELi4ELi16ELi64Ei14__hip_bfloat16LNS0_11ScoringFuncE1EEEvPKT5_PKbPfiPT4_PiiiibPKf
; %bb.0:
	s_load_b32 s18, s[0:1], 0x18
	v_bfe_u32 v1, v0, 10, 10
	v_and_b32_e32 v0, 0x3ff, v0
	s_lshl_b32 s2, s15, 3
	s_delay_alu instid0(VALU_DEP_2) | instskip(NEXT) | instid1(VALU_DEP_2)
	v_lshlrev_b32_e32 v1, 1, v1
	v_lshrrev_b32_e32 v2, 5, v0
	s_delay_alu instid0(VALU_DEP_1) | instskip(SKIP_2) | instid1(VALU_DEP_1)
	v_add3_u32 v16, s2, v1, v2
	s_mov_b32 s2, exec_lo
	s_waitcnt lgkmcnt(0)
	v_cmpx_gt_i32_e64 s18, v16
	s_cbranch_execz .LBB326_41
; %bb.1:
	s_clause 0x1
	s_load_b128 s[4:7], s[0:1], 0x0
	s_load_b64 s[16:17], s[0:1], 0x10
	s_mov_b32 s9, -1
	s_mov_b32 s19, -1
	s_waitcnt lgkmcnt(0)
	s_cmp_eq_u64 s[6:7], 0
	s_cbranch_scc1 .LBB326_3
; %bb.2:
	v_ashrrev_i32_e32 v2, 31, v16
	v_add_co_u32 v1, vcc_lo, s6, v16
	s_delay_alu instid0(VALU_DEP_2) | instskip(SKIP_3) | instid1(VALU_DEP_1)
	v_add_co_ci_u32_e32 v2, vcc_lo, s7, v2, vcc_lo
	global_load_u8 v1, v[1:2], off
	s_waitcnt vmcnt(0)
	v_and_b32_e32 v1, 1, v1
	v_cmp_eq_u32_e32 vcc_lo, 1, v1
	s_xor_b32 s2, vcc_lo, -1
	s_delay_alu instid0(SALU_CYCLE_1)
	s_or_not1_b32 s19, s2, exec_lo
.LBB326_3:
	v_lshlrev_b32_e32 v1, 8, v16
	v_and_b32_e32 v17, 31, v0
	s_load_b64 s[10:11], s[0:1], 0x40
	s_delay_alu instid0(VALU_DEP_2) | instskip(NEXT) | instid1(VALU_DEP_1)
	v_ashrrev_i32_e32 v2, 31, v1
	v_lshlrev_b64 v[0:1], 1, v[1:2]
	s_delay_alu instid0(VALU_DEP_3) | instskip(NEXT) | instid1(VALU_DEP_2)
	v_lshlrev_b32_e32 v2, 4, v17
	v_add_co_u32 v0, vcc_lo, s4, v0
	s_delay_alu instid0(VALU_DEP_3) | instskip(NEXT) | instid1(VALU_DEP_2)
	v_add_co_ci_u32_e32 v1, vcc_lo, s5, v1, vcc_lo
	v_add_co_u32 v0, vcc_lo, v0, v2
	s_delay_alu instid0(VALU_DEP_2)
	v_add_co_ci_u32_e32 v1, vcc_lo, 0, v1, vcc_lo
	s_waitcnt lgkmcnt(0)
	s_cmp_eq_u64 s[10:11], 0
	global_load_b128 v[0:3], v[0:1], off
	s_waitcnt vmcnt(0)
	v_lshlrev_b32_e32 v5, 16, v1
	s_delay_alu instid0(VALU_DEP_1) | instskip(NEXT) | instid1(VALU_DEP_1)
	v_dual_mul_f32 v5, 0xbfb8aa3b, v5 :: v_dual_lshlrev_b32 v4, 16, v0
	v_mul_f32_e32 v4, 0xbfb8aa3b, v4
	s_delay_alu instid0(VALU_DEP_2) | instskip(NEXT) | instid1(VALU_DEP_1)
	v_exp_f32_e32 v5, v5
	v_exp_f32_e32 v4, v4
	v_and_b32_e32 v1, 0xffff0000, v1
	s_waitcnt_depctr 0xfff
	v_dual_add_f32 v5, 1.0, v5 :: v_dual_and_b32 v0, 0xffff0000, v0
	v_add_f32_e32 v4, 1.0, v4
	v_dual_mul_f32 v1, 0xbfb8aa3b, v1 :: v_dual_lshlrev_b32 v6, 16, v2
	s_delay_alu instid0(VALU_DEP_3) | instskip(NEXT) | instid1(VALU_DEP_4)
	v_dual_mul_f32 v0, 0xbfb8aa3b, v0 :: v_dual_lshlrev_b32 v7, 16, v3
	v_div_scale_f32 v12, null, v5, v5, 1.0
	s_delay_alu instid0(VALU_DEP_3) | instskip(SKIP_1) | instid1(VALU_DEP_3)
	v_exp_f32_e32 v1, v1
	v_and_b32_e32 v2, 0xffff0000, v2
	v_exp_f32_e32 v0, v0
	v_and_b32_e32 v3, 0xffff0000, v3
	v_dual_mul_f32 v6, 0xbfb8aa3b, v6 :: v_dual_mul_f32 v7, 0xbfb8aa3b, v7
	v_rcp_f32_e32 v28, v12
	v_div_scale_f32 v13, s3, 1.0, v5, 1.0
	s_delay_alu instid0(VALU_DEP_2) | instskip(SKIP_1) | instid1(TRANS32_DEP_3)
	v_exp_f32_e32 v6, v6
	v_dual_add_f32 v1, 1.0, v1 :: v_dual_mul_f32 v2, 0xbfb8aa3b, v2
	v_dual_add_f32 v0, 1.0, v0 :: v_dual_mul_f32 v3, 0xbfb8aa3b, v3
	v_lshlrev_b32_e32 v18, 3, v17
	v_exp_f32_e32 v7, v7
	s_delay_alu instid0(VALU_DEP_3) | instskip(NEXT) | instid1(VALU_DEP_2)
	v_exp_f32_e32 v2, v2
	v_div_scale_f32 v10, null, v0, v0, 1.0
	v_exp_f32_e32 v3, v3
	v_add_f32_e32 v6, 1.0, v6
	v_div_scale_f32 v14, null, v1, v1, 1.0
	s_delay_alu instid0(VALU_DEP_3) | instskip(SKIP_1) | instid1(TRANS32_DEP_3)
	v_rcp_f32_e32 v27, v10
	v_fma_f32 v37, -v12, v28, 1.0
	v_dual_add_f32 v7, 1.0, v7 :: v_dual_add_f32 v8, 1.0, v2
	v_div_scale_f32 v2, null, v4, v4, 1.0
	s_delay_alu instid0(TRANS32_DEP_2) | instskip(SKIP_1) | instid1(VALU_DEP_4)
	v_add_f32_e32 v9, 1.0, v3
	v_div_scale_f32 v19, null, v6, v6, 1.0
	v_div_scale_f32 v21, null, v8, v8, 1.0
	s_delay_alu instid0(VALU_DEP_4) | instskip(NEXT) | instid1(VALU_DEP_2)
	v_rcp_f32_e32 v26, v2
	v_rcp_f32_e32 v30, v19
	v_rcp_f32_e32 v29, v14
	s_delay_alu instid0(VALU_DEP_1)
	v_rcp_f32_e32 v31, v21
	v_div_scale_f32 v23, null, v7, v7, 1.0
	v_fma_f32 v36, -v10, v27, 1.0
	v_div_scale_f32 v3, vcc_lo, 1.0, v4, 1.0
	v_div_scale_f32 v11, s2, 1.0, v0, 1.0
	v_fma_f32 v35, -v2, v26, 1.0
	s_delay_alu instid0(TRANS32_DEP_3) | instskip(NEXT) | instid1(TRANS32_DEP_1)
	v_fma_f32 v39, -v19, v30, 1.0
	v_fma_f32 v40, -v21, v31, 1.0
	s_delay_alu instid0(TRANS32_DEP_2) | instskip(SKIP_3) | instid1(VALU_DEP_3)
	v_fma_f32 v38, -v14, v29, 1.0
	v_div_scale_f32 v25, null, v9, v9, 1.0
	v_dual_fmac_f32 v26, v35, v26 :: v_dual_fmac_f32 v27, v36, v27
	v_rcp_f32_e32 v32, v23
	v_dual_fmac_f32 v28, v37, v28 :: v_dual_fmac_f32 v29, v38, v29
	v_div_scale_f32 v22, s6, 1.0, v8, 1.0
	v_dual_fmac_f32 v30, v39, v30 :: v_dual_fmac_f32 v31, v40, v31
	v_mul_f32_e32 v35, v3, v26
	v_div_scale_f32 v15, s4, 1.0, v1, 1.0
	v_rcp_f32_e32 v33, v25
	s_delay_alu instid0(VALU_DEP_3)
	v_mul_f32_e32 v40, v22, v31
	v_dual_mul_f32 v36, v11, v27 :: v_dual_mul_f32 v37, v13, v28
	v_div_scale_f32 v20, s5, 1.0, v6, 1.0
	v_fma_f32 v43, -v2, v35, v3
	v_mul_f32_e32 v38, v15, v29
	v_fma_f32 v41, -v23, v32, 1.0
	s_delay_alu instid0(VALU_DEP_4)
	v_mul_f32_e32 v39, v20, v30
	v_fma_f32 v44, -v10, v36, v11
	v_fma_f32 v45, -v12, v37, v13
	v_fmac_f32_e32 v35, v43, v26
	v_fma_f32 v46, -v14, v38, v15
	v_div_scale_f32 v24, s7, 1.0, v7, 1.0
	v_fmac_f32_e32 v36, v44, v27
	v_fma_f32 v42, -v25, v33, 1.0
	v_fmac_f32_e32 v32, v41, v32
	v_fma_f32 v47, -v19, v39, v20
	v_dual_fmac_f32 v37, v45, v28 :: v_dual_fmac_f32 v38, v46, v29
	v_fma_f32 v48, -v21, v40, v22
	v_fma_f32 v2, -v2, v35, v3
	v_div_scale_f32 v34, s8, 1.0, v9, 1.0
	v_fmac_f32_e32 v33, v42, v33
	v_mul_f32_e32 v41, v24, v32
	v_fma_f32 v3, -v10, v36, v11
	v_dual_fmac_f32 v39, v47, v30 :: v_dual_fmac_f32 v40, v48, v31
	v_fma_f32 v10, -v12, v37, v13
	v_div_fmas_f32 v2, v2, v26, v35
	s_mov_b32 vcc_lo, s2
	v_fma_f32 v11, -v14, v38, v15
	v_mul_f32_e32 v42, v34, v33
	v_fma_f32 v49, -v23, v41, v24
	v_div_fmas_f32 v3, v3, v27, v36
	s_mov_b32 vcc_lo, s3
	v_fma_f32 v12, -v19, v39, v20
	v_div_fmas_f32 v10, v10, v28, v37
	s_mov_b32 vcc_lo, s4
	v_fma_f32 v13, -v21, v40, v22
	v_div_fixup_f32 v2, v2, v4, 1.0
	v_div_fmas_f32 v4, v11, v29, v38
	s_mov_b32 vcc_lo, s5
	v_fma_f32 v50, -v25, v42, v34
	v_fmac_f32_e32 v41, v49, v32
	v_div_fmas_f32 v11, v12, v30, v39
	s_mov_b32 vcc_lo, s6
	v_div_fixup_f32 v5, v10, v5, 1.0
	v_fmac_f32_e32 v42, v50, v33
	v_div_fmas_f32 v10, v13, v31, v40
	v_cmp_class_f32_e64 vcc_lo, v2, 0x1f8
	v_fma_f32 v14, -v23, v41, v24
	v_div_fixup_f32 v3, v3, v0, 1.0
	v_fma_f32 v15, -v25, v42, v34
	v_div_fixup_f32 v4, v4, v1, 1.0
	v_cndmask_b32_e32 v0, 0, v2, vcc_lo
	s_mov_b32 vcc_lo, s7
	v_div_fixup_f32 v6, v11, v6, 1.0
	v_div_fmas_f32 v12, v14, v32, v41
	v_cmp_class_f32_e64 vcc_lo, v3, 0x1f8
	s_delay_alu instid0(VALU_DEP_2)
	v_div_fixup_f32 v7, v12, v7, 1.0
	v_cndmask_b32_e32 v1, 0, v3, vcc_lo
	s_mov_b32 vcc_lo, s8
	v_div_fmas_f32 v11, v15, v33, v42
	v_cmp_class_f32_e64 vcc_lo, v5, 0x1f8
	v_cndmask_b32_e32 v2, 0, v5, vcc_lo
	v_cmp_class_f32_e64 vcc_lo, v4, 0x1f8
	v_div_fixup_f32 v5, v10, v8, 1.0
	v_div_fixup_f32 v8, v11, v9, 1.0
	v_cndmask_b32_e32 v3, 0, v4, vcc_lo
	v_cmp_class_f32_e64 vcc_lo, v6, 0x1f8
	v_cndmask_b32_e32 v4, 0, v6, vcc_lo
	v_cmp_class_f32_e64 vcc_lo, v5, 0x1f8
	;; [unrolled: 2-line block ×4, first 2 shown]
	v_cndmask_b32_e32 v7, 0, v8, vcc_lo
	s_cbranch_scc1 .LBB326_35
; %bb.4:
	v_lshlrev_b32_e32 v12, 2, v18
	s_clause 0x1
	global_load_b128 v[8:11], v12, s[10:11]
	global_load_b128 v[12:15], v12, s[10:11] offset:16
	s_waitcnt vmcnt(1)
	v_dual_add_f32 v9, v9, v1 :: v_dual_add_f32 v8, v8, v0
	v_dual_add_f32 v11, v11, v3 :: v_dual_add_f32 v10, v10, v2
	s_waitcnt vmcnt(0)
	v_dual_add_f32 v13, v13, v5 :: v_dual_add_f32 v12, v12, v4
	v_dual_add_f32 v15, v15, v7 :: v_dual_add_f32 v14, v14, v6
	s_cbranch_execnz .LBB326_6
.LBB326_5:
	v_dual_mov_b32 v15, v7 :: v_dual_mov_b32 v14, v6
	v_dual_mov_b32 v13, v5 :: v_dual_mov_b32 v12, v4
	;; [unrolled: 1-line block ×4, first 2 shown]
.LBB326_6:
	s_load_b128 s[8:11], s[0:1], 0x30
	v_cmp_eq_u32_e64 s2, 0, v17
	s_mov_b32 s6, 0
	s_waitcnt lgkmcnt(0)
	s_bitcmp1_b32 s11, 0
	s_cselect_b32 vcc_lo, -1, 0
	s_cmp_gt_i32 s8, 0
	s_cselect_b32 s5, -1, 0
	s_cmp_lt_i32 s8, 1
	s_cbranch_scc1 .LBB326_36
; %bb.7:
	v_mbcnt_lo_u32_b32 v20, -1, 0
	s_load_b128 s[12:15], s[0:1], 0x20
	v_mul_lo_u32 v19, v16, s8
	v_mov_b32_e32 v26, v16
	s_delay_alu instid0(VALU_DEP_3)
	v_xor_b32_e32 v21, 16, v20
	v_xor_b32_e32 v22, 8, v20
	v_xor_b32_e32 v23, 4, v20
	v_xor_b32_e32 v24, 2, v20
	v_xor_b32_e32 v25, 1, v20
	v_cmp_gt_i32_e64 s0, 32, v21
	s_delay_alu instid0(VALU_DEP_1) | instskip(SKIP_1) | instid1(VALU_DEP_2)
	v_cndmask_b32_e64 v21, v20, v21, s0
	v_cmp_gt_i32_e64 s0, 32, v22
	v_lshlrev_b32_e32 v21, 2, v21
	s_delay_alu instid0(VALU_DEP_2) | instskip(SKIP_1) | instid1(VALU_DEP_2)
	v_cndmask_b32_e64 v22, v20, v22, s0
	v_cmp_gt_i32_e64 s0, 32, v23
	v_lshlrev_b32_e32 v22, 2, v22
	s_delay_alu instid0(VALU_DEP_2) | instskip(SKIP_1) | instid1(VALU_DEP_2)
	;; [unrolled: 4-line block ×3, first 2 shown]
	v_cndmask_b32_e64 v24, v20, v24, s0
	v_cmp_gt_i32_e64 s0, 32, v25
	v_lshlrev_b32_e32 v24, 2, v24
	s_delay_alu instid0(VALU_DEP_2) | instskip(NEXT) | instid1(VALU_DEP_1)
	v_cndmask_b32_e64 v20, v20, v25, s0
	v_dual_mov_b32 v20, 0 :: v_dual_lshlrev_b32 v25, 2, v20
	s_branch .LBB326_10
.LBB326_8:                              ;   in Loop: Header=BB326_10 Depth=1
	s_or_b32 exec_lo, exec_lo, s1
.LBB326_9:                              ;   in Loop: Header=BB326_10 Depth=1
	v_add_nc_u32_e32 v26, s18, v26
	s_cmp_eq_u32 s8, s6
	s_cbranch_scc1 .LBB326_37
.LBB326_10:                             ; =>This Inner Loop Header: Depth=1
	v_cmp_gt_f32_e64 s0, v9, v8
	s_delay_alu instid0(VALU_DEP_1) | instskip(SKIP_2) | instid1(VALU_DEP_3)
	v_cndmask_b32_e64 v28, v8, v9, s0
	v_cndmask_b32_e64 v27, 0, 1, s0
	;; [unrolled: 1-line block ×3, first 2 shown]
	v_cmp_gt_f32_e64 s1, v10, v28
	s_delay_alu instid0(VALU_DEP_1) | instskip(NEXT) | instid1(VALU_DEP_4)
	v_cndmask_b32_e64 v28, v28, v10, s1
	v_cndmask_b32_e64 v27, v27, 2, s1
	s_delay_alu instid0(VALU_DEP_4) | instskip(NEXT) | instid1(VALU_DEP_3)
	v_cndmask_b32_e64 v29, v29, v2, s1
	v_cmp_gt_f32_e64 s3, v11, v28
	s_delay_alu instid0(VALU_DEP_1) | instskip(NEXT) | instid1(VALU_DEP_4)
	v_cndmask_b32_e64 v28, v28, v11, s3
	v_cndmask_b32_e64 v27, v27, 3, s3
	s_delay_alu instid0(VALU_DEP_4) | instskip(NEXT) | instid1(VALU_DEP_3)
	v_cndmask_b32_e64 v29, v29, v3, s3
	v_cmp_gt_f32_e64 s4, v12, v28
	s_delay_alu instid0(VALU_DEP_1) | instskip(NEXT) | instid1(VALU_DEP_4)
	v_cndmask_b32_e64 v28, v28, v12, s4
	v_cndmask_b32_e64 v27, v27, 4, s4
	s_delay_alu instid0(VALU_DEP_4) | instskip(SKIP_1) | instid1(VALU_DEP_3)
	v_cndmask_b32_e64 v29, v29, v4, s4
	s_mov_b32 s4, exec_lo
	v_cmp_gt_f32_e64 s0, v13, v28
	s_delay_alu instid0(VALU_DEP_1) | instskip(SKIP_2) | instid1(VALU_DEP_3)
	v_cndmask_b32_e64 v28, v28, v13, s0
	v_cndmask_b32_e64 v27, v27, 5, s0
	;; [unrolled: 1-line block ×3, first 2 shown]
	v_cmp_gt_f32_e64 s1, v14, v28
	s_delay_alu instid0(VALU_DEP_1) | instskip(NEXT) | instid1(VALU_DEP_4)
	v_cndmask_b32_e64 v28, v28, v14, s1
	v_cndmask_b32_e64 v27, v27, 6, s1
	s_waitcnt lgkmcnt(0)
	v_cndmask_b32_e64 v30, v29, v6, s1
	s_delay_alu instid0(VALU_DEP_3) | instskip(NEXT) | instid1(VALU_DEP_1)
	v_cmp_gt_f32_e64 s0, v15, v28
	v_cndmask_b32_e64 v27, v27, 7, s0
	v_cndmask_b32_e64 v29, v28, v15, s0
	s_delay_alu instid0(VALU_DEP_4) | instskip(NEXT) | instid1(VALU_DEP_3)
	v_cndmask_b32_e64 v28, v30, v7, s0
	v_or_b32_e32 v27, v18, v27
	ds_bpermute_b32 v30, v21, v29
	ds_bpermute_b32 v32, v21, v28
	ds_bpermute_b32 v31, v21, v27
	s_waitcnt lgkmcnt(0)
	v_cmp_lt_f32_e64 s3, v29, v30
	v_cmpx_nlt_f32_e32 v29, v30
; %bb.11:                               ;   in Loop: Header=BB326_10 Depth=1
	v_cmp_eq_f32_e64 s0, v29, v30
	v_cmp_lt_i32_e64 s1, v31, v27
	s_delay_alu instid0(VALU_DEP_1) | instskip(SKIP_2) | instid1(SALU_CYCLE_1)
	s_and_b32 s0, s0, s1
	s_and_not1_b32 s1, s3, exec_lo
	s_and_b32 s0, s0, exec_lo
	s_or_b32 s3, s1, s0
; %bb.12:                               ;   in Loop: Header=BB326_10 Depth=1
	s_or_b32 exec_lo, exec_lo, s4
	s_and_saveexec_b32 s0, s3
; %bb.13:                               ;   in Loop: Header=BB326_10 Depth=1
	v_dual_mov_b32 v28, v32 :: v_dual_mov_b32 v29, v30
	v_mov_b32_e32 v27, v31
; %bb.14:                               ;   in Loop: Header=BB326_10 Depth=1
	s_or_b32 exec_lo, exec_lo, s0
	ds_bpermute_b32 v30, v22, v29
	ds_bpermute_b32 v32, v22, v28
	;; [unrolled: 1-line block ×3, first 2 shown]
	s_mov_b32 s4, exec_lo
	s_waitcnt lgkmcnt(2)
	v_cmp_lt_f32_e64 s3, v29, v30
	v_cmpx_nlt_f32_e32 v29, v30
	s_cbranch_execz .LBB326_16
; %bb.15:                               ;   in Loop: Header=BB326_10 Depth=1
	v_cmp_eq_f32_e64 s0, v29, v30
	s_waitcnt lgkmcnt(0)
	v_cmp_lt_i32_e64 s1, v31, v27
	s_delay_alu instid0(VALU_DEP_1) | instskip(SKIP_2) | instid1(SALU_CYCLE_1)
	s_and_b32 s0, s0, s1
	s_and_not1_b32 s1, s3, exec_lo
	s_and_b32 s0, s0, exec_lo
	s_or_b32 s3, s1, s0
.LBB326_16:                             ;   in Loop: Header=BB326_10 Depth=1
	s_or_b32 exec_lo, exec_lo, s4
	s_delay_alu instid0(VALU_DEP_2)
	s_and_saveexec_b32 s0, s3
	s_cbranch_execz .LBB326_18
; %bb.17:                               ;   in Loop: Header=BB326_10 Depth=1
	s_waitcnt lgkmcnt(1)
	v_dual_mov_b32 v28, v32 :: v_dual_mov_b32 v29, v30
	s_waitcnt lgkmcnt(0)
	v_mov_b32_e32 v27, v31
.LBB326_18:                             ;   in Loop: Header=BB326_10 Depth=1
	s_or_b32 exec_lo, exec_lo, s0
	ds_bpermute_b32 v30, v23, v29
	s_waitcnt lgkmcnt(2)
	ds_bpermute_b32 v32, v23, v28
	s_waitcnt lgkmcnt(2)
	ds_bpermute_b32 v31, v23, v27
	s_mov_b32 s4, exec_lo
	s_waitcnt lgkmcnt(2)
	v_cmp_lt_f32_e64 s3, v29, v30
	v_cmpx_nlt_f32_e32 v29, v30
	s_cbranch_execz .LBB326_20
; %bb.19:                               ;   in Loop: Header=BB326_10 Depth=1
	v_cmp_eq_f32_e64 s0, v29, v30
	s_waitcnt lgkmcnt(0)
	v_cmp_lt_i32_e64 s1, v31, v27
	s_delay_alu instid0(VALU_DEP_1) | instskip(SKIP_2) | instid1(SALU_CYCLE_1)
	s_and_b32 s0, s0, s1
	s_and_not1_b32 s1, s3, exec_lo
	s_and_b32 s0, s0, exec_lo
	s_or_b32 s3, s1, s0
.LBB326_20:                             ;   in Loop: Header=BB326_10 Depth=1
	s_or_b32 exec_lo, exec_lo, s4
	s_delay_alu instid0(VALU_DEP_2)
	s_and_saveexec_b32 s0, s3
	s_cbranch_execz .LBB326_22
; %bb.21:                               ;   in Loop: Header=BB326_10 Depth=1
	s_waitcnt lgkmcnt(1)
	v_dual_mov_b32 v28, v32 :: v_dual_mov_b32 v29, v30
	s_waitcnt lgkmcnt(0)
	v_mov_b32_e32 v27, v31
.LBB326_22:                             ;   in Loop: Header=BB326_10 Depth=1
	s_or_b32 exec_lo, exec_lo, s0
	ds_bpermute_b32 v30, v24, v29
	s_waitcnt lgkmcnt(2)
	ds_bpermute_b32 v32, v24, v28
	s_waitcnt lgkmcnt(2)
	ds_bpermute_b32 v31, v24, v27
	s_mov_b32 s4, exec_lo
	s_waitcnt lgkmcnt(2)
	v_cmp_lt_f32_e64 s3, v29, v30
	v_cmpx_nlt_f32_e32 v29, v30
	s_cbranch_execz .LBB326_24
; %bb.23:                               ;   in Loop: Header=BB326_10 Depth=1
	v_cmp_eq_f32_e64 s0, v29, v30
	s_waitcnt lgkmcnt(0)
	v_cmp_lt_i32_e64 s1, v31, v27
	s_delay_alu instid0(VALU_DEP_1) | instskip(SKIP_2) | instid1(SALU_CYCLE_1)
	s_and_b32 s0, s0, s1
	s_and_not1_b32 s1, s3, exec_lo
	s_and_b32 s0, s0, exec_lo
	s_or_b32 s3, s1, s0
.LBB326_24:                             ;   in Loop: Header=BB326_10 Depth=1
	s_or_b32 exec_lo, exec_lo, s4
	s_delay_alu instid0(VALU_DEP_2)
	s_and_saveexec_b32 s0, s3
	s_cbranch_execz .LBB326_26
; %bb.25:                               ;   in Loop: Header=BB326_10 Depth=1
	s_waitcnt lgkmcnt(1)
	v_dual_mov_b32 v28, v32 :: v_dual_mov_b32 v29, v30
	s_waitcnt lgkmcnt(0)
	v_mov_b32_e32 v27, v31
.LBB326_26:                             ;   in Loop: Header=BB326_10 Depth=1
	s_or_b32 exec_lo, exec_lo, s0
	s_waitcnt lgkmcnt(1)
	ds_bpermute_b32 v32, v25, v29
	ds_bpermute_b32 v30, v25, v28
	s_waitcnt lgkmcnt(2)
	ds_bpermute_b32 v31, v25, v27
	s_mov_b32 s4, exec_lo
	s_waitcnt lgkmcnt(2)
	v_cmp_lt_f32_e64 s3, v29, v32
	v_cmpx_nlt_f32_e32 v29, v32
	s_cbranch_execnz .LBB326_30
; %bb.27:                               ;   in Loop: Header=BB326_10 Depth=1
	s_or_b32 exec_lo, exec_lo, s4
	s_delay_alu instid0(VALU_DEP_2)
	s_and_saveexec_b32 s0, s3
	s_cbranch_execnz .LBB326_31
.LBB326_28:                             ;   in Loop: Header=BB326_10 Depth=1
	s_or_b32 exec_lo, exec_lo, s0
	s_and_saveexec_b32 s3, s2
	s_cbranch_execnz .LBB326_32
.LBB326_29:                             ;   in Loop: Header=BB326_10 Depth=1
	s_or_b32 exec_lo, exec_lo, s3
	s_add_i32 s6, s6, 1
	s_delay_alu instid0(SALU_CYCLE_1)
	s_cmp_ge_i32 s6, s8
	s_cbranch_scc1 .LBB326_9
	s_branch .LBB326_33
.LBB326_30:                             ;   in Loop: Header=BB326_10 Depth=1
	v_cmp_eq_f32_e64 s0, v29, v32
	s_waitcnt lgkmcnt(0)
	v_cmp_lt_i32_e64 s1, v31, v27
	s_delay_alu instid0(VALU_DEP_1) | instskip(SKIP_2) | instid1(SALU_CYCLE_1)
	s_and_b32 s0, s0, s1
	s_and_not1_b32 s1, s3, exec_lo
	s_and_b32 s0, s0, exec_lo
	s_or_b32 s3, s1, s0
	s_or_b32 exec_lo, exec_lo, s4
	s_and_saveexec_b32 s0, s3
	s_cbranch_execz .LBB326_28
.LBB326_31:                             ;   in Loop: Header=BB326_10 Depth=1
	s_waitcnt lgkmcnt(0)
	v_dual_mov_b32 v27, v31 :: v_dual_mov_b32 v28, v30
	s_or_b32 exec_lo, exec_lo, s0
	s_and_saveexec_b32 s3, s2
	s_cbranch_execz .LBB326_29
.LBB326_32:                             ;   in Loop: Header=BB326_10 Depth=1
	s_delay_alu instid0(VALU_DEP_1)
	v_dual_add_f32 v36, v20, v28 :: v_dual_add_nc_u32 v29, s6, v19
	v_cmp_le_i32_e64 s0, s9, v27
	v_cmp_gt_i32_e64 s1, s10, v27
	s_waitcnt lgkmcnt(0)
	v_subrev_nc_u32_e32 v31, s9, v27
	v_ashrrev_i32_e32 v30, 31, v29
	v_cndmask_b32_e32 v20, v20, v36, vcc_lo
	s_and_b32 s0, s0, s1
	s_delay_alu instid0(SALU_CYCLE_1) | instskip(NEXT) | instid1(VALU_DEP_2)
	s_and_b32 s0, s19, s0
	v_lshlrev_b64 v[29:30], 2, v[29:30]
	v_cndmask_b32_e64 v35, 0x100, v31, s0
	s_delay_alu instid0(VALU_DEP_2) | instskip(NEXT) | instid1(VALU_DEP_1)
	v_add_co_u32 v31, s0, s16, v29
	v_add_co_ci_u32_e64 v32, s0, s17, v30, s0
	v_add_co_u32 v33, s0, s12, v29
	s_delay_alu instid0(VALU_DEP_1) | instskip(SKIP_1) | instid1(VALU_DEP_1)
	v_add_co_ci_u32_e64 v34, s0, s13, v30, s0
	v_add_co_u32 v29, s0, s14, v29
	v_add_co_ci_u32_e64 v30, s0, s15, v30, s0
	global_store_b32 v[31:32], v28, off
	global_store_b32 v[33:34], v35, off
	global_store_b32 v[29:30], v26, off
	s_or_b32 exec_lo, exec_lo, s3
	s_add_i32 s6, s6, 1
	s_delay_alu instid0(SALU_CYCLE_1)
	s_cmp_ge_i32 s6, s8
	s_cbranch_scc1 .LBB326_9
.LBB326_33:                             ;   in Loop: Header=BB326_10 Depth=1
	v_ashrrev_i32_e32 v28, 31, v27
	s_mov_b32 s1, exec_lo
	s_delay_alu instid0(VALU_DEP_1) | instskip(NEXT) | instid1(VALU_DEP_1)
	v_lshrrev_b32_e32 v29, 29, v28
	v_add_nc_u32_e32 v29, v27, v29
	s_waitcnt lgkmcnt(1)
	s_delay_alu instid0(VALU_DEP_1) | instskip(SKIP_1) | instid1(VALU_DEP_2)
	v_ashrrev_i32_e32 v30, 31, v29
	v_ashrrev_i32_e32 v29, 3, v29
	v_lshrrev_b32_e32 v30, 27, v30
	s_delay_alu instid0(VALU_DEP_1) | instskip(NEXT) | instid1(VALU_DEP_1)
	v_add_nc_u32_e32 v30, v29, v30
	v_and_b32_e32 v30, 0xffffffe0, v30
	s_delay_alu instid0(VALU_DEP_1) | instskip(NEXT) | instid1(VALU_DEP_1)
	v_sub_nc_u32_e32 v30, v29, v30
	v_cmpx_eq_u32_e64 v17, v30
	s_cbranch_execz .LBB326_8
; %bb.34:                               ;   in Loop: Header=BB326_10 Depth=1
	v_lshrrev_b32_e32 v28, 24, v28
	v_lshlrev_b32_e32 v29, 3, v29
	s_delay_alu instid0(VALU_DEP_2) | instskip(NEXT) | instid1(VALU_DEP_2)
	v_add_nc_u32_e32 v28, v27, v28
	v_sub_nc_u32_e32 v27, v27, v29
	s_delay_alu instid0(VALU_DEP_2) | instskip(NEXT) | instid1(VALU_DEP_1)
	v_ashrrev_i32_e32 v28, 8, v28
	v_lshl_add_u32 v27, v28, 3, v27
	s_delay_alu instid0(VALU_DEP_1) | instskip(NEXT) | instid1(VALU_DEP_1)
	v_cmp_ne_u32_e64 s0, 7, v27
	v_cndmask_b32_e64 v15, 0xc61c4000, v15, s0
	v_cmp_ne_u32_e64 s0, 6, v27
	s_delay_alu instid0(VALU_DEP_1) | instskip(SKIP_1) | instid1(VALU_DEP_1)
	v_cndmask_b32_e64 v14, 0xc61c4000, v14, s0
	v_cmp_ne_u32_e64 s0, 5, v27
	v_cndmask_b32_e64 v13, 0xc61c4000, v13, s0
	v_cmp_ne_u32_e64 s0, 4, v27
	s_delay_alu instid0(VALU_DEP_1) | instskip(SKIP_1) | instid1(VALU_DEP_1)
	v_cndmask_b32_e64 v12, 0xc61c4000, v12, s0
	v_cmp_ne_u32_e64 s0, 3, v27
	v_cndmask_b32_e64 v11, 0xc61c4000, v11, s0
	v_cmp_ne_u32_e64 s0, 2, v27
	s_delay_alu instid0(VALU_DEP_1) | instskip(SKIP_1) | instid1(VALU_DEP_1)
	v_cndmask_b32_e64 v10, 0xc61c4000, v10, s0
	v_cmp_ne_u32_e64 s0, 1, v27
	v_cndmask_b32_e64 v9, 0xc61c4000, v9, s0
	v_cmp_ne_u32_e64 s0, 0, v27
	s_delay_alu instid0(VALU_DEP_1)
	v_cndmask_b32_e64 v8, 0xc61c4000, v8, s0
	s_branch .LBB326_8
.LBB326_35:
                                        ; implicit-def: $vgpr8_vgpr9_vgpr10_vgpr11_vgpr12_vgpr13_vgpr14_vgpr15
	s_and_not1_b32 vcc_lo, exec_lo, s9
	s_cbranch_vccz .LBB326_5
	s_branch .LBB326_6
.LBB326_36:
	v_mov_b32_e32 v20, 0
.LBB326_37:
	v_cmp_eq_u32_e64 s0, 0, v17
	s_delay_alu instid0(VALU_DEP_1) | instskip(NEXT) | instid1(SALU_CYCLE_1)
	s_and_b32 s0, s0, vcc_lo
	s_and_b32 exec_lo, exec_lo, s0
	s_cbranch_execz .LBB326_41
; %bb.38:
	s_and_not1_b32 vcc_lo, exec_lo, s5
	s_cbranch_vccnz .LBB326_41
; %bb.39:
	v_mul_lo_u32 v0, v16, s8
	v_cmp_lt_f32_e32 vcc_lo, 0, v20
	v_cndmask_b32_e32 v2, 1.0, v20, vcc_lo
	s_delay_alu instid0(VALU_DEP_3) | instskip(NEXT) | instid1(VALU_DEP_1)
	v_ashrrev_i32_e32 v1, 31, v0
	v_lshlrev_b64 v[0:1], 2, v[0:1]
	s_delay_alu instid0(VALU_DEP_1) | instskip(NEXT) | instid1(VALU_DEP_2)
	v_add_co_u32 v0, vcc_lo, s16, v0
	v_add_co_ci_u32_e32 v1, vcc_lo, s17, v1, vcc_lo
	.p2align	6
.LBB326_40:                             ; =>This Inner Loop Header: Depth=1
	global_load_b32 v3, v[0:1], off
	s_add_i32 s8, s8, -1
	s_delay_alu instid0(SALU_CYCLE_1) | instskip(SKIP_3) | instid1(VALU_DEP_2)
	s_cmp_lg_u32 s8, 0
	s_waitcnt vmcnt(0)
	v_div_scale_f32 v4, null, v2, v2, v3
	v_div_scale_f32 v7, vcc_lo, v3, v2, v3
	v_rcp_f32_e32 v5, v4
	s_waitcnt_depctr 0xfff
	v_fma_f32 v6, -v4, v5, 1.0
	s_delay_alu instid0(VALU_DEP_1) | instskip(NEXT) | instid1(VALU_DEP_1)
	v_fmac_f32_e32 v5, v6, v5
	v_mul_f32_e32 v6, v7, v5
	s_delay_alu instid0(VALU_DEP_1) | instskip(NEXT) | instid1(VALU_DEP_1)
	v_fma_f32 v8, -v4, v6, v7
	v_fmac_f32_e32 v6, v8, v5
	s_delay_alu instid0(VALU_DEP_1) | instskip(NEXT) | instid1(VALU_DEP_1)
	v_fma_f32 v4, -v4, v6, v7
	v_div_fmas_f32 v4, v4, v5, v6
	s_delay_alu instid0(VALU_DEP_1)
	v_div_fixup_f32 v3, v4, v2, v3
	global_store_b32 v[0:1], v3, off
	v_add_co_u32 v0, vcc_lo, v0, 4
	v_add_co_ci_u32_e32 v1, vcc_lo, 0, v1, vcc_lo
	s_cbranch_scc1 .LBB326_40
.LBB326_41:
	s_nop 0
	s_sendmsg sendmsg(MSG_DEALLOC_VGPRS)
	s_endpgm
	.section	.rodata,"a",@progbits
	.p2align	6, 0x0
	.amdhsa_kernel _ZN4vllm3moe10topkGatingILi8ELi256ELi4ELi16ELi64Ei14__hip_bfloat16LNS0_11ScoringFuncE1EEEvPKT5_PKbPfiPT4_PiiiibPKf
		.amdhsa_group_segment_fixed_size 0
		.amdhsa_private_segment_fixed_size 0
		.amdhsa_kernarg_size 72
		.amdhsa_user_sgpr_count 15
		.amdhsa_user_sgpr_dispatch_ptr 0
		.amdhsa_user_sgpr_queue_ptr 0
		.amdhsa_user_sgpr_kernarg_segment_ptr 1
		.amdhsa_user_sgpr_dispatch_id 0
		.amdhsa_user_sgpr_private_segment_size 0
		.amdhsa_wavefront_size32 1
		.amdhsa_uses_dynamic_stack 0
		.amdhsa_enable_private_segment 0
		.amdhsa_system_sgpr_workgroup_id_x 1
		.amdhsa_system_sgpr_workgroup_id_y 0
		.amdhsa_system_sgpr_workgroup_id_z 0
		.amdhsa_system_sgpr_workgroup_info 0
		.amdhsa_system_vgpr_workitem_id 1
		.amdhsa_next_free_vgpr 51
		.amdhsa_next_free_sgpr 20
		.amdhsa_reserve_vcc 1
		.amdhsa_float_round_mode_32 0
		.amdhsa_float_round_mode_16_64 0
		.amdhsa_float_denorm_mode_32 3
		.amdhsa_float_denorm_mode_16_64 3
		.amdhsa_dx10_clamp 1
		.amdhsa_ieee_mode 1
		.amdhsa_fp16_overflow 0
		.amdhsa_workgroup_processor_mode 1
		.amdhsa_memory_ordered 1
		.amdhsa_forward_progress 0
		.amdhsa_shared_vgpr_count 0
		.amdhsa_exception_fp_ieee_invalid_op 0
		.amdhsa_exception_fp_denorm_src 0
		.amdhsa_exception_fp_ieee_div_zero 0
		.amdhsa_exception_fp_ieee_overflow 0
		.amdhsa_exception_fp_ieee_underflow 0
		.amdhsa_exception_fp_ieee_inexact 0
		.amdhsa_exception_int_div_zero 0
	.end_amdhsa_kernel
	.section	.text._ZN4vllm3moe10topkGatingILi8ELi256ELi4ELi16ELi64Ei14__hip_bfloat16LNS0_11ScoringFuncE1EEEvPKT5_PKbPfiPT4_PiiiibPKf,"axG",@progbits,_ZN4vllm3moe10topkGatingILi8ELi256ELi4ELi16ELi64Ei14__hip_bfloat16LNS0_11ScoringFuncE1EEEvPKT5_PKbPfiPT4_PiiiibPKf,comdat
.Lfunc_end326:
	.size	_ZN4vllm3moe10topkGatingILi8ELi256ELi4ELi16ELi64Ei14__hip_bfloat16LNS0_11ScoringFuncE1EEEvPKT5_PKbPfiPT4_PiiiibPKf, .Lfunc_end326-_ZN4vllm3moe10topkGatingILi8ELi256ELi4ELi16ELi64Ei14__hip_bfloat16LNS0_11ScoringFuncE1EEEvPKT5_PKbPfiPT4_PiiiibPKf
                                        ; -- End function
	.section	.AMDGPU.csdata,"",@progbits
; Kernel info:
; codeLenInByte = 3260
; NumSgprs: 22
; NumVgprs: 51
; ScratchSize: 0
; MemoryBound: 0
; FloatMode: 240
; IeeeMode: 1
; LDSByteSize: 0 bytes/workgroup (compile time only)
; SGPRBlocks: 2
; VGPRBlocks: 6
; NumSGPRsForWavesPerEU: 22
; NumVGPRsForWavesPerEU: 51
; Occupancy: 16
; WaveLimiterHint : 0
; COMPUTE_PGM_RSRC2:SCRATCH_EN: 0
; COMPUTE_PGM_RSRC2:USER_SGPR: 15
; COMPUTE_PGM_RSRC2:TRAP_HANDLER: 0
; COMPUTE_PGM_RSRC2:TGID_X_EN: 1
; COMPUTE_PGM_RSRC2:TGID_Y_EN: 0
; COMPUTE_PGM_RSRC2:TGID_Z_EN: 0
; COMPUTE_PGM_RSRC2:TIDIG_COMP_CNT: 1
	.section	.text._ZN4vllm3moe10topkGatingILi8ELi256ELi4ELi16ELi32Ei14__hip_bfloat16LNS0_11ScoringFuncE1EEEvPKT5_PKbPfiPT4_PiiiibPKf,"axG",@progbits,_ZN4vllm3moe10topkGatingILi8ELi256ELi4ELi16ELi32Ei14__hip_bfloat16LNS0_11ScoringFuncE1EEEvPKT5_PKbPfiPT4_PiiiibPKf,comdat
	.protected	_ZN4vllm3moe10topkGatingILi8ELi256ELi4ELi16ELi32Ei14__hip_bfloat16LNS0_11ScoringFuncE1EEEvPKT5_PKbPfiPT4_PiiiibPKf ; -- Begin function _ZN4vllm3moe10topkGatingILi8ELi256ELi4ELi16ELi32Ei14__hip_bfloat16LNS0_11ScoringFuncE1EEEvPKT5_PKbPfiPT4_PiiiibPKf
	.globl	_ZN4vllm3moe10topkGatingILi8ELi256ELi4ELi16ELi32Ei14__hip_bfloat16LNS0_11ScoringFuncE1EEEvPKT5_PKbPfiPT4_PiiiibPKf
	.p2align	8
	.type	_ZN4vllm3moe10topkGatingILi8ELi256ELi4ELi16ELi32Ei14__hip_bfloat16LNS0_11ScoringFuncE1EEEvPKT5_PKbPfiPT4_PiiiibPKf,@function
_ZN4vllm3moe10topkGatingILi8ELi256ELi4ELi16ELi32Ei14__hip_bfloat16LNS0_11ScoringFuncE1EEEvPKT5_PKbPfiPT4_PiiiibPKf: ; @_ZN4vllm3moe10topkGatingILi8ELi256ELi4ELi16ELi32Ei14__hip_bfloat16LNS0_11ScoringFuncE1EEEvPKT5_PKbPfiPT4_PiiiibPKf
; %bb.0:
	s_load_b32 s18, s[0:1], 0x18
	v_and_b32_e32 v1, 0x3ff, v0
	v_bfe_u32 v0, v0, 10, 10
	s_lshl_b32 s2, s15, 2
	s_delay_alu instid0(VALU_DEP_2) | instskip(NEXT) | instid1(VALU_DEP_1)
	v_lshrrev_b32_e32 v2, 5, v1
	v_add3_u32 v16, s2, v0, v2
	s_mov_b32 s2, exec_lo
	s_waitcnt lgkmcnt(0)
	s_delay_alu instid0(VALU_DEP_1)
	v_cmpx_gt_i32_e64 s18, v16
	s_cbranch_execz .LBB327_41
; %bb.1:
	s_clause 0x1
	s_load_b128 s[4:7], s[0:1], 0x0
	s_load_b64 s[16:17], s[0:1], 0x10
	s_mov_b32 s9, -1
	s_mov_b32 s19, -1
	s_waitcnt lgkmcnt(0)
	s_cmp_eq_u64 s[6:7], 0
	s_cbranch_scc1 .LBB327_3
; %bb.2:
	v_ashrrev_i32_e32 v0, 31, v16
	v_add_co_u32 v2, vcc_lo, s6, v16
	s_delay_alu instid0(VALU_DEP_2) | instskip(SKIP_3) | instid1(VALU_DEP_1)
	v_add_co_ci_u32_e32 v3, vcc_lo, s7, v0, vcc_lo
	global_load_u8 v0, v[2:3], off
	s_waitcnt vmcnt(0)
	v_and_b32_e32 v0, 1, v0
	v_cmp_eq_u32_e32 vcc_lo, 1, v0
	s_xor_b32 s2, vcc_lo, -1
	s_delay_alu instid0(SALU_CYCLE_1)
	s_or_not1_b32 s19, s2, exec_lo
.LBB327_3:
	v_lshlrev_b32_e32 v2, 8, v16
	v_and_b32_e32 v17, 31, v1
	s_load_b64 s[10:11], s[0:1], 0x40
	s_delay_alu instid0(VALU_DEP_2) | instskip(NEXT) | instid1(VALU_DEP_1)
	v_ashrrev_i32_e32 v3, 31, v2
	v_lshlrev_b64 v[0:1], 1, v[2:3]
	s_delay_alu instid0(VALU_DEP_3) | instskip(NEXT) | instid1(VALU_DEP_2)
	v_lshlrev_b32_e32 v2, 4, v17
	v_add_co_u32 v0, vcc_lo, s4, v0
	s_delay_alu instid0(VALU_DEP_3) | instskip(NEXT) | instid1(VALU_DEP_2)
	v_add_co_ci_u32_e32 v1, vcc_lo, s5, v1, vcc_lo
	v_add_co_u32 v0, vcc_lo, v0, v2
	s_delay_alu instid0(VALU_DEP_2)
	v_add_co_ci_u32_e32 v1, vcc_lo, 0, v1, vcc_lo
	s_waitcnt lgkmcnt(0)
	s_cmp_eq_u64 s[10:11], 0
	global_load_b128 v[0:3], v[0:1], off
	s_waitcnt vmcnt(0)
	v_lshlrev_b32_e32 v5, 16, v1
	v_and_b32_e32 v1, 0xffff0000, v1
	v_lshlrev_b32_e32 v4, 16, v0
	v_lshlrev_b32_e32 v7, 16, v3
	s_delay_alu instid0(VALU_DEP_4) | instskip(NEXT) | instid1(VALU_DEP_3)
	v_mul_f32_e32 v5, 0xbfb8aa3b, v5
	v_dual_mul_f32 v1, 0xbfb8aa3b, v1 :: v_dual_mul_f32 v4, 0xbfb8aa3b, v4
	s_delay_alu instid0(VALU_DEP_2) | instskip(SKIP_1) | instid1(VALU_DEP_2)
	v_exp_f32_e32 v5, v5
	v_and_b32_e32 v0, 0xffff0000, v0
	v_exp_f32_e32 v1, v1
	s_delay_alu instid0(VALU_DEP_2)
	v_exp_f32_e32 v4, v4
	s_delay_alu instid0(TRANS32_DEP_3) | instid1(VALU_DEP_1)
	v_dual_add_f32 v5, 1.0, v5 :: v_dual_mul_f32 v0, 0xbfb8aa3b, v0
	s_waitcnt_depctr 0xfff
	v_dual_add_f32 v1, 1.0, v1 :: v_dual_add_f32 v4, 1.0, v4
	v_div_scale_f32 v12, null, v5, v5, 1.0
	v_exp_f32_e32 v0, v0
	v_and_b32_e32 v3, 0xffff0000, v3
	v_div_scale_f32 v13, s3, 1.0, v5, 1.0
	s_delay_alu instid0(VALU_DEP_3)
	v_rcp_f32_e32 v28, v12
	v_div_scale_f32 v14, null, v1, v1, 1.0
	v_div_scale_f32 v15, s4, 1.0, v1, 1.0
	s_waitcnt_depctr 0xfff
	v_add_f32_e32 v0, 1.0, v0
	v_dual_mul_f32 v3, 0xbfb8aa3b, v3 :: v_dual_lshlrev_b32 v6, 16, v2
	v_and_b32_e32 v2, 0xffff0000, v2
	v_fma_f32 v37, -v12, v28, 1.0
	s_delay_alu instid0(VALU_DEP_4) | instskip(NEXT) | instid1(VALU_DEP_4)
	v_div_scale_f32 v10, null, v0, v0, 1.0
	v_dual_mul_f32 v6, 0xbfb8aa3b, v6 :: v_dual_mul_f32 v7, 0xbfb8aa3b, v7
	v_rcp_f32_e32 v29, v14
	v_exp_f32_e32 v3, v3
	s_delay_alu instid0(VALU_DEP_2) | instskip(NEXT) | instid1(VALU_DEP_1)
	v_rcp_f32_e32 v27, v10
	v_exp_f32_e32 v6, v6
	v_exp_f32_e32 v7, v7
	v_mul_f32_e32 v2, 0xbfb8aa3b, v2
	v_lshlrev_b32_e32 v18, 3, v17
	v_div_scale_f32 v11, s2, 1.0, v0, 1.0
	v_fma_f32 v38, -v14, v29, 1.0
	v_add_f32_e32 v9, 1.0, v3
	s_delay_alu instid0(TRANS32_DEP_3) | instskip(NEXT) | instid1(TRANS32_DEP_1)
	v_fma_f32 v36, -v10, v27, 1.0
	v_dual_add_f32 v6, 1.0, v6 :: v_dual_add_f32 v7, 1.0, v7
	v_exp_f32_e32 v2, v2
	s_delay_alu instid0(VALU_DEP_3) | instskip(NEXT) | instid1(VALU_DEP_3)
	v_div_scale_f32 v25, null, v9, v9, 1.0
	v_fmac_f32_e32 v27, v36, v27
	s_delay_alu instid0(VALU_DEP_3) | instskip(SKIP_2) | instid1(VALU_DEP_3)
	v_div_scale_f32 v23, null, v7, v7, 1.0
	v_fmac_f32_e32 v29, v38, v29
	v_div_scale_f32 v19, null, v6, v6, 1.0
	v_rcp_f32_e32 v32, v23
	s_delay_alu instid0(TRANS32_DEP_2) | instskip(SKIP_1) | instid1(VALU_DEP_3)
	v_add_f32_e32 v8, 1.0, v2
	v_div_scale_f32 v2, null, v4, v4, 1.0
	v_rcp_f32_e32 v30, v19
	v_rcp_f32_e32 v33, v25
	s_delay_alu instid0(VALU_DEP_2) | instskip(NEXT) | instid1(VALU_DEP_2)
	v_div_scale_f32 v21, null, v8, v8, 1.0
	v_rcp_f32_e32 v26, v2
	v_div_scale_f32 v3, vcc_lo, 1.0, v4, 1.0
	s_delay_alu instid0(VALU_DEP_2) | instskip(SKIP_3) | instid1(TRANS32_DEP_3)
	v_rcp_f32_e32 v31, v21
	v_fma_f32 v41, -v23, v32, 1.0
	v_div_scale_f32 v20, s5, 1.0, v6, 1.0
	v_fma_f32 v39, -v19, v30, 1.0
	v_fma_f32 v42, -v25, v33, 1.0
	v_fmac_f32_e32 v28, v37, v28
	s_delay_alu instid0(TRANS32_DEP_2) | instskip(SKIP_1) | instid1(VALU_DEP_4)
	v_fma_f32 v35, -v2, v26, 1.0
	v_div_scale_f32 v22, s6, 1.0, v8, 1.0
	v_fmac_f32_e32 v33, v42, v33
	s_delay_alu instid0(TRANS32_DEP_1) | instskip(NEXT) | instid1(VALU_DEP_4)
	v_fma_f32 v40, -v21, v31, 1.0
	v_fmac_f32_e32 v26, v35, v26
	v_dual_fmac_f32 v30, v39, v30 :: v_dual_mul_f32 v37, v13, v28
	v_mul_f32_e32 v36, v11, v27
	s_delay_alu instid0(VALU_DEP_4) | instskip(NEXT) | instid1(VALU_DEP_4)
	v_dual_fmac_f32 v31, v40, v31 :: v_dual_fmac_f32 v32, v41, v32
	v_mul_f32_e32 v35, v3, v26
	v_div_scale_f32 v24, s7, 1.0, v7, 1.0
	v_dual_mul_f32 v38, v15, v29 :: v_dual_mul_f32 v39, v20, v30
	s_delay_alu instid0(VALU_DEP_3) | instskip(NEXT) | instid1(VALU_DEP_3)
	v_fma_f32 v43, -v2, v35, v3
	v_mul_f32_e32 v41, v24, v32
	v_fma_f32 v44, -v10, v36, v11
	v_div_scale_f32 v34, s8, 1.0, v9, 1.0
	v_fma_f32 v45, -v12, v37, v13
	v_dual_mul_f32 v40, v22, v31 :: v_dual_fmac_f32 v35, v43, v26
	v_fma_f32 v46, -v14, v38, v15
	v_fma_f32 v47, -v19, v39, v20
	v_fmac_f32_e32 v36, v44, v27
	v_dual_mul_f32 v42, v34, v33 :: v_dual_fmac_f32 v37, v45, v28
	v_fma_f32 v2, -v2, v35, v3
	v_fma_f32 v49, -v23, v41, v24
	v_dual_fmac_f32 v38, v46, v29 :: v_dual_fmac_f32 v39, v47, v30
	v_fma_f32 v3, -v10, v36, v11
	v_fma_f32 v10, -v12, v37, v13
	s_delay_alu instid0(VALU_DEP_4)
	v_fmac_f32_e32 v41, v49, v32
	v_div_fmas_f32 v2, v2, v26, v35
	s_mov_b32 vcc_lo, s2
	v_fma_f32 v11, -v14, v38, v15
	v_div_fmas_f32 v3, v3, v27, v36
	s_mov_b32 vcc_lo, s3
	v_fma_f32 v48, -v21, v40, v22
	v_div_fmas_f32 v10, v10, v28, v37
	s_mov_b32 vcc_lo, s4
	v_div_fixup_f32 v2, v2, v4, 1.0
	v_div_fmas_f32 v4, v11, v29, v38
	v_fma_f32 v12, -v19, v39, v20
	s_mov_b32 vcc_lo, s5
	v_div_fixup_f32 v5, v10, v5, 1.0
	v_fma_f32 v50, -v25, v42, v34
	v_div_fixup_f32 v4, v4, v1, 1.0
	v_fmac_f32_e32 v40, v48, v31
	v_div_fmas_f32 v11, v12, v30, v39
	s_mov_b32 vcc_lo, s6
	v_fma_f32 v14, -v23, v41, v24
	v_div_fixup_f32 v3, v3, v0, 1.0
	v_fma_f32 v13, -v21, v40, v22
	v_div_fixup_f32 v6, v11, v6, 1.0
	s_delay_alu instid0(VALU_DEP_2)
	v_div_fmas_f32 v10, v13, v31, v40
	v_cmp_class_f32_e64 vcc_lo, v2, 0x1f8
	v_cndmask_b32_e32 v0, 0, v2, vcc_lo
	s_mov_b32 vcc_lo, s7
	v_div_fmas_f32 v12, v14, v32, v41
	v_cmp_class_f32_e64 vcc_lo, v3, 0x1f8
	v_fmac_f32_e32 v42, v50, v33
	s_delay_alu instid0(VALU_DEP_3) | instskip(SKIP_1) | instid1(VALU_DEP_3)
	v_div_fixup_f32 v7, v12, v7, 1.0
	v_cndmask_b32_e32 v1, 0, v3, vcc_lo
	v_fma_f32 v15, -v25, v42, v34
	s_mov_b32 vcc_lo, s8
	s_delay_alu instid0(VALU_DEP_1)
	v_div_fmas_f32 v11, v15, v33, v42
	v_cmp_class_f32_e64 vcc_lo, v5, 0x1f8
	v_cndmask_b32_e32 v2, 0, v5, vcc_lo
	v_cmp_class_f32_e64 vcc_lo, v4, 0x1f8
	v_div_fixup_f32 v5, v10, v8, 1.0
	v_div_fixup_f32 v8, v11, v9, 1.0
	v_cndmask_b32_e32 v3, 0, v4, vcc_lo
	v_cmp_class_f32_e64 vcc_lo, v6, 0x1f8
	v_cndmask_b32_e32 v4, 0, v6, vcc_lo
	v_cmp_class_f32_e64 vcc_lo, v5, 0x1f8
	;; [unrolled: 2-line block ×4, first 2 shown]
	v_cndmask_b32_e32 v7, 0, v8, vcc_lo
	s_cbranch_scc1 .LBB327_35
; %bb.4:
	v_lshlrev_b32_e32 v12, 2, v18
	s_clause 0x1
	global_load_b128 v[8:11], v12, s[10:11]
	global_load_b128 v[12:15], v12, s[10:11] offset:16
	s_waitcnt vmcnt(1)
	v_dual_add_f32 v9, v9, v1 :: v_dual_add_f32 v8, v8, v0
	v_dual_add_f32 v11, v11, v3 :: v_dual_add_f32 v10, v10, v2
	s_waitcnt vmcnt(0)
	v_dual_add_f32 v13, v13, v5 :: v_dual_add_f32 v12, v12, v4
	v_dual_add_f32 v15, v15, v7 :: v_dual_add_f32 v14, v14, v6
	s_cbranch_execnz .LBB327_6
.LBB327_5:
	v_dual_mov_b32 v15, v7 :: v_dual_mov_b32 v14, v6
	v_dual_mov_b32 v13, v5 :: v_dual_mov_b32 v12, v4
	;; [unrolled: 1-line block ×4, first 2 shown]
.LBB327_6:
	s_load_b128 s[8:11], s[0:1], 0x30
	v_cmp_eq_u32_e64 s2, 0, v17
	s_mov_b32 s6, 0
	s_waitcnt lgkmcnt(0)
	s_bitcmp1_b32 s11, 0
	s_cselect_b32 vcc_lo, -1, 0
	s_cmp_gt_i32 s8, 0
	s_cselect_b32 s5, -1, 0
	s_cmp_lt_i32 s8, 1
	s_cbranch_scc1 .LBB327_36
; %bb.7:
	v_mbcnt_lo_u32_b32 v20, -1, 0
	s_load_b128 s[12:15], s[0:1], 0x20
	v_mul_lo_u32 v19, v16, s8
	v_mov_b32_e32 v26, v16
	s_delay_alu instid0(VALU_DEP_3)
	v_xor_b32_e32 v21, 16, v20
	v_xor_b32_e32 v22, 8, v20
	;; [unrolled: 1-line block ×5, first 2 shown]
	v_cmp_gt_i32_e64 s0, 32, v21
	s_delay_alu instid0(VALU_DEP_1) | instskip(SKIP_1) | instid1(VALU_DEP_2)
	v_cndmask_b32_e64 v21, v20, v21, s0
	v_cmp_gt_i32_e64 s0, 32, v22
	v_lshlrev_b32_e32 v21, 2, v21
	s_delay_alu instid0(VALU_DEP_2) | instskip(SKIP_1) | instid1(VALU_DEP_2)
	v_cndmask_b32_e64 v22, v20, v22, s0
	v_cmp_gt_i32_e64 s0, 32, v23
	v_lshlrev_b32_e32 v22, 2, v22
	s_delay_alu instid0(VALU_DEP_2) | instskip(SKIP_1) | instid1(VALU_DEP_2)
	;; [unrolled: 4-line block ×3, first 2 shown]
	v_cndmask_b32_e64 v24, v20, v24, s0
	v_cmp_gt_i32_e64 s0, 32, v25
	v_lshlrev_b32_e32 v24, 2, v24
	s_delay_alu instid0(VALU_DEP_2) | instskip(NEXT) | instid1(VALU_DEP_1)
	v_cndmask_b32_e64 v20, v20, v25, s0
	v_dual_mov_b32 v20, 0 :: v_dual_lshlrev_b32 v25, 2, v20
	s_branch .LBB327_10
.LBB327_8:                              ;   in Loop: Header=BB327_10 Depth=1
	s_or_b32 exec_lo, exec_lo, s1
.LBB327_9:                              ;   in Loop: Header=BB327_10 Depth=1
	v_add_nc_u32_e32 v26, s18, v26
	s_cmp_eq_u32 s8, s6
	s_cbranch_scc1 .LBB327_37
.LBB327_10:                             ; =>This Inner Loop Header: Depth=1
	v_cmp_gt_f32_e64 s0, v9, v8
	s_delay_alu instid0(VALU_DEP_1) | instskip(SKIP_2) | instid1(VALU_DEP_3)
	v_cndmask_b32_e64 v28, v8, v9, s0
	v_cndmask_b32_e64 v27, 0, 1, s0
	;; [unrolled: 1-line block ×3, first 2 shown]
	v_cmp_gt_f32_e64 s1, v10, v28
	s_delay_alu instid0(VALU_DEP_1) | instskip(NEXT) | instid1(VALU_DEP_4)
	v_cndmask_b32_e64 v28, v28, v10, s1
	v_cndmask_b32_e64 v27, v27, 2, s1
	s_delay_alu instid0(VALU_DEP_4) | instskip(NEXT) | instid1(VALU_DEP_3)
	v_cndmask_b32_e64 v29, v29, v2, s1
	v_cmp_gt_f32_e64 s3, v11, v28
	s_delay_alu instid0(VALU_DEP_1) | instskip(NEXT) | instid1(VALU_DEP_4)
	v_cndmask_b32_e64 v28, v28, v11, s3
	v_cndmask_b32_e64 v27, v27, 3, s3
	s_delay_alu instid0(VALU_DEP_4) | instskip(NEXT) | instid1(VALU_DEP_3)
	v_cndmask_b32_e64 v29, v29, v3, s3
	v_cmp_gt_f32_e64 s4, v12, v28
	s_delay_alu instid0(VALU_DEP_1) | instskip(NEXT) | instid1(VALU_DEP_4)
	v_cndmask_b32_e64 v28, v28, v12, s4
	v_cndmask_b32_e64 v27, v27, 4, s4
	s_delay_alu instid0(VALU_DEP_4) | instskip(SKIP_1) | instid1(VALU_DEP_3)
	v_cndmask_b32_e64 v29, v29, v4, s4
	s_mov_b32 s4, exec_lo
	v_cmp_gt_f32_e64 s0, v13, v28
	s_delay_alu instid0(VALU_DEP_1) | instskip(SKIP_2) | instid1(VALU_DEP_3)
	v_cndmask_b32_e64 v28, v28, v13, s0
	v_cndmask_b32_e64 v27, v27, 5, s0
	v_cndmask_b32_e64 v29, v29, v5, s0
	v_cmp_gt_f32_e64 s1, v14, v28
	s_delay_alu instid0(VALU_DEP_1) | instskip(NEXT) | instid1(VALU_DEP_4)
	v_cndmask_b32_e64 v28, v28, v14, s1
	v_cndmask_b32_e64 v27, v27, 6, s1
	s_waitcnt lgkmcnt(0)
	v_cndmask_b32_e64 v30, v29, v6, s1
	s_delay_alu instid0(VALU_DEP_3) | instskip(NEXT) | instid1(VALU_DEP_1)
	v_cmp_gt_f32_e64 s0, v15, v28
	v_cndmask_b32_e64 v27, v27, 7, s0
	v_cndmask_b32_e64 v29, v28, v15, s0
	s_delay_alu instid0(VALU_DEP_4) | instskip(NEXT) | instid1(VALU_DEP_3)
	v_cndmask_b32_e64 v28, v30, v7, s0
	v_or_b32_e32 v27, v18, v27
	ds_bpermute_b32 v30, v21, v29
	ds_bpermute_b32 v32, v21, v28
	;; [unrolled: 1-line block ×3, first 2 shown]
	s_waitcnt lgkmcnt(0)
	v_cmp_lt_f32_e64 s3, v29, v30
	v_cmpx_nlt_f32_e32 v29, v30
; %bb.11:                               ;   in Loop: Header=BB327_10 Depth=1
	v_cmp_eq_f32_e64 s0, v29, v30
	v_cmp_lt_i32_e64 s1, v31, v27
	s_delay_alu instid0(VALU_DEP_1) | instskip(SKIP_2) | instid1(SALU_CYCLE_1)
	s_and_b32 s0, s0, s1
	s_and_not1_b32 s1, s3, exec_lo
	s_and_b32 s0, s0, exec_lo
	s_or_b32 s3, s1, s0
; %bb.12:                               ;   in Loop: Header=BB327_10 Depth=1
	s_or_b32 exec_lo, exec_lo, s4
	s_and_saveexec_b32 s0, s3
; %bb.13:                               ;   in Loop: Header=BB327_10 Depth=1
	v_dual_mov_b32 v28, v32 :: v_dual_mov_b32 v29, v30
	v_mov_b32_e32 v27, v31
; %bb.14:                               ;   in Loop: Header=BB327_10 Depth=1
	s_or_b32 exec_lo, exec_lo, s0
	ds_bpermute_b32 v30, v22, v29
	ds_bpermute_b32 v32, v22, v28
	;; [unrolled: 1-line block ×3, first 2 shown]
	s_mov_b32 s4, exec_lo
	s_waitcnt lgkmcnt(2)
	v_cmp_lt_f32_e64 s3, v29, v30
	v_cmpx_nlt_f32_e32 v29, v30
	s_cbranch_execz .LBB327_16
; %bb.15:                               ;   in Loop: Header=BB327_10 Depth=1
	v_cmp_eq_f32_e64 s0, v29, v30
	s_waitcnt lgkmcnt(0)
	v_cmp_lt_i32_e64 s1, v31, v27
	s_delay_alu instid0(VALU_DEP_1) | instskip(SKIP_2) | instid1(SALU_CYCLE_1)
	s_and_b32 s0, s0, s1
	s_and_not1_b32 s1, s3, exec_lo
	s_and_b32 s0, s0, exec_lo
	s_or_b32 s3, s1, s0
.LBB327_16:                             ;   in Loop: Header=BB327_10 Depth=1
	s_or_b32 exec_lo, exec_lo, s4
	s_delay_alu instid0(VALU_DEP_2)
	s_and_saveexec_b32 s0, s3
	s_cbranch_execz .LBB327_18
; %bb.17:                               ;   in Loop: Header=BB327_10 Depth=1
	s_waitcnt lgkmcnt(1)
	v_dual_mov_b32 v28, v32 :: v_dual_mov_b32 v29, v30
	s_waitcnt lgkmcnt(0)
	v_mov_b32_e32 v27, v31
.LBB327_18:                             ;   in Loop: Header=BB327_10 Depth=1
	s_or_b32 exec_lo, exec_lo, s0
	ds_bpermute_b32 v30, v23, v29
	s_waitcnt lgkmcnt(2)
	ds_bpermute_b32 v32, v23, v28
	s_waitcnt lgkmcnt(2)
	ds_bpermute_b32 v31, v23, v27
	s_mov_b32 s4, exec_lo
	s_waitcnt lgkmcnt(2)
	v_cmp_lt_f32_e64 s3, v29, v30
	v_cmpx_nlt_f32_e32 v29, v30
	s_cbranch_execz .LBB327_20
; %bb.19:                               ;   in Loop: Header=BB327_10 Depth=1
	v_cmp_eq_f32_e64 s0, v29, v30
	s_waitcnt lgkmcnt(0)
	v_cmp_lt_i32_e64 s1, v31, v27
	s_delay_alu instid0(VALU_DEP_1) | instskip(SKIP_2) | instid1(SALU_CYCLE_1)
	s_and_b32 s0, s0, s1
	s_and_not1_b32 s1, s3, exec_lo
	s_and_b32 s0, s0, exec_lo
	s_or_b32 s3, s1, s0
.LBB327_20:                             ;   in Loop: Header=BB327_10 Depth=1
	s_or_b32 exec_lo, exec_lo, s4
	s_delay_alu instid0(VALU_DEP_2)
	s_and_saveexec_b32 s0, s3
	s_cbranch_execz .LBB327_22
; %bb.21:                               ;   in Loop: Header=BB327_10 Depth=1
	s_waitcnt lgkmcnt(1)
	v_dual_mov_b32 v28, v32 :: v_dual_mov_b32 v29, v30
	s_waitcnt lgkmcnt(0)
	v_mov_b32_e32 v27, v31
.LBB327_22:                             ;   in Loop: Header=BB327_10 Depth=1
	s_or_b32 exec_lo, exec_lo, s0
	ds_bpermute_b32 v30, v24, v29
	s_waitcnt lgkmcnt(2)
	ds_bpermute_b32 v32, v24, v28
	s_waitcnt lgkmcnt(2)
	ds_bpermute_b32 v31, v24, v27
	s_mov_b32 s4, exec_lo
	s_waitcnt lgkmcnt(2)
	v_cmp_lt_f32_e64 s3, v29, v30
	v_cmpx_nlt_f32_e32 v29, v30
	s_cbranch_execz .LBB327_24
; %bb.23:                               ;   in Loop: Header=BB327_10 Depth=1
	v_cmp_eq_f32_e64 s0, v29, v30
	s_waitcnt lgkmcnt(0)
	v_cmp_lt_i32_e64 s1, v31, v27
	s_delay_alu instid0(VALU_DEP_1) | instskip(SKIP_2) | instid1(SALU_CYCLE_1)
	s_and_b32 s0, s0, s1
	s_and_not1_b32 s1, s3, exec_lo
	s_and_b32 s0, s0, exec_lo
	s_or_b32 s3, s1, s0
.LBB327_24:                             ;   in Loop: Header=BB327_10 Depth=1
	s_or_b32 exec_lo, exec_lo, s4
	s_delay_alu instid0(VALU_DEP_2)
	s_and_saveexec_b32 s0, s3
	s_cbranch_execz .LBB327_26
; %bb.25:                               ;   in Loop: Header=BB327_10 Depth=1
	s_waitcnt lgkmcnt(1)
	v_dual_mov_b32 v28, v32 :: v_dual_mov_b32 v29, v30
	s_waitcnt lgkmcnt(0)
	v_mov_b32_e32 v27, v31
.LBB327_26:                             ;   in Loop: Header=BB327_10 Depth=1
	s_or_b32 exec_lo, exec_lo, s0
	s_waitcnt lgkmcnt(1)
	ds_bpermute_b32 v32, v25, v29
	ds_bpermute_b32 v30, v25, v28
	s_waitcnt lgkmcnt(2)
	ds_bpermute_b32 v31, v25, v27
	s_mov_b32 s4, exec_lo
	s_waitcnt lgkmcnt(2)
	v_cmp_lt_f32_e64 s3, v29, v32
	v_cmpx_nlt_f32_e32 v29, v32
	s_cbranch_execnz .LBB327_30
; %bb.27:                               ;   in Loop: Header=BB327_10 Depth=1
	s_or_b32 exec_lo, exec_lo, s4
	s_delay_alu instid0(VALU_DEP_2)
	s_and_saveexec_b32 s0, s3
	s_cbranch_execnz .LBB327_31
.LBB327_28:                             ;   in Loop: Header=BB327_10 Depth=1
	s_or_b32 exec_lo, exec_lo, s0
	s_and_saveexec_b32 s3, s2
	s_cbranch_execnz .LBB327_32
.LBB327_29:                             ;   in Loop: Header=BB327_10 Depth=1
	s_or_b32 exec_lo, exec_lo, s3
	s_add_i32 s6, s6, 1
	s_delay_alu instid0(SALU_CYCLE_1)
	s_cmp_ge_i32 s6, s8
	s_cbranch_scc1 .LBB327_9
	s_branch .LBB327_33
.LBB327_30:                             ;   in Loop: Header=BB327_10 Depth=1
	v_cmp_eq_f32_e64 s0, v29, v32
	s_waitcnt lgkmcnt(0)
	v_cmp_lt_i32_e64 s1, v31, v27
	s_delay_alu instid0(VALU_DEP_1) | instskip(SKIP_2) | instid1(SALU_CYCLE_1)
	s_and_b32 s0, s0, s1
	s_and_not1_b32 s1, s3, exec_lo
	s_and_b32 s0, s0, exec_lo
	s_or_b32 s3, s1, s0
	s_or_b32 exec_lo, exec_lo, s4
	s_and_saveexec_b32 s0, s3
	s_cbranch_execz .LBB327_28
.LBB327_31:                             ;   in Loop: Header=BB327_10 Depth=1
	s_waitcnt lgkmcnt(0)
	v_dual_mov_b32 v27, v31 :: v_dual_mov_b32 v28, v30
	s_or_b32 exec_lo, exec_lo, s0
	s_and_saveexec_b32 s3, s2
	s_cbranch_execz .LBB327_29
.LBB327_32:                             ;   in Loop: Header=BB327_10 Depth=1
	s_delay_alu instid0(VALU_DEP_1)
	v_dual_add_f32 v36, v20, v28 :: v_dual_add_nc_u32 v29, s6, v19
	v_cmp_le_i32_e64 s0, s9, v27
	v_cmp_gt_i32_e64 s1, s10, v27
	s_waitcnt lgkmcnt(0)
	v_subrev_nc_u32_e32 v31, s9, v27
	v_ashrrev_i32_e32 v30, 31, v29
	v_cndmask_b32_e32 v20, v20, v36, vcc_lo
	s_and_b32 s0, s0, s1
	s_delay_alu instid0(SALU_CYCLE_1) | instskip(NEXT) | instid1(VALU_DEP_2)
	s_and_b32 s0, s19, s0
	v_lshlrev_b64 v[29:30], 2, v[29:30]
	v_cndmask_b32_e64 v35, 0x100, v31, s0
	s_delay_alu instid0(VALU_DEP_2) | instskip(NEXT) | instid1(VALU_DEP_1)
	v_add_co_u32 v31, s0, s16, v29
	v_add_co_ci_u32_e64 v32, s0, s17, v30, s0
	v_add_co_u32 v33, s0, s12, v29
	s_delay_alu instid0(VALU_DEP_1) | instskip(SKIP_1) | instid1(VALU_DEP_1)
	v_add_co_ci_u32_e64 v34, s0, s13, v30, s0
	v_add_co_u32 v29, s0, s14, v29
	v_add_co_ci_u32_e64 v30, s0, s15, v30, s0
	global_store_b32 v[31:32], v28, off
	global_store_b32 v[33:34], v35, off
	;; [unrolled: 1-line block ×3, first 2 shown]
	s_or_b32 exec_lo, exec_lo, s3
	s_add_i32 s6, s6, 1
	s_delay_alu instid0(SALU_CYCLE_1)
	s_cmp_ge_i32 s6, s8
	s_cbranch_scc1 .LBB327_9
.LBB327_33:                             ;   in Loop: Header=BB327_10 Depth=1
	v_ashrrev_i32_e32 v28, 31, v27
	s_mov_b32 s1, exec_lo
	s_delay_alu instid0(VALU_DEP_1) | instskip(NEXT) | instid1(VALU_DEP_1)
	v_lshrrev_b32_e32 v29, 29, v28
	v_add_nc_u32_e32 v29, v27, v29
	s_waitcnt lgkmcnt(1)
	s_delay_alu instid0(VALU_DEP_1) | instskip(SKIP_1) | instid1(VALU_DEP_2)
	v_ashrrev_i32_e32 v30, 31, v29
	v_ashrrev_i32_e32 v29, 3, v29
	v_lshrrev_b32_e32 v30, 27, v30
	s_delay_alu instid0(VALU_DEP_1) | instskip(NEXT) | instid1(VALU_DEP_1)
	v_add_nc_u32_e32 v30, v29, v30
	v_and_b32_e32 v30, 0xffffffe0, v30
	s_delay_alu instid0(VALU_DEP_1) | instskip(NEXT) | instid1(VALU_DEP_1)
	v_sub_nc_u32_e32 v30, v29, v30
	v_cmpx_eq_u32_e64 v17, v30
	s_cbranch_execz .LBB327_8
; %bb.34:                               ;   in Loop: Header=BB327_10 Depth=1
	v_lshrrev_b32_e32 v28, 24, v28
	v_lshlrev_b32_e32 v29, 3, v29
	s_delay_alu instid0(VALU_DEP_2) | instskip(NEXT) | instid1(VALU_DEP_2)
	v_add_nc_u32_e32 v28, v27, v28
	v_sub_nc_u32_e32 v27, v27, v29
	s_delay_alu instid0(VALU_DEP_2) | instskip(NEXT) | instid1(VALU_DEP_1)
	v_ashrrev_i32_e32 v28, 8, v28
	v_lshl_add_u32 v27, v28, 3, v27
	s_delay_alu instid0(VALU_DEP_1) | instskip(NEXT) | instid1(VALU_DEP_1)
	v_cmp_ne_u32_e64 s0, 7, v27
	v_cndmask_b32_e64 v15, 0xc61c4000, v15, s0
	v_cmp_ne_u32_e64 s0, 6, v27
	s_delay_alu instid0(VALU_DEP_1) | instskip(SKIP_1) | instid1(VALU_DEP_1)
	v_cndmask_b32_e64 v14, 0xc61c4000, v14, s0
	v_cmp_ne_u32_e64 s0, 5, v27
	v_cndmask_b32_e64 v13, 0xc61c4000, v13, s0
	v_cmp_ne_u32_e64 s0, 4, v27
	s_delay_alu instid0(VALU_DEP_1) | instskip(SKIP_1) | instid1(VALU_DEP_1)
	v_cndmask_b32_e64 v12, 0xc61c4000, v12, s0
	;; [unrolled: 5-line block ×3, first 2 shown]
	v_cmp_ne_u32_e64 s0, 1, v27
	v_cndmask_b32_e64 v9, 0xc61c4000, v9, s0
	v_cmp_ne_u32_e64 s0, 0, v27
	s_delay_alu instid0(VALU_DEP_1)
	v_cndmask_b32_e64 v8, 0xc61c4000, v8, s0
	s_branch .LBB327_8
.LBB327_35:
                                        ; implicit-def: $vgpr8_vgpr9_vgpr10_vgpr11_vgpr12_vgpr13_vgpr14_vgpr15
	s_and_not1_b32 vcc_lo, exec_lo, s9
	s_cbranch_vccz .LBB327_5
	s_branch .LBB327_6
.LBB327_36:
	v_mov_b32_e32 v20, 0
.LBB327_37:
	v_cmp_eq_u32_e64 s0, 0, v17
	s_delay_alu instid0(VALU_DEP_1) | instskip(NEXT) | instid1(SALU_CYCLE_1)
	s_and_b32 s0, s0, vcc_lo
	s_and_b32 exec_lo, exec_lo, s0
	s_cbranch_execz .LBB327_41
; %bb.38:
	s_and_not1_b32 vcc_lo, exec_lo, s5
	s_cbranch_vccnz .LBB327_41
; %bb.39:
	v_mul_lo_u32 v0, v16, s8
	v_cmp_lt_f32_e32 vcc_lo, 0, v20
	v_cndmask_b32_e32 v2, 1.0, v20, vcc_lo
	s_delay_alu instid0(VALU_DEP_3) | instskip(NEXT) | instid1(VALU_DEP_1)
	v_ashrrev_i32_e32 v1, 31, v0
	v_lshlrev_b64 v[0:1], 2, v[0:1]
	s_delay_alu instid0(VALU_DEP_1) | instskip(NEXT) | instid1(VALU_DEP_2)
	v_add_co_u32 v0, vcc_lo, s16, v0
	v_add_co_ci_u32_e32 v1, vcc_lo, s17, v1, vcc_lo
	.p2align	6
.LBB327_40:                             ; =>This Inner Loop Header: Depth=1
	global_load_b32 v3, v[0:1], off
	s_add_i32 s8, s8, -1
	s_delay_alu instid0(SALU_CYCLE_1) | instskip(SKIP_3) | instid1(VALU_DEP_2)
	s_cmp_lg_u32 s8, 0
	s_waitcnt vmcnt(0)
	v_div_scale_f32 v4, null, v2, v2, v3
	v_div_scale_f32 v7, vcc_lo, v3, v2, v3
	v_rcp_f32_e32 v5, v4
	s_waitcnt_depctr 0xfff
	v_fma_f32 v6, -v4, v5, 1.0
	s_delay_alu instid0(VALU_DEP_1) | instskip(NEXT) | instid1(VALU_DEP_1)
	v_fmac_f32_e32 v5, v6, v5
	v_mul_f32_e32 v6, v7, v5
	s_delay_alu instid0(VALU_DEP_1) | instskip(NEXT) | instid1(VALU_DEP_1)
	v_fma_f32 v8, -v4, v6, v7
	v_fmac_f32_e32 v6, v8, v5
	s_delay_alu instid0(VALU_DEP_1) | instskip(NEXT) | instid1(VALU_DEP_1)
	v_fma_f32 v4, -v4, v6, v7
	v_div_fmas_f32 v4, v4, v5, v6
	s_delay_alu instid0(VALU_DEP_1)
	v_div_fixup_f32 v3, v4, v2, v3
	global_store_b32 v[0:1], v3, off
	v_add_co_u32 v0, vcc_lo, v0, 4
	v_add_co_ci_u32_e32 v1, vcc_lo, 0, v1, vcc_lo
	s_cbranch_scc1 .LBB327_40
.LBB327_41:
	s_nop 0
	s_sendmsg sendmsg(MSG_DEALLOC_VGPRS)
	s_endpgm
	.section	.rodata,"a",@progbits
	.p2align	6, 0x0
	.amdhsa_kernel _ZN4vllm3moe10topkGatingILi8ELi256ELi4ELi16ELi32Ei14__hip_bfloat16LNS0_11ScoringFuncE1EEEvPKT5_PKbPfiPT4_PiiiibPKf
		.amdhsa_group_segment_fixed_size 0
		.amdhsa_private_segment_fixed_size 0
		.amdhsa_kernarg_size 72
		.amdhsa_user_sgpr_count 15
		.amdhsa_user_sgpr_dispatch_ptr 0
		.amdhsa_user_sgpr_queue_ptr 0
		.amdhsa_user_sgpr_kernarg_segment_ptr 1
		.amdhsa_user_sgpr_dispatch_id 0
		.amdhsa_user_sgpr_private_segment_size 0
		.amdhsa_wavefront_size32 1
		.amdhsa_uses_dynamic_stack 0
		.amdhsa_enable_private_segment 0
		.amdhsa_system_sgpr_workgroup_id_x 1
		.amdhsa_system_sgpr_workgroup_id_y 0
		.amdhsa_system_sgpr_workgroup_id_z 0
		.amdhsa_system_sgpr_workgroup_info 0
		.amdhsa_system_vgpr_workitem_id 1
		.amdhsa_next_free_vgpr 51
		.amdhsa_next_free_sgpr 20
		.amdhsa_reserve_vcc 1
		.amdhsa_float_round_mode_32 0
		.amdhsa_float_round_mode_16_64 0
		.amdhsa_float_denorm_mode_32 3
		.amdhsa_float_denorm_mode_16_64 3
		.amdhsa_dx10_clamp 1
		.amdhsa_ieee_mode 1
		.amdhsa_fp16_overflow 0
		.amdhsa_workgroup_processor_mode 1
		.amdhsa_memory_ordered 1
		.amdhsa_forward_progress 0
		.amdhsa_shared_vgpr_count 0
		.amdhsa_exception_fp_ieee_invalid_op 0
		.amdhsa_exception_fp_denorm_src 0
		.amdhsa_exception_fp_ieee_div_zero 0
		.amdhsa_exception_fp_ieee_overflow 0
		.amdhsa_exception_fp_ieee_underflow 0
		.amdhsa_exception_fp_ieee_inexact 0
		.amdhsa_exception_int_div_zero 0
	.end_amdhsa_kernel
	.section	.text._ZN4vllm3moe10topkGatingILi8ELi256ELi4ELi16ELi32Ei14__hip_bfloat16LNS0_11ScoringFuncE1EEEvPKT5_PKbPfiPT4_PiiiibPKf,"axG",@progbits,_ZN4vllm3moe10topkGatingILi8ELi256ELi4ELi16ELi32Ei14__hip_bfloat16LNS0_11ScoringFuncE1EEEvPKT5_PKbPfiPT4_PiiiibPKf,comdat
.Lfunc_end327:
	.size	_ZN4vllm3moe10topkGatingILi8ELi256ELi4ELi16ELi32Ei14__hip_bfloat16LNS0_11ScoringFuncE1EEEvPKT5_PKbPfiPT4_PiiiibPKf, .Lfunc_end327-_ZN4vllm3moe10topkGatingILi8ELi256ELi4ELi16ELi32Ei14__hip_bfloat16LNS0_11ScoringFuncE1EEEvPKT5_PKbPfiPT4_PiiiibPKf
                                        ; -- End function
	.section	.AMDGPU.csdata,"",@progbits
; Kernel info:
; codeLenInByte = 3280
; NumSgprs: 22
; NumVgprs: 51
; ScratchSize: 0
; MemoryBound: 0
; FloatMode: 240
; IeeeMode: 1
; LDSByteSize: 0 bytes/workgroup (compile time only)
; SGPRBlocks: 2
; VGPRBlocks: 6
; NumSGPRsForWavesPerEU: 22
; NumVGPRsForWavesPerEU: 51
; Occupancy: 16
; WaveLimiterHint : 0
; COMPUTE_PGM_RSRC2:SCRATCH_EN: 0
; COMPUTE_PGM_RSRC2:USER_SGPR: 15
; COMPUTE_PGM_RSRC2:TRAP_HANDLER: 0
; COMPUTE_PGM_RSRC2:TGID_X_EN: 1
; COMPUTE_PGM_RSRC2:TGID_Y_EN: 0
; COMPUTE_PGM_RSRC2:TGID_Z_EN: 0
; COMPUTE_PGM_RSRC2:TIDIG_COMP_CNT: 1
	.section	.text._ZN4vllm3moe10topkGatingILi8ELi512ELi4ELi16ELi64Ei14__hip_bfloat16LNS0_11ScoringFuncE1EEEvPKT5_PKbPfiPT4_PiiiibPKf,"axG",@progbits,_ZN4vllm3moe10topkGatingILi8ELi512ELi4ELi16ELi64Ei14__hip_bfloat16LNS0_11ScoringFuncE1EEEvPKT5_PKbPfiPT4_PiiiibPKf,comdat
	.protected	_ZN4vllm3moe10topkGatingILi8ELi512ELi4ELi16ELi64Ei14__hip_bfloat16LNS0_11ScoringFuncE1EEEvPKT5_PKbPfiPT4_PiiiibPKf ; -- Begin function _ZN4vllm3moe10topkGatingILi8ELi512ELi4ELi16ELi64Ei14__hip_bfloat16LNS0_11ScoringFuncE1EEEvPKT5_PKbPfiPT4_PiiiibPKf
	.globl	_ZN4vllm3moe10topkGatingILi8ELi512ELi4ELi16ELi64Ei14__hip_bfloat16LNS0_11ScoringFuncE1EEEvPKT5_PKbPfiPT4_PiiiibPKf
	.p2align	8
	.type	_ZN4vllm3moe10topkGatingILi8ELi512ELi4ELi16ELi64Ei14__hip_bfloat16LNS0_11ScoringFuncE1EEEvPKT5_PKbPfiPT4_PiiiibPKf,@function
_ZN4vllm3moe10topkGatingILi8ELi512ELi4ELi16ELi64Ei14__hip_bfloat16LNS0_11ScoringFuncE1EEEvPKT5_PKbPfiPT4_PiiiibPKf: ; @_ZN4vllm3moe10topkGatingILi8ELi512ELi4ELi16ELi64Ei14__hip_bfloat16LNS0_11ScoringFuncE1EEEvPKT5_PKbPfiPT4_PiiiibPKf
; %bb.0:
	s_load_b32 s18, s[0:1], 0x18
	v_and_b32_e32 v1, 0x3ff, v0
	v_bfe_u32 v0, v0, 10, 10
	s_lshl_b32 s2, s15, 2
	s_delay_alu instid0(VALU_DEP_2) | instskip(NEXT) | instid1(VALU_DEP_1)
	v_lshrrev_b32_e32 v2, 6, v1
	v_add3_u32 v16, s2, v0, v2
	s_mov_b32 s2, exec_lo
	s_waitcnt lgkmcnt(0)
	s_delay_alu instid0(VALU_DEP_1)
	v_cmpx_gt_i32_e64 s18, v16
	s_cbranch_execz .LBB328_45
; %bb.1:
	s_clause 0x1
	s_load_b128 s[4:7], s[0:1], 0x0
	s_load_b64 s[16:17], s[0:1], 0x10
	s_mov_b32 s9, -1
	s_mov_b32 s19, -1
	s_waitcnt lgkmcnt(0)
	s_cmp_eq_u64 s[6:7], 0
	s_cbranch_scc1 .LBB328_3
; %bb.2:
	v_ashrrev_i32_e32 v0, 31, v16
	v_add_co_u32 v2, vcc_lo, s6, v16
	s_delay_alu instid0(VALU_DEP_2) | instskip(SKIP_3) | instid1(VALU_DEP_1)
	v_add_co_ci_u32_e32 v3, vcc_lo, s7, v0, vcc_lo
	global_load_u8 v0, v[2:3], off
	s_waitcnt vmcnt(0)
	v_and_b32_e32 v0, 1, v0
	v_cmp_eq_u32_e32 vcc_lo, 1, v0
	s_xor_b32 s2, vcc_lo, -1
	s_delay_alu instid0(SALU_CYCLE_1)
	s_or_not1_b32 s19, s2, exec_lo
.LBB328_3:
	v_lshlrev_b32_e32 v2, 9, v16
	v_and_b32_e32 v17, 63, v1
	s_load_b64 s[10:11], s[0:1], 0x40
	s_delay_alu instid0(VALU_DEP_2) | instskip(NEXT) | instid1(VALU_DEP_1)
	v_ashrrev_i32_e32 v3, 31, v2
	v_lshlrev_b64 v[0:1], 1, v[2:3]
	s_delay_alu instid0(VALU_DEP_3) | instskip(NEXT) | instid1(VALU_DEP_2)
	v_lshlrev_b32_e32 v2, 4, v17
	v_add_co_u32 v0, vcc_lo, s4, v0
	s_delay_alu instid0(VALU_DEP_3) | instskip(NEXT) | instid1(VALU_DEP_2)
	v_add_co_ci_u32_e32 v1, vcc_lo, s5, v1, vcc_lo
	v_add_co_u32 v0, vcc_lo, v0, v2
	s_delay_alu instid0(VALU_DEP_2)
	v_add_co_ci_u32_e32 v1, vcc_lo, 0, v1, vcc_lo
	s_waitcnt lgkmcnt(0)
	s_cmp_eq_u64 s[10:11], 0
	global_load_b128 v[0:3], v[0:1], off
	s_waitcnt vmcnt(0)
	v_lshlrev_b32_e32 v5, 16, v1
	v_and_b32_e32 v1, 0xffff0000, v1
	v_lshlrev_b32_e32 v4, 16, v0
	v_lshlrev_b32_e32 v7, 16, v3
	s_delay_alu instid0(VALU_DEP_4) | instskip(NEXT) | instid1(VALU_DEP_3)
	v_mul_f32_e32 v5, 0xbfb8aa3b, v5
	v_dual_mul_f32 v1, 0xbfb8aa3b, v1 :: v_dual_mul_f32 v4, 0xbfb8aa3b, v4
	s_delay_alu instid0(VALU_DEP_2) | instskip(SKIP_1) | instid1(VALU_DEP_2)
	v_exp_f32_e32 v5, v5
	v_and_b32_e32 v0, 0xffff0000, v0
	v_exp_f32_e32 v1, v1
	s_delay_alu instid0(VALU_DEP_2)
	v_exp_f32_e32 v4, v4
	s_delay_alu instid0(TRANS32_DEP_3) | instid1(VALU_DEP_1)
	v_dual_add_f32 v5, 1.0, v5 :: v_dual_mul_f32 v0, 0xbfb8aa3b, v0
	s_waitcnt_depctr 0xfff
	v_dual_add_f32 v1, 1.0, v1 :: v_dual_add_f32 v4, 1.0, v4
	v_div_scale_f32 v12, null, v5, v5, 1.0
	v_exp_f32_e32 v0, v0
	v_and_b32_e32 v3, 0xffff0000, v3
	v_div_scale_f32 v13, s3, 1.0, v5, 1.0
	s_delay_alu instid0(VALU_DEP_3)
	v_rcp_f32_e32 v28, v12
	v_div_scale_f32 v14, null, v1, v1, 1.0
	v_div_scale_f32 v15, s4, 1.0, v1, 1.0
	s_waitcnt_depctr 0xfff
	v_add_f32_e32 v0, 1.0, v0
	v_dual_mul_f32 v3, 0xbfb8aa3b, v3 :: v_dual_lshlrev_b32 v6, 16, v2
	v_and_b32_e32 v2, 0xffff0000, v2
	v_fma_f32 v37, -v12, v28, 1.0
	s_delay_alu instid0(VALU_DEP_4) | instskip(NEXT) | instid1(VALU_DEP_4)
	v_div_scale_f32 v10, null, v0, v0, 1.0
	v_dual_mul_f32 v6, 0xbfb8aa3b, v6 :: v_dual_mul_f32 v7, 0xbfb8aa3b, v7
	v_rcp_f32_e32 v29, v14
	v_exp_f32_e32 v3, v3
	s_delay_alu instid0(VALU_DEP_2) | instskip(NEXT) | instid1(VALU_DEP_1)
	v_rcp_f32_e32 v27, v10
	v_exp_f32_e32 v6, v6
	v_exp_f32_e32 v7, v7
	v_mul_f32_e32 v2, 0xbfb8aa3b, v2
	v_lshlrev_b32_e32 v18, 3, v17
	v_div_scale_f32 v11, s2, 1.0, v0, 1.0
	v_fma_f32 v38, -v14, v29, 1.0
	v_add_f32_e32 v9, 1.0, v3
	s_delay_alu instid0(TRANS32_DEP_3) | instskip(NEXT) | instid1(TRANS32_DEP_1)
	v_fma_f32 v36, -v10, v27, 1.0
	v_dual_add_f32 v6, 1.0, v6 :: v_dual_add_f32 v7, 1.0, v7
	v_exp_f32_e32 v2, v2
	s_delay_alu instid0(VALU_DEP_3) | instskip(NEXT) | instid1(VALU_DEP_3)
	v_div_scale_f32 v25, null, v9, v9, 1.0
	v_fmac_f32_e32 v27, v36, v27
	s_delay_alu instid0(VALU_DEP_3) | instskip(SKIP_2) | instid1(VALU_DEP_3)
	v_div_scale_f32 v23, null, v7, v7, 1.0
	v_fmac_f32_e32 v29, v38, v29
	v_div_scale_f32 v19, null, v6, v6, 1.0
	v_rcp_f32_e32 v32, v23
	s_delay_alu instid0(TRANS32_DEP_2) | instskip(SKIP_1) | instid1(VALU_DEP_3)
	v_add_f32_e32 v8, 1.0, v2
	v_div_scale_f32 v2, null, v4, v4, 1.0
	v_rcp_f32_e32 v30, v19
	v_rcp_f32_e32 v33, v25
	s_delay_alu instid0(VALU_DEP_2) | instskip(NEXT) | instid1(VALU_DEP_2)
	v_div_scale_f32 v21, null, v8, v8, 1.0
	v_rcp_f32_e32 v26, v2
	v_div_scale_f32 v3, vcc_lo, 1.0, v4, 1.0
	s_delay_alu instid0(VALU_DEP_2) | instskip(SKIP_3) | instid1(TRANS32_DEP_3)
	v_rcp_f32_e32 v31, v21
	v_fma_f32 v41, -v23, v32, 1.0
	v_div_scale_f32 v20, s5, 1.0, v6, 1.0
	v_fma_f32 v39, -v19, v30, 1.0
	v_fma_f32 v42, -v25, v33, 1.0
	v_fmac_f32_e32 v28, v37, v28
	s_delay_alu instid0(TRANS32_DEP_2) | instskip(SKIP_1) | instid1(VALU_DEP_4)
	v_fma_f32 v35, -v2, v26, 1.0
	v_div_scale_f32 v22, s6, 1.0, v8, 1.0
	v_fmac_f32_e32 v33, v42, v33
	s_delay_alu instid0(TRANS32_DEP_1) | instskip(NEXT) | instid1(VALU_DEP_4)
	v_fma_f32 v40, -v21, v31, 1.0
	v_fmac_f32_e32 v26, v35, v26
	v_dual_fmac_f32 v30, v39, v30 :: v_dual_mul_f32 v37, v13, v28
	v_mul_f32_e32 v36, v11, v27
	s_delay_alu instid0(VALU_DEP_4) | instskip(NEXT) | instid1(VALU_DEP_4)
	v_dual_fmac_f32 v31, v40, v31 :: v_dual_fmac_f32 v32, v41, v32
	v_mul_f32_e32 v35, v3, v26
	v_div_scale_f32 v24, s7, 1.0, v7, 1.0
	v_dual_mul_f32 v38, v15, v29 :: v_dual_mul_f32 v39, v20, v30
	s_delay_alu instid0(VALU_DEP_3) | instskip(NEXT) | instid1(VALU_DEP_3)
	v_fma_f32 v43, -v2, v35, v3
	v_mul_f32_e32 v41, v24, v32
	v_fma_f32 v44, -v10, v36, v11
	v_div_scale_f32 v34, s8, 1.0, v9, 1.0
	v_fma_f32 v45, -v12, v37, v13
	v_dual_mul_f32 v40, v22, v31 :: v_dual_fmac_f32 v35, v43, v26
	v_fma_f32 v46, -v14, v38, v15
	v_fma_f32 v47, -v19, v39, v20
	v_fmac_f32_e32 v36, v44, v27
	v_dual_mul_f32 v42, v34, v33 :: v_dual_fmac_f32 v37, v45, v28
	v_fma_f32 v2, -v2, v35, v3
	v_fma_f32 v49, -v23, v41, v24
	v_dual_fmac_f32 v38, v46, v29 :: v_dual_fmac_f32 v39, v47, v30
	v_fma_f32 v3, -v10, v36, v11
	v_fma_f32 v10, -v12, v37, v13
	s_delay_alu instid0(VALU_DEP_4)
	v_fmac_f32_e32 v41, v49, v32
	v_div_fmas_f32 v2, v2, v26, v35
	s_mov_b32 vcc_lo, s2
	v_fma_f32 v11, -v14, v38, v15
	v_div_fmas_f32 v3, v3, v27, v36
	s_mov_b32 vcc_lo, s3
	v_fma_f32 v48, -v21, v40, v22
	v_div_fmas_f32 v10, v10, v28, v37
	s_mov_b32 vcc_lo, s4
	v_div_fixup_f32 v2, v2, v4, 1.0
	v_div_fmas_f32 v4, v11, v29, v38
	v_fma_f32 v12, -v19, v39, v20
	s_mov_b32 vcc_lo, s5
	v_div_fixup_f32 v5, v10, v5, 1.0
	v_fma_f32 v50, -v25, v42, v34
	v_div_fixup_f32 v4, v4, v1, 1.0
	v_fmac_f32_e32 v40, v48, v31
	v_div_fmas_f32 v11, v12, v30, v39
	s_mov_b32 vcc_lo, s6
	v_fma_f32 v14, -v23, v41, v24
	v_div_fixup_f32 v3, v3, v0, 1.0
	v_fma_f32 v13, -v21, v40, v22
	v_div_fixup_f32 v6, v11, v6, 1.0
	s_delay_alu instid0(VALU_DEP_2)
	v_div_fmas_f32 v10, v13, v31, v40
	v_cmp_class_f32_e64 vcc_lo, v2, 0x1f8
	v_cndmask_b32_e32 v0, 0, v2, vcc_lo
	s_mov_b32 vcc_lo, s7
	v_div_fmas_f32 v12, v14, v32, v41
	v_cmp_class_f32_e64 vcc_lo, v3, 0x1f8
	v_fmac_f32_e32 v42, v50, v33
	s_delay_alu instid0(VALU_DEP_3) | instskip(SKIP_1) | instid1(VALU_DEP_3)
	v_div_fixup_f32 v7, v12, v7, 1.0
	v_cndmask_b32_e32 v1, 0, v3, vcc_lo
	v_fma_f32 v15, -v25, v42, v34
	s_mov_b32 vcc_lo, s8
	s_delay_alu instid0(VALU_DEP_1)
	v_div_fmas_f32 v11, v15, v33, v42
	v_cmp_class_f32_e64 vcc_lo, v5, 0x1f8
	v_cndmask_b32_e32 v2, 0, v5, vcc_lo
	v_cmp_class_f32_e64 vcc_lo, v4, 0x1f8
	v_div_fixup_f32 v5, v10, v8, 1.0
	v_div_fixup_f32 v8, v11, v9, 1.0
	v_cndmask_b32_e32 v3, 0, v4, vcc_lo
	v_cmp_class_f32_e64 vcc_lo, v6, 0x1f8
	v_cndmask_b32_e32 v4, 0, v6, vcc_lo
	v_cmp_class_f32_e64 vcc_lo, v5, 0x1f8
	;; [unrolled: 2-line block ×4, first 2 shown]
	v_cndmask_b32_e32 v7, 0, v8, vcc_lo
	s_cbranch_scc1 .LBB328_39
; %bb.4:
	v_lshlrev_b32_e32 v12, 2, v18
	s_clause 0x1
	global_load_b128 v[8:11], v12, s[10:11]
	global_load_b128 v[12:15], v12, s[10:11] offset:16
	s_waitcnt vmcnt(1)
	v_dual_add_f32 v9, v9, v1 :: v_dual_add_f32 v8, v8, v0
	v_dual_add_f32 v11, v11, v3 :: v_dual_add_f32 v10, v10, v2
	s_waitcnt vmcnt(0)
	v_dual_add_f32 v13, v13, v5 :: v_dual_add_f32 v12, v12, v4
	v_dual_add_f32 v15, v15, v7 :: v_dual_add_f32 v14, v14, v6
	s_cbranch_execnz .LBB328_6
.LBB328_5:
	v_dual_mov_b32 v15, v7 :: v_dual_mov_b32 v14, v6
	v_dual_mov_b32 v13, v5 :: v_dual_mov_b32 v12, v4
	;; [unrolled: 1-line block ×4, first 2 shown]
.LBB328_6:
	s_load_b128 s[8:11], s[0:1], 0x30
	v_cmp_eq_u32_e64 s2, 0, v17
	s_mov_b32 s6, 0
	s_waitcnt lgkmcnt(0)
	s_bitcmp1_b32 s11, 0
	s_cselect_b32 vcc_lo, -1, 0
	s_cmp_gt_i32 s8, 0
	s_cselect_b32 s5, -1, 0
	s_cmp_lt_i32 s8, 1
	s_cbranch_scc1 .LBB328_40
; %bb.7:
	v_mbcnt_lo_u32_b32 v20, -1, 0
	s_load_b128 s[12:15], s[0:1], 0x20
	v_mul_lo_u32 v19, v16, s8
	v_mov_b32_e32 v27, v16
	s_delay_alu instid0(VALU_DEP_3)
	v_or_b32_e32 v21, 32, v20
	v_xor_b32_e32 v22, 16, v20
	v_xor_b32_e32 v23, 8, v20
	;; [unrolled: 1-line block ×4, first 2 shown]
	v_cmp_gt_i32_e64 s0, 64, v21
	v_xor_b32_e32 v26, 1, v20
	s_delay_alu instid0(VALU_DEP_2) | instskip(SKIP_1) | instid1(VALU_DEP_2)
	v_cndmask_b32_e64 v21, v20, v21, s0
	v_cmp_gt_i32_e64 s0, 64, v22
	v_lshlrev_b32_e32 v21, 2, v21
	s_delay_alu instid0(VALU_DEP_2) | instskip(SKIP_1) | instid1(VALU_DEP_2)
	v_cndmask_b32_e64 v22, v20, v22, s0
	v_cmp_gt_i32_e64 s0, 64, v23
	v_lshlrev_b32_e32 v22, 2, v22
	;; [unrolled: 4-line block ×5, first 2 shown]
	s_delay_alu instid0(VALU_DEP_2) | instskip(NEXT) | instid1(VALU_DEP_1)
	v_cndmask_b32_e64 v20, v20, v26, s0
	v_lshlrev_b32_e32 v26, 2, v20
	v_mov_b32_e32 v20, 0
	s_branch .LBB328_10
.LBB328_8:                              ;   in Loop: Header=BB328_10 Depth=1
	s_or_b32 exec_lo, exec_lo, s1
.LBB328_9:                              ;   in Loop: Header=BB328_10 Depth=1
	v_add_nc_u32_e32 v27, s18, v27
	s_cmp_eq_u32 s8, s6
	s_cbranch_scc1 .LBB328_41
.LBB328_10:                             ; =>This Inner Loop Header: Depth=1
	v_cmp_gt_f32_e64 s0, v9, v8
	s_delay_alu instid0(VALU_DEP_1) | instskip(SKIP_2) | instid1(VALU_DEP_3)
	v_cndmask_b32_e64 v29, v8, v9, s0
	v_cndmask_b32_e64 v28, 0, 1, s0
	v_cndmask_b32_e64 v30, v0, v1, s0
	v_cmp_gt_f32_e64 s1, v10, v29
	s_delay_alu instid0(VALU_DEP_1) | instskip(NEXT) | instid1(VALU_DEP_4)
	v_cndmask_b32_e64 v29, v29, v10, s1
	v_cndmask_b32_e64 v28, v28, 2, s1
	s_delay_alu instid0(VALU_DEP_4) | instskip(NEXT) | instid1(VALU_DEP_3)
	v_cndmask_b32_e64 v30, v30, v2, s1
	v_cmp_gt_f32_e64 s3, v11, v29
	s_delay_alu instid0(VALU_DEP_1) | instskip(NEXT) | instid1(VALU_DEP_4)
	v_cndmask_b32_e64 v29, v29, v11, s3
	v_cndmask_b32_e64 v28, v28, 3, s3
	s_delay_alu instid0(VALU_DEP_4) | instskip(NEXT) | instid1(VALU_DEP_3)
	v_cndmask_b32_e64 v30, v30, v3, s3
	v_cmp_gt_f32_e64 s4, v12, v29
	s_delay_alu instid0(VALU_DEP_1) | instskip(NEXT) | instid1(VALU_DEP_4)
	v_cndmask_b32_e64 v29, v29, v12, s4
	v_cndmask_b32_e64 v28, v28, 4, s4
	s_delay_alu instid0(VALU_DEP_4) | instskip(SKIP_1) | instid1(VALU_DEP_3)
	v_cndmask_b32_e64 v30, v30, v4, s4
	s_mov_b32 s4, exec_lo
	v_cmp_gt_f32_e64 s0, v13, v29
	s_delay_alu instid0(VALU_DEP_1) | instskip(SKIP_2) | instid1(VALU_DEP_3)
	v_cndmask_b32_e64 v29, v29, v13, s0
	v_cndmask_b32_e64 v28, v28, 5, s0
	;; [unrolled: 1-line block ×3, first 2 shown]
	v_cmp_gt_f32_e64 s1, v14, v29
	s_delay_alu instid0(VALU_DEP_1) | instskip(NEXT) | instid1(VALU_DEP_4)
	v_cndmask_b32_e64 v29, v29, v14, s1
	v_cndmask_b32_e64 v28, v28, 6, s1
	s_waitcnt lgkmcnt(0)
	v_cndmask_b32_e64 v31, v30, v6, s1
	s_delay_alu instid0(VALU_DEP_3) | instskip(NEXT) | instid1(VALU_DEP_1)
	v_cmp_gt_f32_e64 s0, v15, v29
	v_cndmask_b32_e64 v28, v28, 7, s0
	v_cndmask_b32_e64 v30, v29, v15, s0
	s_delay_alu instid0(VALU_DEP_4) | instskip(NEXT) | instid1(VALU_DEP_3)
	v_cndmask_b32_e64 v29, v31, v7, s0
	v_or_b32_e32 v28, v18, v28
	ds_bpermute_b32 v31, v21, v30
	ds_bpermute_b32 v33, v21, v29
	;; [unrolled: 1-line block ×3, first 2 shown]
	s_waitcnt lgkmcnt(0)
	v_cmp_lt_f32_e64 s3, v30, v31
	v_cmpx_nlt_f32_e32 v30, v31
; %bb.11:                               ;   in Loop: Header=BB328_10 Depth=1
	v_cmp_eq_f32_e64 s0, v30, v31
	v_cmp_lt_i32_e64 s1, v32, v28
	s_delay_alu instid0(VALU_DEP_1) | instskip(SKIP_2) | instid1(SALU_CYCLE_1)
	s_and_b32 s0, s0, s1
	s_and_not1_b32 s1, s3, exec_lo
	s_and_b32 s0, s0, exec_lo
	s_or_b32 s3, s1, s0
; %bb.12:                               ;   in Loop: Header=BB328_10 Depth=1
	s_or_b32 exec_lo, exec_lo, s4
	s_and_saveexec_b32 s0, s3
; %bb.13:                               ;   in Loop: Header=BB328_10 Depth=1
	v_dual_mov_b32 v29, v33 :: v_dual_mov_b32 v30, v31
	v_mov_b32_e32 v28, v32
; %bb.14:                               ;   in Loop: Header=BB328_10 Depth=1
	s_or_b32 exec_lo, exec_lo, s0
	ds_bpermute_b32 v31, v22, v30
	ds_bpermute_b32 v33, v22, v29
	;; [unrolled: 1-line block ×3, first 2 shown]
	s_mov_b32 s4, exec_lo
	s_waitcnt lgkmcnt(2)
	v_cmp_lt_f32_e64 s3, v30, v31
	v_cmpx_nlt_f32_e32 v30, v31
	s_cbranch_execz .LBB328_16
; %bb.15:                               ;   in Loop: Header=BB328_10 Depth=1
	v_cmp_eq_f32_e64 s0, v30, v31
	s_waitcnt lgkmcnt(0)
	v_cmp_lt_i32_e64 s1, v32, v28
	s_delay_alu instid0(VALU_DEP_1) | instskip(SKIP_2) | instid1(SALU_CYCLE_1)
	s_and_b32 s0, s0, s1
	s_and_not1_b32 s1, s3, exec_lo
	s_and_b32 s0, s0, exec_lo
	s_or_b32 s3, s1, s0
.LBB328_16:                             ;   in Loop: Header=BB328_10 Depth=1
	s_or_b32 exec_lo, exec_lo, s4
	s_delay_alu instid0(VALU_DEP_2)
	s_and_saveexec_b32 s0, s3
	s_cbranch_execz .LBB328_18
; %bb.17:                               ;   in Loop: Header=BB328_10 Depth=1
	s_waitcnt lgkmcnt(1)
	v_dual_mov_b32 v29, v33 :: v_dual_mov_b32 v30, v31
	s_waitcnt lgkmcnt(0)
	v_mov_b32_e32 v28, v32
.LBB328_18:                             ;   in Loop: Header=BB328_10 Depth=1
	s_or_b32 exec_lo, exec_lo, s0
	ds_bpermute_b32 v31, v23, v30
	s_waitcnt lgkmcnt(2)
	ds_bpermute_b32 v33, v23, v29
	s_waitcnt lgkmcnt(2)
	ds_bpermute_b32 v32, v23, v28
	s_mov_b32 s4, exec_lo
	s_waitcnt lgkmcnt(2)
	v_cmp_lt_f32_e64 s3, v30, v31
	v_cmpx_nlt_f32_e32 v30, v31
	s_cbranch_execz .LBB328_20
; %bb.19:                               ;   in Loop: Header=BB328_10 Depth=1
	v_cmp_eq_f32_e64 s0, v30, v31
	s_waitcnt lgkmcnt(0)
	v_cmp_lt_i32_e64 s1, v32, v28
	s_delay_alu instid0(VALU_DEP_1) | instskip(SKIP_2) | instid1(SALU_CYCLE_1)
	s_and_b32 s0, s0, s1
	s_and_not1_b32 s1, s3, exec_lo
	s_and_b32 s0, s0, exec_lo
	s_or_b32 s3, s1, s0
.LBB328_20:                             ;   in Loop: Header=BB328_10 Depth=1
	s_or_b32 exec_lo, exec_lo, s4
	s_delay_alu instid0(VALU_DEP_2)
	s_and_saveexec_b32 s0, s3
	s_cbranch_execz .LBB328_22
; %bb.21:                               ;   in Loop: Header=BB328_10 Depth=1
	s_waitcnt lgkmcnt(1)
	v_dual_mov_b32 v29, v33 :: v_dual_mov_b32 v30, v31
	s_waitcnt lgkmcnt(0)
	v_mov_b32_e32 v28, v32
.LBB328_22:                             ;   in Loop: Header=BB328_10 Depth=1
	s_or_b32 exec_lo, exec_lo, s0
	ds_bpermute_b32 v31, v24, v30
	s_waitcnt lgkmcnt(2)
	ds_bpermute_b32 v33, v24, v29
	s_waitcnt lgkmcnt(2)
	ds_bpermute_b32 v32, v24, v28
	;; [unrolled: 31-line block ×3, first 2 shown]
	s_mov_b32 s4, exec_lo
	s_waitcnt lgkmcnt(2)
	v_cmp_lt_f32_e64 s3, v30, v31
	v_cmpx_nlt_f32_e32 v30, v31
	s_cbranch_execz .LBB328_28
; %bb.27:                               ;   in Loop: Header=BB328_10 Depth=1
	v_cmp_eq_f32_e64 s0, v30, v31
	s_waitcnt lgkmcnt(0)
	v_cmp_lt_i32_e64 s1, v32, v28
	s_delay_alu instid0(VALU_DEP_1) | instskip(SKIP_2) | instid1(SALU_CYCLE_1)
	s_and_b32 s0, s0, s1
	s_and_not1_b32 s1, s3, exec_lo
	s_and_b32 s0, s0, exec_lo
	s_or_b32 s3, s1, s0
.LBB328_28:                             ;   in Loop: Header=BB328_10 Depth=1
	s_or_b32 exec_lo, exec_lo, s4
	s_delay_alu instid0(VALU_DEP_2)
	s_and_saveexec_b32 s0, s3
	s_cbranch_execz .LBB328_30
; %bb.29:                               ;   in Loop: Header=BB328_10 Depth=1
	s_waitcnt lgkmcnt(1)
	v_dual_mov_b32 v29, v33 :: v_dual_mov_b32 v30, v31
	s_waitcnt lgkmcnt(0)
	v_mov_b32_e32 v28, v32
.LBB328_30:                             ;   in Loop: Header=BB328_10 Depth=1
	s_or_b32 exec_lo, exec_lo, s0
	s_waitcnt lgkmcnt(1)
	ds_bpermute_b32 v33, v26, v30
	ds_bpermute_b32 v31, v26, v29
	s_waitcnt lgkmcnt(2)
	ds_bpermute_b32 v32, v26, v28
	s_mov_b32 s4, exec_lo
	s_waitcnt lgkmcnt(2)
	v_cmp_lt_f32_e64 s3, v30, v33
	v_cmpx_nlt_f32_e32 v30, v33
	s_cbranch_execnz .LBB328_34
; %bb.31:                               ;   in Loop: Header=BB328_10 Depth=1
	s_or_b32 exec_lo, exec_lo, s4
	s_delay_alu instid0(VALU_DEP_2)
	s_and_saveexec_b32 s0, s3
	s_cbranch_execnz .LBB328_35
.LBB328_32:                             ;   in Loop: Header=BB328_10 Depth=1
	s_or_b32 exec_lo, exec_lo, s0
	s_and_saveexec_b32 s3, s2
	s_cbranch_execnz .LBB328_36
.LBB328_33:                             ;   in Loop: Header=BB328_10 Depth=1
	s_or_b32 exec_lo, exec_lo, s3
	s_add_i32 s6, s6, 1
	s_delay_alu instid0(SALU_CYCLE_1)
	s_cmp_ge_i32 s6, s8
	s_cbranch_scc1 .LBB328_9
	s_branch .LBB328_37
.LBB328_34:                             ;   in Loop: Header=BB328_10 Depth=1
	v_cmp_eq_f32_e64 s0, v30, v33
	s_waitcnt lgkmcnt(0)
	v_cmp_lt_i32_e64 s1, v32, v28
	s_delay_alu instid0(VALU_DEP_1) | instskip(SKIP_2) | instid1(SALU_CYCLE_1)
	s_and_b32 s0, s0, s1
	s_and_not1_b32 s1, s3, exec_lo
	s_and_b32 s0, s0, exec_lo
	s_or_b32 s3, s1, s0
	s_or_b32 exec_lo, exec_lo, s4
	s_and_saveexec_b32 s0, s3
	s_cbranch_execz .LBB328_32
.LBB328_35:                             ;   in Loop: Header=BB328_10 Depth=1
	s_waitcnt lgkmcnt(0)
	v_dual_mov_b32 v28, v32 :: v_dual_mov_b32 v29, v31
	s_or_b32 exec_lo, exec_lo, s0
	s_and_saveexec_b32 s3, s2
	s_cbranch_execz .LBB328_33
.LBB328_36:                             ;   in Loop: Header=BB328_10 Depth=1
	s_delay_alu instid0(VALU_DEP_1)
	v_dual_add_f32 v37, v20, v29 :: v_dual_add_nc_u32 v30, s6, v19
	v_cmp_le_i32_e64 s0, s9, v28
	v_cmp_gt_i32_e64 s1, s10, v28
	s_waitcnt lgkmcnt(0)
	v_subrev_nc_u32_e32 v32, s9, v28
	v_ashrrev_i32_e32 v31, 31, v30
	v_cndmask_b32_e32 v20, v20, v37, vcc_lo
	s_and_b32 s0, s0, s1
	s_delay_alu instid0(SALU_CYCLE_1) | instskip(NEXT) | instid1(VALU_DEP_2)
	s_and_b32 s0, s19, s0
	v_lshlrev_b64 v[30:31], 2, v[30:31]
	v_cndmask_b32_e64 v36, 0x200, v32, s0
	s_delay_alu instid0(VALU_DEP_2) | instskip(NEXT) | instid1(VALU_DEP_1)
	v_add_co_u32 v32, s0, s16, v30
	v_add_co_ci_u32_e64 v33, s0, s17, v31, s0
	v_add_co_u32 v34, s0, s12, v30
	s_delay_alu instid0(VALU_DEP_1) | instskip(SKIP_1) | instid1(VALU_DEP_1)
	v_add_co_ci_u32_e64 v35, s0, s13, v31, s0
	v_add_co_u32 v30, s0, s14, v30
	v_add_co_ci_u32_e64 v31, s0, s15, v31, s0
	global_store_b32 v[32:33], v29, off
	global_store_b32 v[34:35], v36, off
	;; [unrolled: 1-line block ×3, first 2 shown]
	s_or_b32 exec_lo, exec_lo, s3
	s_add_i32 s6, s6, 1
	s_delay_alu instid0(SALU_CYCLE_1)
	s_cmp_ge_i32 s6, s8
	s_cbranch_scc1 .LBB328_9
.LBB328_37:                             ;   in Loop: Header=BB328_10 Depth=1
	v_ashrrev_i32_e32 v29, 31, v28
	s_mov_b32 s1, exec_lo
	s_delay_alu instid0(VALU_DEP_1) | instskip(NEXT) | instid1(VALU_DEP_1)
	v_lshrrev_b32_e32 v30, 29, v29
	v_add_nc_u32_e32 v30, v28, v30
	s_waitcnt lgkmcnt(1)
	s_delay_alu instid0(VALU_DEP_1) | instskip(SKIP_1) | instid1(VALU_DEP_2)
	v_ashrrev_i32_e32 v31, 31, v30
	v_ashrrev_i32_e32 v30, 3, v30
	v_lshrrev_b32_e32 v31, 26, v31
	s_delay_alu instid0(VALU_DEP_1) | instskip(NEXT) | instid1(VALU_DEP_1)
	v_add_nc_u32_e32 v31, v30, v31
	v_and_b32_e32 v31, 0xffffffc0, v31
	s_delay_alu instid0(VALU_DEP_1) | instskip(NEXT) | instid1(VALU_DEP_1)
	v_sub_nc_u32_e32 v31, v30, v31
	v_cmpx_eq_u32_e64 v17, v31
	s_cbranch_execz .LBB328_8
; %bb.38:                               ;   in Loop: Header=BB328_10 Depth=1
	v_lshrrev_b32_e32 v29, 23, v29
	v_lshlrev_b32_e32 v30, 3, v30
	s_delay_alu instid0(VALU_DEP_2) | instskip(NEXT) | instid1(VALU_DEP_2)
	v_add_nc_u32_e32 v29, v28, v29
	v_sub_nc_u32_e32 v28, v28, v30
	s_delay_alu instid0(VALU_DEP_2) | instskip(NEXT) | instid1(VALU_DEP_1)
	v_ashrrev_i32_e32 v29, 9, v29
	v_lshl_add_u32 v28, v29, 3, v28
	s_delay_alu instid0(VALU_DEP_1) | instskip(NEXT) | instid1(VALU_DEP_1)
	v_cmp_ne_u32_e64 s0, 7, v28
	v_cndmask_b32_e64 v15, 0xc61c4000, v15, s0
	v_cmp_ne_u32_e64 s0, 6, v28
	s_delay_alu instid0(VALU_DEP_1) | instskip(SKIP_1) | instid1(VALU_DEP_1)
	v_cndmask_b32_e64 v14, 0xc61c4000, v14, s0
	v_cmp_ne_u32_e64 s0, 5, v28
	v_cndmask_b32_e64 v13, 0xc61c4000, v13, s0
	v_cmp_ne_u32_e64 s0, 4, v28
	s_delay_alu instid0(VALU_DEP_1) | instskip(SKIP_1) | instid1(VALU_DEP_1)
	v_cndmask_b32_e64 v12, 0xc61c4000, v12, s0
	;; [unrolled: 5-line block ×3, first 2 shown]
	v_cmp_ne_u32_e64 s0, 1, v28
	v_cndmask_b32_e64 v9, 0xc61c4000, v9, s0
	v_cmp_ne_u32_e64 s0, 0, v28
	s_delay_alu instid0(VALU_DEP_1)
	v_cndmask_b32_e64 v8, 0xc61c4000, v8, s0
	s_branch .LBB328_8
.LBB328_39:
                                        ; implicit-def: $vgpr8_vgpr9_vgpr10_vgpr11_vgpr12_vgpr13_vgpr14_vgpr15
	s_and_not1_b32 vcc_lo, exec_lo, s9
	s_cbranch_vccz .LBB328_5
	s_branch .LBB328_6
.LBB328_40:
	v_mov_b32_e32 v20, 0
.LBB328_41:
	v_cmp_eq_u32_e64 s0, 0, v17
	s_delay_alu instid0(VALU_DEP_1) | instskip(NEXT) | instid1(SALU_CYCLE_1)
	s_and_b32 s0, s0, vcc_lo
	s_and_b32 exec_lo, exec_lo, s0
	s_cbranch_execz .LBB328_45
; %bb.42:
	s_and_not1_b32 vcc_lo, exec_lo, s5
	s_cbranch_vccnz .LBB328_45
; %bb.43:
	v_mul_lo_u32 v0, v16, s8
	v_cmp_lt_f32_e32 vcc_lo, 0, v20
	v_cndmask_b32_e32 v2, 1.0, v20, vcc_lo
	s_delay_alu instid0(VALU_DEP_3) | instskip(NEXT) | instid1(VALU_DEP_1)
	v_ashrrev_i32_e32 v1, 31, v0
	v_lshlrev_b64 v[0:1], 2, v[0:1]
	s_delay_alu instid0(VALU_DEP_1) | instskip(NEXT) | instid1(VALU_DEP_2)
	v_add_co_u32 v0, vcc_lo, s16, v0
	v_add_co_ci_u32_e32 v1, vcc_lo, s17, v1, vcc_lo
	.p2align	6
.LBB328_44:                             ; =>This Inner Loop Header: Depth=1
	global_load_b32 v3, v[0:1], off
	s_add_i32 s8, s8, -1
	s_delay_alu instid0(SALU_CYCLE_1) | instskip(SKIP_3) | instid1(VALU_DEP_2)
	s_cmp_lg_u32 s8, 0
	s_waitcnt vmcnt(0)
	v_div_scale_f32 v4, null, v2, v2, v3
	v_div_scale_f32 v7, vcc_lo, v3, v2, v3
	v_rcp_f32_e32 v5, v4
	s_waitcnt_depctr 0xfff
	v_fma_f32 v6, -v4, v5, 1.0
	s_delay_alu instid0(VALU_DEP_1) | instskip(NEXT) | instid1(VALU_DEP_1)
	v_fmac_f32_e32 v5, v6, v5
	v_mul_f32_e32 v6, v7, v5
	s_delay_alu instid0(VALU_DEP_1) | instskip(NEXT) | instid1(VALU_DEP_1)
	v_fma_f32 v8, -v4, v6, v7
	v_fmac_f32_e32 v6, v8, v5
	s_delay_alu instid0(VALU_DEP_1) | instskip(NEXT) | instid1(VALU_DEP_1)
	v_fma_f32 v4, -v4, v6, v7
	v_div_fmas_f32 v4, v4, v5, v6
	s_delay_alu instid0(VALU_DEP_1)
	v_div_fixup_f32 v3, v4, v2, v3
	global_store_b32 v[0:1], v3, off
	v_add_co_u32 v0, vcc_lo, v0, 4
	v_add_co_ci_u32_e32 v1, vcc_lo, 0, v1, vcc_lo
	s_cbranch_scc1 .LBB328_44
.LBB328_45:
	s_nop 0
	s_sendmsg sendmsg(MSG_DEALLOC_VGPRS)
	s_endpgm
	.section	.rodata,"a",@progbits
	.p2align	6, 0x0
	.amdhsa_kernel _ZN4vllm3moe10topkGatingILi8ELi512ELi4ELi16ELi64Ei14__hip_bfloat16LNS0_11ScoringFuncE1EEEvPKT5_PKbPfiPT4_PiiiibPKf
		.amdhsa_group_segment_fixed_size 0
		.amdhsa_private_segment_fixed_size 0
		.amdhsa_kernarg_size 72
		.amdhsa_user_sgpr_count 15
		.amdhsa_user_sgpr_dispatch_ptr 0
		.amdhsa_user_sgpr_queue_ptr 0
		.amdhsa_user_sgpr_kernarg_segment_ptr 1
		.amdhsa_user_sgpr_dispatch_id 0
		.amdhsa_user_sgpr_private_segment_size 0
		.amdhsa_wavefront_size32 1
		.amdhsa_uses_dynamic_stack 0
		.amdhsa_enable_private_segment 0
		.amdhsa_system_sgpr_workgroup_id_x 1
		.amdhsa_system_sgpr_workgroup_id_y 0
		.amdhsa_system_sgpr_workgroup_id_z 0
		.amdhsa_system_sgpr_workgroup_info 0
		.amdhsa_system_vgpr_workitem_id 1
		.amdhsa_next_free_vgpr 51
		.amdhsa_next_free_sgpr 20
		.amdhsa_reserve_vcc 1
		.amdhsa_float_round_mode_32 0
		.amdhsa_float_round_mode_16_64 0
		.amdhsa_float_denorm_mode_32 3
		.amdhsa_float_denorm_mode_16_64 3
		.amdhsa_dx10_clamp 1
		.amdhsa_ieee_mode 1
		.amdhsa_fp16_overflow 0
		.amdhsa_workgroup_processor_mode 1
		.amdhsa_memory_ordered 1
		.amdhsa_forward_progress 0
		.amdhsa_shared_vgpr_count 0
		.amdhsa_exception_fp_ieee_invalid_op 0
		.amdhsa_exception_fp_denorm_src 0
		.amdhsa_exception_fp_ieee_div_zero 0
		.amdhsa_exception_fp_ieee_overflow 0
		.amdhsa_exception_fp_ieee_underflow 0
		.amdhsa_exception_fp_ieee_inexact 0
		.amdhsa_exception_int_div_zero 0
	.end_amdhsa_kernel
	.section	.text._ZN4vllm3moe10topkGatingILi8ELi512ELi4ELi16ELi64Ei14__hip_bfloat16LNS0_11ScoringFuncE1EEEvPKT5_PKbPfiPT4_PiiiibPKf,"axG",@progbits,_ZN4vllm3moe10topkGatingILi8ELi512ELi4ELi16ELi64Ei14__hip_bfloat16LNS0_11ScoringFuncE1EEEvPKT5_PKbPfiPT4_PiiiibPKf,comdat
.Lfunc_end328:
	.size	_ZN4vllm3moe10topkGatingILi8ELi512ELi4ELi16ELi64Ei14__hip_bfloat16LNS0_11ScoringFuncE1EEEvPKT5_PKbPfiPT4_PiiiibPKf, .Lfunc_end328-_ZN4vllm3moe10topkGatingILi8ELi512ELi4ELi16ELi64Ei14__hip_bfloat16LNS0_11ScoringFuncE1EEEvPKT5_PKbPfiPT4_PiiiibPKf
                                        ; -- End function
	.section	.AMDGPU.csdata,"",@progbits
; Kernel info:
; codeLenInByte = 3444
; NumSgprs: 22
; NumVgprs: 51
; ScratchSize: 0
; MemoryBound: 0
; FloatMode: 240
; IeeeMode: 1
; LDSByteSize: 0 bytes/workgroup (compile time only)
; SGPRBlocks: 2
; VGPRBlocks: 6
; NumSGPRsForWavesPerEU: 22
; NumVGPRsForWavesPerEU: 51
; Occupancy: 16
; WaveLimiterHint : 0
; COMPUTE_PGM_RSRC2:SCRATCH_EN: 0
; COMPUTE_PGM_RSRC2:USER_SGPR: 15
; COMPUTE_PGM_RSRC2:TRAP_HANDLER: 0
; COMPUTE_PGM_RSRC2:TGID_X_EN: 1
; COMPUTE_PGM_RSRC2:TGID_Y_EN: 0
; COMPUTE_PGM_RSRC2:TGID_Z_EN: 0
; COMPUTE_PGM_RSRC2:TIDIG_COMP_CNT: 1
	.section	.text._ZN4vllm3moe10topkGatingILi16ELi512ELi4ELi16ELi32Ei14__hip_bfloat16LNS0_11ScoringFuncE1EEEvPKT5_PKbPfiPT4_PiiiibPKf,"axG",@progbits,_ZN4vllm3moe10topkGatingILi16ELi512ELi4ELi16ELi32Ei14__hip_bfloat16LNS0_11ScoringFuncE1EEEvPKT5_PKbPfiPT4_PiiiibPKf,comdat
	.protected	_ZN4vllm3moe10topkGatingILi16ELi512ELi4ELi16ELi32Ei14__hip_bfloat16LNS0_11ScoringFuncE1EEEvPKT5_PKbPfiPT4_PiiiibPKf ; -- Begin function _ZN4vllm3moe10topkGatingILi16ELi512ELi4ELi16ELi32Ei14__hip_bfloat16LNS0_11ScoringFuncE1EEEvPKT5_PKbPfiPT4_PiiiibPKf
	.globl	_ZN4vllm3moe10topkGatingILi16ELi512ELi4ELi16ELi32Ei14__hip_bfloat16LNS0_11ScoringFuncE1EEEvPKT5_PKbPfiPT4_PiiiibPKf
	.p2align	8
	.type	_ZN4vllm3moe10topkGatingILi16ELi512ELi4ELi16ELi32Ei14__hip_bfloat16LNS0_11ScoringFuncE1EEEvPKT5_PKbPfiPT4_PiiiibPKf,@function
_ZN4vllm3moe10topkGatingILi16ELi512ELi4ELi16ELi32Ei14__hip_bfloat16LNS0_11ScoringFuncE1EEEvPKT5_PKbPfiPT4_PiiiibPKf: ; @_ZN4vllm3moe10topkGatingILi16ELi512ELi4ELi16ELi32Ei14__hip_bfloat16LNS0_11ScoringFuncE1EEEvPKT5_PKbPfiPT4_PiiiibPKf
; %bb.0:
	s_load_b32 s22, s[0:1], 0x18
	v_and_b32_e32 v1, 0x3ff, v0
	v_bfe_u32 v0, v0, 10, 10
	s_lshl_b32 s2, s15, 2
	s_delay_alu instid0(VALU_DEP_2) | instskip(NEXT) | instid1(VALU_DEP_1)
	v_lshrrev_b32_e32 v2, 5, v1
	v_add3_u32 v32, s2, v0, v2
	s_mov_b32 s2, exec_lo
	s_waitcnt lgkmcnt(0)
	s_delay_alu instid0(VALU_DEP_1)
	v_cmpx_gt_i32_e64 s22, v32
	s_cbranch_execz .LBB329_41
; %bb.1:
	s_clause 0x1
	s_load_b128 s[4:7], s[0:1], 0x0
	s_load_b64 s[20:21], s[0:1], 0x10
	s_mov_b32 s17, -1
	s_mov_b32 s23, -1
	s_waitcnt lgkmcnt(0)
	s_cmp_eq_u64 s[6:7], 0
	s_cbranch_scc1 .LBB329_3
; %bb.2:
	v_ashrrev_i32_e32 v0, 31, v32
	v_add_co_u32 v2, vcc_lo, s6, v32
	s_delay_alu instid0(VALU_DEP_2) | instskip(SKIP_3) | instid1(VALU_DEP_1)
	v_add_co_ci_u32_e32 v3, vcc_lo, s7, v0, vcc_lo
	global_load_u8 v0, v[2:3], off
	s_waitcnt vmcnt(0)
	v_and_b32_e32 v0, 1, v0
	v_cmp_eq_u32_e32 vcc_lo, 1, v0
	s_xor_b32 s2, vcc_lo, -1
	s_delay_alu instid0(SALU_CYCLE_1)
	s_or_not1_b32 s23, s2, exec_lo
.LBB329_3:
	v_lshlrev_b32_e32 v2, 9, v32
	v_and_b32_e32 v33, 31, v1
	s_load_b64 s[18:19], s[0:1], 0x40
	s_delay_alu instid0(VALU_DEP_2) | instskip(NEXT) | instid1(VALU_DEP_1)
	v_ashrrev_i32_e32 v3, 31, v2
	v_lshlrev_b64 v[0:1], 1, v[2:3]
	s_delay_alu instid0(VALU_DEP_3) | instskip(NEXT) | instid1(VALU_DEP_2)
	v_lshlrev_b32_e32 v2, 4, v33
	v_add_co_u32 v0, vcc_lo, s4, v0
	s_delay_alu instid0(VALU_DEP_3) | instskip(NEXT) | instid1(VALU_DEP_2)
	v_add_co_ci_u32_e32 v1, vcc_lo, s5, v1, vcc_lo
	v_add_co_u32 v4, vcc_lo, v0, v2
	s_delay_alu instid0(VALU_DEP_2)
	v_add_co_ci_u32_e32 v5, vcc_lo, 0, v1, vcc_lo
	s_waitcnt lgkmcnt(0)
	s_cmp_eq_u64 s[18:19], 0
	s_clause 0x1
	global_load_b128 v[0:3], v[4:5], off
	global_load_b128 v[4:7], v[4:5], off offset:512
	s_waitcnt vmcnt(1)
	v_lshlrev_b32_e32 v9, 16, v1
	v_and_b32_e32 v1, 0xffff0000, v1
	v_lshlrev_b32_e32 v8, 16, v0
	s_waitcnt vmcnt(0)
	v_lshlrev_b32_e32 v13, 16, v5
	v_dual_mul_f32 v9, 0xbfb8aa3b, v9 :: v_dual_lshlrev_b32 v10, 16, v2
	s_delay_alu instid0(VALU_DEP_3) | instskip(NEXT) | instid1(VALU_DEP_2)
	v_dual_mul_f32 v1, 0xbfb8aa3b, v1 :: v_dual_mul_f32 v8, 0xbfb8aa3b, v8
	v_exp_f32_e32 v9, v9
	v_and_b32_e32 v0, 0xffff0000, v0
	s_delay_alu instid0(VALU_DEP_2)
	v_exp_f32_e32 v1, v1
	v_and_b32_e32 v2, 0xffff0000, v2
	v_exp_f32_e32 v8, v8
	s_delay_alu instid0(TRANS32_DEP_3) | instid1(VALU_DEP_2)
	v_dual_add_f32 v9, 1.0, v9 :: v_dual_mul_f32 v0, 0xbfb8aa3b, v0
	s_waitcnt_depctr 0xfff
	v_dual_add_f32 v1, 1.0, v1 :: v_dual_mul_f32 v2, 0xbfb8aa3b, v2
	v_mul_f32_e32 v13, 0xbfb8aa3b, v13
	v_dual_mul_f32 v10, 0xbfb8aa3b, v10 :: v_dual_lshlrev_b32 v11, 16, v3
	v_exp_f32_e32 v0, v0
	v_and_b32_e32 v3, 0xffff0000, v3
	v_exp_f32_e32 v2, v2
	s_delay_alu instid0(VALU_DEP_2) | instskip(SKIP_3) | instid1(VALU_DEP_2)
	v_mul_f32_e32 v11, 0xbfb8aa3b, v11
	v_exp_f32_e32 v10, v10
	v_dual_add_f32 v8, 1.0, v8 :: v_dual_and_b32 v5, 0xffff0000, v5
	v_exp_f32_e32 v13, v13
	v_exp_f32_e32 v11, v11
	v_div_scale_f32 v22, null, v1, v1, 1.0
	v_add_f32_e32 v0, 1.0, v0
	v_dual_mul_f32 v3, 0xbfb8aa3b, v3 :: v_dual_lshlrev_b32 v34, 3, v33
	s_delay_alu instid0(TRANS32_DEP_3) | instskip(SKIP_2) | instid1(VALU_DEP_4)
	v_add_f32_e32 v10, 1.0, v10
	v_dual_mul_f32 v5, 0xbfb8aa3b, v5 :: v_dual_lshlrev_b32 v12, 16, v4
	v_lshlrev_b32_e32 v15, 16, v7
	v_exp_f32_e32 v3, v3
	s_delay_alu instid0(TRANS32_DEP_2) | instskip(NEXT) | instid1(VALU_DEP_3)
	v_dual_add_f32 v11, 1.0, v11 :: v_dual_and_b32 v4, 0xffff0000, v4
	v_mul_f32_e32 v12, 0xbfb8aa3b, v12
	s_delay_alu instid0(VALU_DEP_3)
	v_dual_mul_f32 v15, 0xbfb8aa3b, v15 :: v_dual_lshlrev_b32 v14, 16, v6
	v_and_b32_e32 v6, 0xffff0000, v6
	v_exp_f32_e32 v5, v5
	v_dual_add_f32 v16, 1.0, v2 :: v_dual_and_b32 v7, 0xffff0000, v7
	s_delay_alu instid0(TRANS32_DEP_2) | instid1(VALU_DEP_2)
	v_dual_add_f32 v17, 1.0, v3 :: v_dual_mul_f32 v6, 0xbfb8aa3b, v6
	s_delay_alu instid0(VALU_DEP_2) | instskip(SKIP_3) | instid1(TRANS32_DEP_3)
	v_dual_mul_f32 v4, 0xbfb8aa3b, v4 :: v_dual_mul_f32 v7, 0xbfb8aa3b, v7
	v_exp_f32_e32 v12, v12
	v_exp_f32_e32 v15, v15
	v_div_scale_f32 v2, null, v8, v8, 1.0
	v_add_f32_e32 v19, 1.0, v5
	v_exp_f32_e32 v6, v6
	v_exp_f32_e32 v4, v4
	;; [unrolled: 1-line block ×3, first 2 shown]
	v_dual_mul_f32 v14, 0xbfb8aa3b, v14 :: v_dual_add_f32 v13, 1.0, v13
	v_dual_add_f32 v12, 1.0, v12 :: v_dual_add_f32 v15, 1.0, v15
	v_rcp_f32_e32 v51, v2
	v_div_scale_f32 v24, null, v10, v10, 1.0
	v_add_f32_e32 v20, 1.0, v6
	v_div_scale_f32 v6, null, v9, v9, 1.0
	s_delay_alu instid0(TRANS32_DEP_2) | instskip(SKIP_1) | instid1(VALU_DEP_3)
	v_dual_add_f32 v18, 1.0, v4 :: v_dual_add_f32 v21, 1.0, v7
	v_div_scale_f32 v4, null, v0, v0, 1.0
	v_rcp_f32_e32 v53, v6
	v_div_scale_f32 v26, null, v16, v16, 1.0
	v_div_scale_f32 v35, null, v12, v12, 1.0
	s_delay_alu instid0(VALU_DEP_3) | instskip(SKIP_3) | instid1(TRANS32_DEP_3)
	v_rcp_f32_e32 v52, v4
	v_div_scale_f32 v49, null, v21, v21, 1.0
	v_exp_f32_e32 v14, v14
	v_div_scale_f32 v28, null, v11, v11, 1.0
	v_fma_f32 v69, -v6, v53, 1.0
	v_rcp_f32_e32 v54, v22
	v_rcp_f32_e32 v55, v24
	;; [unrolled: 1-line block ×4, first 2 shown]
	v_fmac_f32_e32 v53, v69, v53
	v_div_scale_f32 v45, null, v20, v20, 1.0
	v_rcp_f32_e32 v66, v49
	v_fma_f32 v67, -v2, v51, 1.0
	v_rcp_f32_e32 v57, v28
	s_delay_alu instid0(VALU_DEP_2) | instskip(SKIP_1) | instid1(VALU_DEP_2)
	v_rcp_f32_e32 v64, v45
	v_fma_f32 v68, -v4, v52, 1.0
	v_dual_add_f32 v14, 1.0, v14 :: v_dual_fmac_f32 v51, v67, v51
	v_div_scale_f32 v3, vcc_lo, 1.0, v8, 1.0
	v_fma_f32 v70, -v22, v54, 1.0
	v_div_scale_f32 v5, s2, 1.0, v0, 1.0
	v_fma_f32 v71, -v24, v55, 1.0
	s_delay_alu instid0(TRANS32_DEP_1) | instskip(SKIP_2) | instid1(VALU_DEP_4)
	v_fma_f32 v80, -v45, v64, 1.0
	v_fma_f32 v72, -v26, v56, 1.0
	;; [unrolled: 1-line block ×3, first 2 shown]
	v_dual_fmac_f32 v52, v68, v52 :: v_dual_fmac_f32 v55, v71, v55
	v_div_scale_f32 v7, s3, 1.0, v9, 1.0
	v_div_scale_f32 v30, null, v17, v17, 1.0
	v_fma_f32 v82, -v49, v66, 1.0
	v_dual_fmac_f32 v64, v80, v64 :: v_dual_mul_f32 v67, v3, v51
	v_div_scale_f32 v23, s4, 1.0, v1, 1.0
	v_fma_f32 v73, -v28, v57, 1.0
	v_fmac_f32_e32 v54, v70, v54
	v_div_scale_f32 v25, s5, 1.0, v10, 1.0
	v_div_scale_f32 v36, s9, 1.0, v12, 1.0
	s_delay_alu instid0(VALU_DEP_4) | instskip(SKIP_3) | instid1(VALU_DEP_2)
	v_dual_fmac_f32 v57, v73, v57 :: v_dual_fmac_f32 v56, v72, v56
	v_dual_fmac_f32 v59, v75, v59 :: v_dual_mul_f32 v68, v5, v52
	v_div_scale_f32 v39, null, v13, v13, 1.0
	v_rcp_f32_e32 v58, v30
	v_dual_mul_f32 v75, v36, v59 :: v_dual_fmac_f32 v66, v82, v66
	v_mul_f32_e32 v69, v7, v53
	v_div_scale_f32 v27, s6, 1.0, v16, 1.0
	v_div_scale_f32 v46, s14, 1.0, v20, 1.0
	v_fma_f32 v83, -v2, v67, v3
	v_div_scale_f32 v29, s7, 1.0, v11, 1.0
	v_dual_mul_f32 v70, v23, v54 :: v_dual_mul_f32 v71, v25, v55
	v_fma_f32 v84, -v4, v68, v5
	v_div_scale_f32 v50, s16, 1.0, v21, 1.0
	v_rcp_f32_e32 v61, v39
	v_fma_f32 v85, -v6, v69, v7
	v_dual_mul_f32 v72, v27, v56 :: v_dual_mul_f32 v73, v29, v57
	v_dual_mul_f32 v80, v46, v64 :: v_dual_fmac_f32 v67, v83, v51
	v_fma_f32 v86, -v22, v70, v23
	v_fma_f32 v87, -v24, v71, v25
	v_fmac_f32_e32 v68, v84, v52
	v_div_scale_f32 v37, null, v18, v18, 1.0
	v_fma_f32 v74, -v30, v58, 1.0
	s_delay_alu instid0(VALU_DEP_4)
	v_dual_fmac_f32 v71, v87, v55 :: v_dual_mul_f32 v82, v50, v66
	v_fmac_f32_e32 v69, v85, v53
	v_fma_f32 v88, -v26, v72, v27
	v_fma_f32 v2, -v2, v67, v3
	;; [unrolled: 1-line block ×3, first 2 shown]
	v_fmac_f32_e32 v70, v86, v54
	v_fma_f32 v3, -v4, v68, v5
	v_div_scale_f32 v43, null, v14, v14, 1.0
	s_delay_alu instid0(VALU_DEP_4)
	v_fmac_f32_e32 v73, v89, v57
	v_rcp_f32_e32 v60, v37
	v_div_scale_f32 v31, s8, 1.0, v17, 1.0
	v_fma_f32 v77, -v39, v61, 1.0
	v_fmac_f32_e32 v58, v74, v58
	v_fma_f32 v4, -v6, v69, v7
	v_fma_f32 v91, -v35, v75, v36
	v_fmac_f32_e32 v72, v88, v56
	v_div_fmas_f32 v2, v2, v51, v67
	s_mov_b32 vcc_lo, s2
	v_fma_f32 v5, -v22, v70, v23
	v_fmac_f32_e32 v75, v91, v59
	v_div_fmas_f32 v3, v3, v52, v68
	s_mov_b32 vcc_lo, s3
	v_rcp_f32_e32 v63, v43
	v_fma_f32 v6, -v24, v71, v25
	v_div_scale_f32 v40, s11, 1.0, v13, 1.0
	v_dual_fmac_f32 v61, v77, v61 :: v_dual_mul_f32 v74, v31, v58
	v_div_fmas_f32 v4, v4, v53, v69
	s_mov_b32 vcc_lo, s4
	v_fma_f32 v7, -v26, v72, v27
	s_delay_alu instid0(VALU_DEP_3)
	v_mul_f32_e32 v77, v40, v61
	v_div_fixup_f32 v2, v2, v8, 1.0
	v_div_fmas_f32 v5, v5, v54, v70
	s_mov_b32 vcc_lo, s5
	v_div_scale_f32 v41, null, v19, v19, 1.0
	v_fma_f32 v76, -v37, v60, 1.0
	v_div_fmas_f32 v6, v6, v55, v71
	s_mov_b32 vcc_lo, s6
	v_fma_f32 v90, -v30, v74, v31
	v_div_fmas_f32 v7, v7, v56, v72
	v_cmp_class_f32_e64 vcc_lo, v2, 0x1f8
	v_div_scale_f32 v47, null, v15, v15, 1.0
	v_rcp_f32_e32 v62, v41
	v_fma_f32 v22, -v28, v73, v29
	v_div_fixup_f32 v3, v3, v0, 1.0
	v_div_scale_f32 v38, s10, 1.0, v18, 1.0
	v_fma_f32 v79, -v43, v63, 1.0
	v_fmac_f32_e32 v60, v76, v60
	v_fma_f32 v84, -v39, v77, v40
	v_fmac_f32_e32 v74, v90, v58
	v_div_fixup_f32 v7, v7, v16, 1.0
	v_cndmask_b32_e32 v0, 0, v2, vcc_lo
	s_mov_b32 vcc_lo, s7
	v_rcp_f32_e32 v65, v47
	v_fma_f32 v87, -v45, v80, v46
	v_div_fmas_f32 v8, v22, v57, v73
	v_cmp_class_f32_e64 vcc_lo, v3, 0x1f8
	v_div_scale_f32 v44, s13, 1.0, v14, 1.0
	v_dual_fmac_f32 v63, v79, v63 :: v_dual_mul_f32 v76, v38, v60
	v_fmac_f32_e32 v77, v84, v61
	v_fma_f32 v23, -v30, v74, v31
	v_div_fixup_f32 v4, v4, v9, 1.0
	s_delay_alu instid0(VALU_DEP_4)
	v_mul_f32_e32 v79, v44, v63
	v_fma_f32 v78, -v41, v62, 1.0
	v_fmac_f32_e32 v80, v87, v64
	v_div_fixup_f32 v5, v5, v1, 1.0
	v_cndmask_b32_e32 v1, 0, v3, vcc_lo
	s_mov_b32 vcc_lo, s8
	v_fma_f32 v83, -v37, v76, v38
	v_div_fmas_f32 v9, v23, v58, v74
	v_cmp_class_f32_e64 vcc_lo, v4, 0x1f8
	v_fma_f32 v24, -v35, v75, v36
	v_div_scale_f32 v42, s12, 1.0, v19, 1.0
	v_fma_f32 v81, -v47, v65, 1.0
	v_fmac_f32_e32 v62, v78, v62
	v_fma_f32 v86, -v43, v79, v44
	v_fmac_f32_e32 v76, v83, v60
	v_div_fixup_f32 v9, v9, v17, 1.0
	v_cndmask_b32_e32 v2, 0, v4, vcc_lo
	s_mov_b32 vcc_lo, s9
	v_fma_f32 v89, -v49, v82, v50
	v_div_fixup_f32 v6, v6, v10, 1.0
	v_div_fmas_f32 v10, v24, v59, v75
	v_cmp_class_f32_e64 vcc_lo, v5, 0x1f8
	v_div_scale_f32 v48, s15, 1.0, v15, 1.0
	v_dual_fmac_f32 v65, v81, v65 :: v_dual_mul_f32 v78, v42, v62
	v_fmac_f32_e32 v79, v86, v63
	v_fma_f32 v25, -v37, v76, v38
	v_dual_fmac_f32 v82, v89, v66 :: v_dual_cndmask_b32 v3, 0, v5
	s_mov_b32 vcc_lo, s10
	v_mul_f32_e32 v81, v48, v65
	v_fma_f32 v85, -v41, v78, v42
	v_div_fixup_f32 v8, v8, v11, 1.0
	v_div_fmas_f32 v11, v25, v60, v76
	v_cmp_class_f32_e64 vcc_lo, v6, 0x1f8
	v_fma_f32 v26, -v39, v77, v40
	v_fma_f32 v88, -v47, v81, v48
	v_fmac_f32_e32 v78, v85, v62
	v_div_fixup_f32 v11, v11, v18, 1.0
	v_cndmask_b32_e32 v4, 0, v6, vcc_lo
	s_mov_b32 vcc_lo, s11
	v_fmac_f32_e32 v81, v88, v65
	v_div_fmas_f32 v16, v26, v61, v77
	v_cmp_class_f32_e64 vcc_lo, v7, 0x1f8
	v_fma_f32 v27, -v41, v78, v42
	v_div_fixup_f32 v10, v10, v12, 1.0
	v_fma_f32 v28, -v43, v79, v44
	v_fma_f32 v29, -v45, v80, v46
	v_cndmask_b32_e32 v5, 0, v7, vcc_lo
	s_mov_b32 vcc_lo, s12
	v_div_fixup_f32 v13, v16, v13, 1.0
	v_div_fmas_f32 v12, v27, v62, v78
	v_cmp_class_f32_e64 vcc_lo, v8, 0x1f8
	v_fma_f32 v30, -v47, v81, v48
	v_fma_f32 v31, -v49, v82, v50
	s_delay_alu instid0(VALU_DEP_4) | instskip(SKIP_4) | instid1(VALU_DEP_2)
	v_div_fixup_f32 v12, v12, v19, 1.0
	v_cndmask_b32_e32 v6, 0, v8, vcc_lo
	s_mov_b32 vcc_lo, s13
	v_div_fmas_f32 v17, v28, v63, v79
	v_cmp_class_f32_e64 vcc_lo, v9, 0x1f8
	v_div_fixup_f32 v14, v17, v14, 1.0
	v_cndmask_b32_e32 v7, 0, v9, vcc_lo
	s_mov_b32 vcc_lo, s14
	v_div_fmas_f32 v16, v29, v64, v80
	v_cmp_class_f32_e64 vcc_lo, v10, 0x1f8
	v_cndmask_b32_e32 v8, 0, v10, vcc_lo
	s_mov_b32 vcc_lo, s15
	v_div_fmas_f32 v18, v30, v65, v81
	v_cmp_class_f32_e64 vcc_lo, v11, 0x1f8
	s_delay_alu instid0(VALU_DEP_2)
	v_div_fixup_f32 v15, v18, v15, 1.0
	v_cndmask_b32_e32 v9, 0, v11, vcc_lo
	s_mov_b32 vcc_lo, s16
	v_div_fmas_f32 v17, v31, v66, v82
	v_cmp_class_f32_e64 vcc_lo, v13, 0x1f8
	v_cndmask_b32_e32 v10, 0, v13, vcc_lo
	v_cmp_class_f32_e64 vcc_lo, v12, 0x1f8
	v_div_fixup_f32 v13, v16, v20, 1.0
	v_div_fixup_f32 v16, v17, v21, 1.0
	v_cndmask_b32_e32 v11, 0, v12, vcc_lo
	v_cmp_class_f32_e64 vcc_lo, v14, 0x1f8
	v_cndmask_b32_e32 v12, 0, v14, vcc_lo
	v_cmp_class_f32_e64 vcc_lo, v13, 0x1f8
	;; [unrolled: 2-line block ×4, first 2 shown]
	v_cndmask_b32_e32 v15, 0, v16, vcc_lo
	s_cbranch_scc1 .LBB329_35
; %bb.4:
	v_lshlrev_b32_e32 v28, 2, v34
	s_clause 0x3
	global_load_b128 v[16:19], v28, s[18:19]
	global_load_b128 v[20:23], v28, s[18:19] offset:16
	global_load_b128 v[24:27], v28, s[18:19] offset:1024
	;; [unrolled: 1-line block ×3, first 2 shown]
	s_waitcnt vmcnt(3)
	v_dual_add_f32 v17, v17, v1 :: v_dual_add_f32 v16, v16, v0
	v_dual_add_f32 v19, v19, v3 :: v_dual_add_f32 v18, v18, v2
	s_waitcnt vmcnt(2)
	v_dual_add_f32 v21, v21, v5 :: v_dual_add_f32 v20, v20, v4
	v_dual_add_f32 v23, v23, v7 :: v_dual_add_f32 v22, v22, v6
	;; [unrolled: 3-line block ×4, first 2 shown]
	s_cbranch_execnz .LBB329_6
.LBB329_5:
	v_dual_mov_b32 v31, v15 :: v_dual_mov_b32 v30, v14
	v_dual_mov_b32 v29, v13 :: v_dual_mov_b32 v28, v12
	;; [unrolled: 1-line block ×8, first 2 shown]
.LBB329_6:
	s_load_b128 s[12:15], s[0:1], 0x30
	v_cmp_eq_u32_e64 s2, 0, v33
	s_mov_b32 s10, 0
	s_waitcnt lgkmcnt(0)
	s_bitcmp1_b32 s15, 0
	s_cselect_b32 vcc_lo, -1, 0
	s_cmp_gt_i32 s12, 0
	s_cselect_b32 s9, -1, 0
	s_cmp_lt_i32 s12, 1
	s_cbranch_scc1 .LBB329_36
; %bb.7:
	v_mbcnt_lo_u32_b32 v36, -1, 0
	s_load_b128 s[16:19], s[0:1], 0x20
	v_mul_lo_u32 v35, v32, s12
	v_mov_b32_e32 v42, v32
	s_delay_alu instid0(VALU_DEP_3)
	v_xor_b32_e32 v37, 16, v36
	v_xor_b32_e32 v38, 8, v36
	;; [unrolled: 1-line block ×5, first 2 shown]
	v_cmp_gt_i32_e64 s0, 32, v37
	s_delay_alu instid0(VALU_DEP_1) | instskip(SKIP_1) | instid1(VALU_DEP_2)
	v_cndmask_b32_e64 v37, v36, v37, s0
	v_cmp_gt_i32_e64 s0, 32, v38
	v_lshlrev_b32_e32 v37, 2, v37
	s_delay_alu instid0(VALU_DEP_2) | instskip(SKIP_1) | instid1(VALU_DEP_2)
	v_cndmask_b32_e64 v38, v36, v38, s0
	v_cmp_gt_i32_e64 s0, 32, v39
	v_lshlrev_b32_e32 v38, 2, v38
	s_delay_alu instid0(VALU_DEP_2) | instskip(SKIP_1) | instid1(VALU_DEP_2)
	;; [unrolled: 4-line block ×3, first 2 shown]
	v_cndmask_b32_e64 v40, v36, v40, s0
	v_cmp_gt_i32_e64 s0, 32, v41
	v_lshlrev_b32_e32 v40, 2, v40
	s_delay_alu instid0(VALU_DEP_2) | instskip(NEXT) | instid1(VALU_DEP_1)
	v_cndmask_b32_e64 v36, v36, v41, s0
	v_dual_mov_b32 v36, 0 :: v_dual_lshlrev_b32 v41, 2, v36
	s_branch .LBB329_10
.LBB329_8:                              ;   in Loop: Header=BB329_10 Depth=1
	s_or_b32 exec_lo, exec_lo, s1
.LBB329_9:                              ;   in Loop: Header=BB329_10 Depth=1
	v_add_nc_u32_e32 v42, s22, v42
	s_cmp_eq_u32 s12, s10
	s_cbranch_scc1 .LBB329_37
.LBB329_10:                             ; =>This Inner Loop Header: Depth=1
	v_cmp_gt_f32_e64 s0, v17, v16
	s_delay_alu instid0(VALU_DEP_1) | instskip(SKIP_2) | instid1(VALU_DEP_3)
	v_cndmask_b32_e64 v44, v16, v17, s0
	v_cndmask_b32_e64 v43, 0, 1, s0
	;; [unrolled: 1-line block ×3, first 2 shown]
	v_cmp_gt_f32_e64 s1, v18, v44
	s_delay_alu instid0(VALU_DEP_1) | instskip(NEXT) | instid1(VALU_DEP_4)
	v_cndmask_b32_e64 v44, v44, v18, s1
	v_cndmask_b32_e64 v43, v43, 2, s1
	s_delay_alu instid0(VALU_DEP_4) | instskip(NEXT) | instid1(VALU_DEP_3)
	v_cndmask_b32_e64 v45, v45, v2, s1
	v_cmp_gt_f32_e64 s3, v19, v44
	s_delay_alu instid0(VALU_DEP_1) | instskip(NEXT) | instid1(VALU_DEP_4)
	v_cndmask_b32_e64 v44, v44, v19, s3
	v_cndmask_b32_e64 v43, v43, 3, s3
	s_delay_alu instid0(VALU_DEP_4) | instskip(NEXT) | instid1(VALU_DEP_3)
	v_cndmask_b32_e64 v45, v45, v3, s3
	;; [unrolled: 6-line block ×10, first 2 shown]
	v_cmp_gt_f32_e64 s4, v28, v44
	s_delay_alu instid0(VALU_DEP_1) | instskip(NEXT) | instid1(VALU_DEP_4)
	v_cndmask_b32_e64 v44, v44, v28, s4
	v_cndmask_b32_e64 v43, v43, 0x104, s4
	s_delay_alu instid0(VALU_DEP_4) | instskip(SKIP_1) | instid1(VALU_DEP_3)
	v_cndmask_b32_e64 v45, v45, v12, s4
	s_mov_b32 s4, exec_lo
	v_cmp_gt_f32_e64 s0, v29, v44
	s_delay_alu instid0(VALU_DEP_1) | instskip(SKIP_2) | instid1(VALU_DEP_3)
	v_cndmask_b32_e64 v44, v44, v29, s0
	v_cndmask_b32_e64 v43, v43, 0x105, s0
	;; [unrolled: 1-line block ×3, first 2 shown]
	v_cmp_gt_f32_e64 s1, v30, v44
	s_delay_alu instid0(VALU_DEP_1) | instskip(NEXT) | instid1(VALU_DEP_4)
	v_cndmask_b32_e64 v44, v44, v30, s1
	v_cndmask_b32_e64 v43, v43, 0x106, s1
	s_waitcnt lgkmcnt(0)
	v_cndmask_b32_e64 v46, v45, v14, s1
	s_delay_alu instid0(VALU_DEP_3) | instskip(NEXT) | instid1(VALU_DEP_1)
	v_cmp_gt_f32_e64 s0, v31, v44
	v_cndmask_b32_e64 v43, v43, 0x107, s0
	v_cndmask_b32_e64 v45, v44, v31, s0
	s_delay_alu instid0(VALU_DEP_4) | instskip(NEXT) | instid1(VALU_DEP_3)
	v_cndmask_b32_e64 v44, v46, v15, s0
	v_or_b32_e32 v43, v34, v43
	ds_bpermute_b32 v46, v37, v45
	ds_bpermute_b32 v48, v37, v44
	;; [unrolled: 1-line block ×3, first 2 shown]
	s_waitcnt lgkmcnt(0)
	v_cmp_lt_f32_e64 s3, v45, v46
	v_cmpx_nlt_f32_e32 v45, v46
; %bb.11:                               ;   in Loop: Header=BB329_10 Depth=1
	v_cmp_eq_f32_e64 s0, v45, v46
	v_cmp_lt_i32_e64 s1, v47, v43
	s_delay_alu instid0(VALU_DEP_1) | instskip(SKIP_2) | instid1(SALU_CYCLE_1)
	s_and_b32 s0, s0, s1
	s_and_not1_b32 s1, s3, exec_lo
	s_and_b32 s0, s0, exec_lo
	s_or_b32 s3, s1, s0
; %bb.12:                               ;   in Loop: Header=BB329_10 Depth=1
	s_or_b32 exec_lo, exec_lo, s4
	s_and_saveexec_b32 s0, s3
; %bb.13:                               ;   in Loop: Header=BB329_10 Depth=1
	v_dual_mov_b32 v44, v48 :: v_dual_mov_b32 v45, v46
	v_mov_b32_e32 v43, v47
; %bb.14:                               ;   in Loop: Header=BB329_10 Depth=1
	s_or_b32 exec_lo, exec_lo, s0
	ds_bpermute_b32 v46, v38, v45
	ds_bpermute_b32 v48, v38, v44
	;; [unrolled: 1-line block ×3, first 2 shown]
	s_mov_b32 s4, exec_lo
	s_waitcnt lgkmcnt(2)
	v_cmp_lt_f32_e64 s3, v45, v46
	v_cmpx_nlt_f32_e32 v45, v46
	s_cbranch_execz .LBB329_16
; %bb.15:                               ;   in Loop: Header=BB329_10 Depth=1
	v_cmp_eq_f32_e64 s0, v45, v46
	s_waitcnt lgkmcnt(0)
	v_cmp_lt_i32_e64 s1, v47, v43
	s_delay_alu instid0(VALU_DEP_1) | instskip(SKIP_2) | instid1(SALU_CYCLE_1)
	s_and_b32 s0, s0, s1
	s_and_not1_b32 s1, s3, exec_lo
	s_and_b32 s0, s0, exec_lo
	s_or_b32 s3, s1, s0
.LBB329_16:                             ;   in Loop: Header=BB329_10 Depth=1
	s_or_b32 exec_lo, exec_lo, s4
	s_delay_alu instid0(VALU_DEP_2)
	s_and_saveexec_b32 s0, s3
	s_cbranch_execz .LBB329_18
; %bb.17:                               ;   in Loop: Header=BB329_10 Depth=1
	s_waitcnt lgkmcnt(1)
	v_dual_mov_b32 v44, v48 :: v_dual_mov_b32 v45, v46
	s_waitcnt lgkmcnt(0)
	v_mov_b32_e32 v43, v47
.LBB329_18:                             ;   in Loop: Header=BB329_10 Depth=1
	s_or_b32 exec_lo, exec_lo, s0
	ds_bpermute_b32 v46, v39, v45
	s_waitcnt lgkmcnt(2)
	ds_bpermute_b32 v48, v39, v44
	s_waitcnt lgkmcnt(2)
	ds_bpermute_b32 v47, v39, v43
	s_mov_b32 s4, exec_lo
	s_waitcnt lgkmcnt(2)
	v_cmp_lt_f32_e64 s3, v45, v46
	v_cmpx_nlt_f32_e32 v45, v46
	s_cbranch_execz .LBB329_20
; %bb.19:                               ;   in Loop: Header=BB329_10 Depth=1
	v_cmp_eq_f32_e64 s0, v45, v46
	s_waitcnt lgkmcnt(0)
	v_cmp_lt_i32_e64 s1, v47, v43
	s_delay_alu instid0(VALU_DEP_1) | instskip(SKIP_2) | instid1(SALU_CYCLE_1)
	s_and_b32 s0, s0, s1
	s_and_not1_b32 s1, s3, exec_lo
	s_and_b32 s0, s0, exec_lo
	s_or_b32 s3, s1, s0
.LBB329_20:                             ;   in Loop: Header=BB329_10 Depth=1
	s_or_b32 exec_lo, exec_lo, s4
	s_delay_alu instid0(VALU_DEP_2)
	s_and_saveexec_b32 s0, s3
	s_cbranch_execz .LBB329_22
; %bb.21:                               ;   in Loop: Header=BB329_10 Depth=1
	s_waitcnt lgkmcnt(1)
	v_dual_mov_b32 v44, v48 :: v_dual_mov_b32 v45, v46
	s_waitcnt lgkmcnt(0)
	v_mov_b32_e32 v43, v47
.LBB329_22:                             ;   in Loop: Header=BB329_10 Depth=1
	s_or_b32 exec_lo, exec_lo, s0
	ds_bpermute_b32 v46, v40, v45
	s_waitcnt lgkmcnt(2)
	ds_bpermute_b32 v48, v40, v44
	s_waitcnt lgkmcnt(2)
	ds_bpermute_b32 v47, v40, v43
	s_mov_b32 s4, exec_lo
	s_waitcnt lgkmcnt(2)
	v_cmp_lt_f32_e64 s3, v45, v46
	v_cmpx_nlt_f32_e32 v45, v46
	s_cbranch_execz .LBB329_24
; %bb.23:                               ;   in Loop: Header=BB329_10 Depth=1
	v_cmp_eq_f32_e64 s0, v45, v46
	s_waitcnt lgkmcnt(0)
	v_cmp_lt_i32_e64 s1, v47, v43
	s_delay_alu instid0(VALU_DEP_1) | instskip(SKIP_2) | instid1(SALU_CYCLE_1)
	s_and_b32 s0, s0, s1
	s_and_not1_b32 s1, s3, exec_lo
	s_and_b32 s0, s0, exec_lo
	s_or_b32 s3, s1, s0
.LBB329_24:                             ;   in Loop: Header=BB329_10 Depth=1
	s_or_b32 exec_lo, exec_lo, s4
	s_delay_alu instid0(VALU_DEP_2)
	s_and_saveexec_b32 s0, s3
	s_cbranch_execz .LBB329_26
; %bb.25:                               ;   in Loop: Header=BB329_10 Depth=1
	s_waitcnt lgkmcnt(1)
	v_dual_mov_b32 v44, v48 :: v_dual_mov_b32 v45, v46
	s_waitcnt lgkmcnt(0)
	v_mov_b32_e32 v43, v47
.LBB329_26:                             ;   in Loop: Header=BB329_10 Depth=1
	s_or_b32 exec_lo, exec_lo, s0
	s_waitcnt lgkmcnt(1)
	ds_bpermute_b32 v48, v41, v45
	ds_bpermute_b32 v46, v41, v44
	s_waitcnt lgkmcnt(2)
	ds_bpermute_b32 v47, v41, v43
	s_mov_b32 s4, exec_lo
	s_waitcnt lgkmcnt(2)
	v_cmp_lt_f32_e64 s3, v45, v48
	v_cmpx_nlt_f32_e32 v45, v48
	s_cbranch_execnz .LBB329_30
; %bb.27:                               ;   in Loop: Header=BB329_10 Depth=1
	s_or_b32 exec_lo, exec_lo, s4
	s_delay_alu instid0(VALU_DEP_2)
	s_and_saveexec_b32 s0, s3
	s_cbranch_execnz .LBB329_31
.LBB329_28:                             ;   in Loop: Header=BB329_10 Depth=1
	s_or_b32 exec_lo, exec_lo, s0
	s_and_saveexec_b32 s3, s2
	s_cbranch_execnz .LBB329_32
.LBB329_29:                             ;   in Loop: Header=BB329_10 Depth=1
	s_or_b32 exec_lo, exec_lo, s3
	s_add_i32 s10, s10, 1
	s_delay_alu instid0(SALU_CYCLE_1)
	s_cmp_ge_i32 s10, s12
	s_cbranch_scc1 .LBB329_9
	s_branch .LBB329_33
.LBB329_30:                             ;   in Loop: Header=BB329_10 Depth=1
	v_cmp_eq_f32_e64 s0, v45, v48
	s_waitcnt lgkmcnt(0)
	v_cmp_lt_i32_e64 s1, v47, v43
	s_delay_alu instid0(VALU_DEP_1) | instskip(SKIP_2) | instid1(SALU_CYCLE_1)
	s_and_b32 s0, s0, s1
	s_and_not1_b32 s1, s3, exec_lo
	s_and_b32 s0, s0, exec_lo
	s_or_b32 s3, s1, s0
	s_or_b32 exec_lo, exec_lo, s4
	s_and_saveexec_b32 s0, s3
	s_cbranch_execz .LBB329_28
.LBB329_31:                             ;   in Loop: Header=BB329_10 Depth=1
	s_waitcnt lgkmcnt(0)
	v_dual_mov_b32 v43, v47 :: v_dual_mov_b32 v44, v46
	s_or_b32 exec_lo, exec_lo, s0
	s_and_saveexec_b32 s3, s2
	s_cbranch_execz .LBB329_29
.LBB329_32:                             ;   in Loop: Header=BB329_10 Depth=1
	s_delay_alu instid0(VALU_DEP_1)
	v_dual_add_f32 v52, v36, v44 :: v_dual_add_nc_u32 v45, s10, v35
	v_cmp_le_i32_e64 s0, s13, v43
	v_cmp_gt_i32_e64 s1, s14, v43
	s_waitcnt lgkmcnt(0)
	v_subrev_nc_u32_e32 v47, s13, v43
	v_ashrrev_i32_e32 v46, 31, v45
	v_cndmask_b32_e32 v36, v36, v52, vcc_lo
	s_and_b32 s0, s0, s1
	s_delay_alu instid0(SALU_CYCLE_1) | instskip(NEXT) | instid1(VALU_DEP_2)
	s_and_b32 s0, s23, s0
	v_lshlrev_b64 v[45:46], 2, v[45:46]
	v_cndmask_b32_e64 v51, 0x200, v47, s0
	s_delay_alu instid0(VALU_DEP_2) | instskip(NEXT) | instid1(VALU_DEP_1)
	v_add_co_u32 v47, s0, s20, v45
	v_add_co_ci_u32_e64 v48, s0, s21, v46, s0
	v_add_co_u32 v49, s0, s16, v45
	s_delay_alu instid0(VALU_DEP_1) | instskip(SKIP_1) | instid1(VALU_DEP_1)
	v_add_co_ci_u32_e64 v50, s0, s17, v46, s0
	v_add_co_u32 v45, s0, s18, v45
	v_add_co_ci_u32_e64 v46, s0, s19, v46, s0
	global_store_b32 v[47:48], v44, off
	global_store_b32 v[49:50], v51, off
	;; [unrolled: 1-line block ×3, first 2 shown]
	s_or_b32 exec_lo, exec_lo, s3
	s_add_i32 s10, s10, 1
	s_delay_alu instid0(SALU_CYCLE_1)
	s_cmp_ge_i32 s10, s12
	s_cbranch_scc1 .LBB329_9
.LBB329_33:                             ;   in Loop: Header=BB329_10 Depth=1
	v_ashrrev_i32_e32 v44, 31, v43
	s_mov_b32 s1, exec_lo
	s_delay_alu instid0(VALU_DEP_1) | instskip(NEXT) | instid1(VALU_DEP_1)
	v_lshrrev_b32_e32 v45, 29, v44
	v_add_nc_u32_e32 v45, v43, v45
	s_waitcnt lgkmcnt(1)
	s_delay_alu instid0(VALU_DEP_1) | instskip(SKIP_1) | instid1(VALU_DEP_2)
	v_ashrrev_i32_e32 v46, 31, v45
	v_ashrrev_i32_e32 v45, 3, v45
	v_lshrrev_b32_e32 v46, 27, v46
	s_delay_alu instid0(VALU_DEP_1) | instskip(NEXT) | instid1(VALU_DEP_1)
	v_add_nc_u32_e32 v46, v45, v46
	v_and_b32_e32 v46, 0xffffffe0, v46
	s_delay_alu instid0(VALU_DEP_1) | instskip(NEXT) | instid1(VALU_DEP_1)
	v_sub_nc_u32_e32 v46, v45, v46
	v_cmpx_eq_u32_e64 v33, v46
	s_cbranch_execz .LBB329_8
; %bb.34:                               ;   in Loop: Header=BB329_10 Depth=1
	v_lshrrev_b32_e32 v44, 24, v44
	v_lshlrev_b32_e32 v45, 3, v45
	s_delay_alu instid0(VALU_DEP_2) | instskip(NEXT) | instid1(VALU_DEP_2)
	v_add_nc_u32_e32 v44, v43, v44
	v_sub_nc_u32_e32 v43, v43, v45
	s_delay_alu instid0(VALU_DEP_2) | instskip(NEXT) | instid1(VALU_DEP_1)
	v_ashrrev_i32_e32 v44, 8, v44
	v_lshl_add_u32 v43, v44, 3, v43
	s_delay_alu instid0(VALU_DEP_1) | instskip(NEXT) | instid1(VALU_DEP_1)
	v_cmp_ne_u32_e64 s0, 15, v43
	v_cndmask_b32_e64 v31, 0xc61c4000, v31, s0
	v_cmp_ne_u32_e64 s0, 14, v43
	s_delay_alu instid0(VALU_DEP_1) | instskip(SKIP_1) | instid1(VALU_DEP_1)
	v_cndmask_b32_e64 v30, 0xc61c4000, v30, s0
	v_cmp_ne_u32_e64 s0, 13, v43
	v_cndmask_b32_e64 v29, 0xc61c4000, v29, s0
	v_cmp_ne_u32_e64 s0, 12, v43
	s_delay_alu instid0(VALU_DEP_1) | instskip(SKIP_1) | instid1(VALU_DEP_1)
	v_cndmask_b32_e64 v28, 0xc61c4000, v28, s0
	;; [unrolled: 5-line block ×7, first 2 shown]
	v_cmp_ne_u32_e64 s0, 1, v43
	v_cndmask_b32_e64 v17, 0xc61c4000, v17, s0
	v_cmp_ne_u32_e64 s0, 0, v43
	s_delay_alu instid0(VALU_DEP_1)
	v_cndmask_b32_e64 v16, 0xc61c4000, v16, s0
	s_branch .LBB329_8
.LBB329_35:
                                        ; implicit-def: $vgpr16_vgpr17_vgpr18_vgpr19_vgpr20_vgpr21_vgpr22_vgpr23_vgpr24_vgpr25_vgpr26_vgpr27_vgpr28_vgpr29_vgpr30_vgpr31
	s_and_not1_b32 vcc_lo, exec_lo, s17
	s_cbranch_vccz .LBB329_5
	s_branch .LBB329_6
.LBB329_36:
	v_mov_b32_e32 v36, 0
.LBB329_37:
	v_cmp_eq_u32_e64 s0, 0, v33
	s_delay_alu instid0(VALU_DEP_1) | instskip(NEXT) | instid1(SALU_CYCLE_1)
	s_and_b32 s0, s0, vcc_lo
	s_and_b32 exec_lo, exec_lo, s0
	s_cbranch_execz .LBB329_41
; %bb.38:
	s_and_not1_b32 vcc_lo, exec_lo, s9
	s_cbranch_vccnz .LBB329_41
; %bb.39:
	v_mul_lo_u32 v0, v32, s12
	v_cmp_lt_f32_e32 vcc_lo, 0, v36
	v_cndmask_b32_e32 v2, 1.0, v36, vcc_lo
	s_delay_alu instid0(VALU_DEP_3) | instskip(NEXT) | instid1(VALU_DEP_1)
	v_ashrrev_i32_e32 v1, 31, v0
	v_lshlrev_b64 v[0:1], 2, v[0:1]
	s_delay_alu instid0(VALU_DEP_1) | instskip(NEXT) | instid1(VALU_DEP_2)
	v_add_co_u32 v0, vcc_lo, s20, v0
	v_add_co_ci_u32_e32 v1, vcc_lo, s21, v1, vcc_lo
	.p2align	6
.LBB329_40:                             ; =>This Inner Loop Header: Depth=1
	global_load_b32 v3, v[0:1], off
	s_add_i32 s12, s12, -1
	s_delay_alu instid0(SALU_CYCLE_1) | instskip(SKIP_3) | instid1(VALU_DEP_2)
	s_cmp_lg_u32 s12, 0
	s_waitcnt vmcnt(0)
	v_div_scale_f32 v4, null, v2, v2, v3
	v_div_scale_f32 v7, vcc_lo, v3, v2, v3
	v_rcp_f32_e32 v5, v4
	s_waitcnt_depctr 0xfff
	v_fma_f32 v6, -v4, v5, 1.0
	s_delay_alu instid0(VALU_DEP_1) | instskip(NEXT) | instid1(VALU_DEP_1)
	v_fmac_f32_e32 v5, v6, v5
	v_mul_f32_e32 v6, v7, v5
	s_delay_alu instid0(VALU_DEP_1) | instskip(NEXT) | instid1(VALU_DEP_1)
	v_fma_f32 v8, -v4, v6, v7
	v_fmac_f32_e32 v6, v8, v5
	s_delay_alu instid0(VALU_DEP_1) | instskip(NEXT) | instid1(VALU_DEP_1)
	v_fma_f32 v4, -v4, v6, v7
	v_div_fmas_f32 v4, v4, v5, v6
	s_delay_alu instid0(VALU_DEP_1)
	v_div_fixup_f32 v3, v4, v2, v3
	global_store_b32 v[0:1], v3, off
	v_add_co_u32 v0, vcc_lo, v0, 4
	v_add_co_ci_u32_e32 v1, vcc_lo, 0, v1, vcc_lo
	s_cbranch_scc1 .LBB329_40
.LBB329_41:
	s_nop 0
	s_sendmsg sendmsg(MSG_DEALLOC_VGPRS)
	s_endpgm
	.section	.rodata,"a",@progbits
	.p2align	6, 0x0
	.amdhsa_kernel _ZN4vllm3moe10topkGatingILi16ELi512ELi4ELi16ELi32Ei14__hip_bfloat16LNS0_11ScoringFuncE1EEEvPKT5_PKbPfiPT4_PiiiibPKf
		.amdhsa_group_segment_fixed_size 0
		.amdhsa_private_segment_fixed_size 0
		.amdhsa_kernarg_size 72
		.amdhsa_user_sgpr_count 15
		.amdhsa_user_sgpr_dispatch_ptr 0
		.amdhsa_user_sgpr_queue_ptr 0
		.amdhsa_user_sgpr_kernarg_segment_ptr 1
		.amdhsa_user_sgpr_dispatch_id 0
		.amdhsa_user_sgpr_private_segment_size 0
		.amdhsa_wavefront_size32 1
		.amdhsa_uses_dynamic_stack 0
		.amdhsa_enable_private_segment 0
		.amdhsa_system_sgpr_workgroup_id_x 1
		.amdhsa_system_sgpr_workgroup_id_y 0
		.amdhsa_system_sgpr_workgroup_id_z 0
		.amdhsa_system_sgpr_workgroup_info 0
		.amdhsa_system_vgpr_workitem_id 1
		.amdhsa_next_free_vgpr 92
		.amdhsa_next_free_sgpr 24
		.amdhsa_reserve_vcc 1
		.amdhsa_float_round_mode_32 0
		.amdhsa_float_round_mode_16_64 0
		.amdhsa_float_denorm_mode_32 3
		.amdhsa_float_denorm_mode_16_64 3
		.amdhsa_dx10_clamp 1
		.amdhsa_ieee_mode 1
		.amdhsa_fp16_overflow 0
		.amdhsa_workgroup_processor_mode 1
		.amdhsa_memory_ordered 1
		.amdhsa_forward_progress 0
		.amdhsa_shared_vgpr_count 0
		.amdhsa_exception_fp_ieee_invalid_op 0
		.amdhsa_exception_fp_denorm_src 0
		.amdhsa_exception_fp_ieee_div_zero 0
		.amdhsa_exception_fp_ieee_overflow 0
		.amdhsa_exception_fp_ieee_underflow 0
		.amdhsa_exception_fp_ieee_inexact 0
		.amdhsa_exception_int_div_zero 0
	.end_amdhsa_kernel
	.section	.text._ZN4vllm3moe10topkGatingILi16ELi512ELi4ELi16ELi32Ei14__hip_bfloat16LNS0_11ScoringFuncE1EEEvPKT5_PKbPfiPT4_PiiiibPKf,"axG",@progbits,_ZN4vllm3moe10topkGatingILi16ELi512ELi4ELi16ELi32Ei14__hip_bfloat16LNS0_11ScoringFuncE1EEEvPKT5_PKbPfiPT4_PiiiibPKf,comdat
.Lfunc_end329:
	.size	_ZN4vllm3moe10topkGatingILi16ELi512ELi4ELi16ELi32Ei14__hip_bfloat16LNS0_11ScoringFuncE1EEEvPKT5_PKbPfiPT4_PiiiibPKf, .Lfunc_end329-_ZN4vllm3moe10topkGatingILi16ELi512ELi4ELi16ELi32Ei14__hip_bfloat16LNS0_11ScoringFuncE1EEEvPKT5_PKbPfiPT4_PiiiibPKf
                                        ; -- End function
	.section	.AMDGPU.csdata,"",@progbits
; Kernel info:
; codeLenInByte = 4816
; NumSgprs: 26
; NumVgprs: 92
; ScratchSize: 0
; MemoryBound: 0
; FloatMode: 240
; IeeeMode: 1
; LDSByteSize: 0 bytes/workgroup (compile time only)
; SGPRBlocks: 3
; VGPRBlocks: 11
; NumSGPRsForWavesPerEU: 26
; NumVGPRsForWavesPerEU: 92
; Occupancy: 16
; WaveLimiterHint : 1
; COMPUTE_PGM_RSRC2:SCRATCH_EN: 0
; COMPUTE_PGM_RSRC2:USER_SGPR: 15
; COMPUTE_PGM_RSRC2:TRAP_HANDLER: 0
; COMPUTE_PGM_RSRC2:TGID_X_EN: 1
; COMPUTE_PGM_RSRC2:TGID_Y_EN: 0
; COMPUTE_PGM_RSRC2:TGID_Z_EN: 0
; COMPUTE_PGM_RSRC2:TIDIG_COMP_CNT: 1
	.section	.text._ZN4vllm3moe10moeSigmoidILi256E14__hip_bfloat16EEvPKT0_PKbPfi,"axG",@progbits,_ZN4vllm3moe10moeSigmoidILi256E14__hip_bfloat16EEvPKT0_PKbPfi,comdat
	.protected	_ZN4vllm3moe10moeSigmoidILi256E14__hip_bfloat16EEvPKT0_PKbPfi ; -- Begin function _ZN4vllm3moe10moeSigmoidILi256E14__hip_bfloat16EEvPKT0_PKbPfi
	.globl	_ZN4vllm3moe10moeSigmoidILi256E14__hip_bfloat16EEvPKT0_PKbPfi
	.p2align	8
	.type	_ZN4vllm3moe10moeSigmoidILi256E14__hip_bfloat16EEvPKT0_PKbPfi,@function
_ZN4vllm3moe10moeSigmoidILi256E14__hip_bfloat16EEvPKT0_PKbPfi: ; @_ZN4vllm3moe10moeSigmoidILi256E14__hip_bfloat16EEvPKT0_PKbPfi
; %bb.0:
	s_clause 0x1
	s_load_b32 s3, s[0:1], 0x18
	s_load_b128 s[4:7], s[0:1], 0x0
	s_waitcnt lgkmcnt(0)
	v_cmp_gt_i32_e32 vcc_lo, s3, v0
	s_cmp_eq_u64 s[6:7], 0
	s_cbranch_scc1 .LBB330_7
; %bb.1:
	v_mov_b32_e32 v1, s15
	global_load_u8 v1, v1, s[6:7]
	s_waitcnt vmcnt(0)
	v_and_b32_e32 v1, 1, v1
	s_delay_alu instid0(VALU_DEP_1) | instskip(NEXT) | instid1(VALU_DEP_1)
	v_cmp_eq_u32_e64 s2, 1, v1
	s_xor_b32 s2, s2, -1
	s_delay_alu instid0(SALU_CYCLE_1) | instskip(NEXT) | instid1(SALU_CYCLE_1)
	s_and_b32 s2, vcc_lo, s2
	s_and_b32 s2, s2, exec_lo
	s_cbranch_execnz .LBB330_3
.LBB330_2:
	v_cmp_gt_i32_e32 vcc_lo, s3, v0
	s_and_not1_b32 s2, s2, exec_lo
	s_and_b32 s6, vcc_lo, exec_lo
	s_delay_alu instid0(SALU_CYCLE_1)
	s_or_b32 s2, s2, s6
.LBB330_3:
	s_delay_alu instid0(SALU_CYCLE_1)
	s_and_saveexec_b32 s6, s2
	s_cbranch_execz .LBB330_6
; %bb.4:
	s_load_b64 s[0:1], s[0:1], 0x10
	s_mul_i32 s15, s15, s3
	s_delay_alu instid0(SALU_CYCLE_1) | instskip(SKIP_1) | instid1(VALU_DEP_1)
	s_ashr_i32 s2, s15, 31
	v_add_co_u32 v1, s6, s15, v0
	v_add_co_ci_u32_e64 v2, null, s2, 0, s6
	s_delay_alu instid0(VALU_DEP_1) | instskip(SKIP_1) | instid1(VALU_DEP_2)
	v_lshlrev_b64 v[3:4], 1, v[1:2]
	v_lshlrev_b64 v[5:6], 2, v[1:2]
	v_add_co_u32 v1, vcc_lo, s4, v3
	s_delay_alu instid0(VALU_DEP_3) | instskip(SKIP_1) | instid1(VALU_DEP_3)
	v_add_co_ci_u32_e32 v2, vcc_lo, s5, v4, vcc_lo
	s_waitcnt lgkmcnt(0)
	v_add_co_u32 v3, vcc_lo, s0, v5
	s_delay_alu instid0(VALU_DEP_4)
	v_add_co_ci_u32_e32 v4, vcc_lo, s1, v6, vcc_lo
	s_mov_b32 s1, 0
	s_set_inst_prefetch_distance 0x1
	.p2align	6
.LBB330_5:                              ; =>This Inner Loop Header: Depth=1
	global_load_u16 v5, v[1:2], off
	v_add_co_u32 v1, vcc_lo, 0x200, v1
	v_add_co_ci_u32_e32 v2, vcc_lo, 0, v2, vcc_lo
	s_waitcnt vmcnt(0)
	v_lshlrev_b32_e32 v5, 16, v5
	s_delay_alu instid0(VALU_DEP_1) | instskip(NEXT) | instid1(VALU_DEP_1)
	v_mul_f32_e32 v5, 0xbfb8aa3b, v5
	v_exp_f32_e32 v5, v5
	s_waitcnt_depctr 0xfff
	v_dual_add_f32 v5, 1.0, v5 :: v_dual_add_nc_u32 v0, 0x100, v0
	s_delay_alu instid0(VALU_DEP_1) | instskip(NEXT) | instid1(VALU_DEP_2)
	v_cmp_le_i32_e64 s0, s3, v0
	v_div_scale_f32 v6, null, v5, v5, 1.0
	v_div_scale_f32 v8, vcc_lo, 1.0, v5, 1.0
	s_delay_alu instid0(VALU_DEP_3) | instskip(NEXT) | instid1(VALU_DEP_2)
	s_or_b32 s1, s0, s1
	v_rcp_f32_e32 v7, v6
	s_waitcnt_depctr 0xfff
	v_fma_f32 v9, -v6, v7, 1.0
	s_delay_alu instid0(VALU_DEP_1) | instskip(NEXT) | instid1(VALU_DEP_1)
	v_fmac_f32_e32 v7, v9, v7
	v_mul_f32_e32 v9, v8, v7
	s_delay_alu instid0(VALU_DEP_1) | instskip(NEXT) | instid1(VALU_DEP_1)
	v_fma_f32 v10, -v6, v9, v8
	v_fmac_f32_e32 v9, v10, v7
	s_delay_alu instid0(VALU_DEP_1) | instskip(NEXT) | instid1(VALU_DEP_1)
	v_fma_f32 v6, -v6, v9, v8
	v_div_fmas_f32 v6, v6, v7, v9
	s_delay_alu instid0(VALU_DEP_1) | instskip(NEXT) | instid1(VALU_DEP_1)
	v_div_fixup_f32 v5, v6, v5, 1.0
	v_cmp_class_f32_e64 vcc_lo, v5, 0x1f8
	v_cndmask_b32_e32 v5, 0, v5, vcc_lo
	global_store_b32 v[3:4], v5, off
	v_add_co_u32 v3, vcc_lo, 0x400, v3
	v_add_co_ci_u32_e32 v4, vcc_lo, 0, v4, vcc_lo
	s_and_not1_b32 exec_lo, exec_lo, s1
	s_cbranch_execnz .LBB330_5
.LBB330_6:
	s_set_inst_prefetch_distance 0x2
	s_nop 0
	s_sendmsg sendmsg(MSG_DEALLOC_VGPRS)
	s_endpgm
.LBB330_7:
	s_mov_b32 s2, 0
	s_branch .LBB330_2
	.section	.rodata,"a",@progbits
	.p2align	6, 0x0
	.amdhsa_kernel _ZN4vllm3moe10moeSigmoidILi256E14__hip_bfloat16EEvPKT0_PKbPfi
		.amdhsa_group_segment_fixed_size 0
		.amdhsa_private_segment_fixed_size 0
		.amdhsa_kernarg_size 28
		.amdhsa_user_sgpr_count 15
		.amdhsa_user_sgpr_dispatch_ptr 0
		.amdhsa_user_sgpr_queue_ptr 0
		.amdhsa_user_sgpr_kernarg_segment_ptr 1
		.amdhsa_user_sgpr_dispatch_id 0
		.amdhsa_user_sgpr_private_segment_size 0
		.amdhsa_wavefront_size32 1
		.amdhsa_uses_dynamic_stack 0
		.amdhsa_enable_private_segment 0
		.amdhsa_system_sgpr_workgroup_id_x 1
		.amdhsa_system_sgpr_workgroup_id_y 0
		.amdhsa_system_sgpr_workgroup_id_z 0
		.amdhsa_system_sgpr_workgroup_info 0
		.amdhsa_system_vgpr_workitem_id 0
		.amdhsa_next_free_vgpr 11
		.amdhsa_next_free_sgpr 16
		.amdhsa_reserve_vcc 1
		.amdhsa_float_round_mode_32 0
		.amdhsa_float_round_mode_16_64 0
		.amdhsa_float_denorm_mode_32 3
		.amdhsa_float_denorm_mode_16_64 3
		.amdhsa_dx10_clamp 1
		.amdhsa_ieee_mode 1
		.amdhsa_fp16_overflow 0
		.amdhsa_workgroup_processor_mode 1
		.amdhsa_memory_ordered 1
		.amdhsa_forward_progress 0
		.amdhsa_shared_vgpr_count 0
		.amdhsa_exception_fp_ieee_invalid_op 0
		.amdhsa_exception_fp_denorm_src 0
		.amdhsa_exception_fp_ieee_div_zero 0
		.amdhsa_exception_fp_ieee_overflow 0
		.amdhsa_exception_fp_ieee_underflow 0
		.amdhsa_exception_fp_ieee_inexact 0
		.amdhsa_exception_int_div_zero 0
	.end_amdhsa_kernel
	.section	.text._ZN4vllm3moe10moeSigmoidILi256E14__hip_bfloat16EEvPKT0_PKbPfi,"axG",@progbits,_ZN4vllm3moe10moeSigmoidILi256E14__hip_bfloat16EEvPKT0_PKbPfi,comdat
.Lfunc_end330:
	.size	_ZN4vllm3moe10moeSigmoidILi256E14__hip_bfloat16EEvPKT0_PKbPfi, .Lfunc_end330-_ZN4vllm3moe10moeSigmoidILi256E14__hip_bfloat16EEvPKT0_PKbPfi
                                        ; -- End function
	.section	.AMDGPU.csdata,"",@progbits
; Kernel info:
; codeLenInByte = 468
; NumSgprs: 18
; NumVgprs: 11
; ScratchSize: 0
; MemoryBound: 0
; FloatMode: 240
; IeeeMode: 1
; LDSByteSize: 0 bytes/workgroup (compile time only)
; SGPRBlocks: 2
; VGPRBlocks: 1
; NumSGPRsForWavesPerEU: 18
; NumVGPRsForWavesPerEU: 11
; Occupancy: 16
; WaveLimiterHint : 0
; COMPUTE_PGM_RSRC2:SCRATCH_EN: 0
; COMPUTE_PGM_RSRC2:USER_SGPR: 15
; COMPUTE_PGM_RSRC2:TRAP_HANDLER: 0
; COMPUTE_PGM_RSRC2:TGID_X_EN: 1
; COMPUTE_PGM_RSRC2:TGID_Y_EN: 0
; COMPUTE_PGM_RSRC2:TGID_Z_EN: 0
; COMPUTE_PGM_RSRC2:TIDIG_COMP_CNT: 0
	.section	.text._ZN4vllm3moe10topkGatingILi1ELi1ELi4ELi2ELi64Ej14__hip_bfloat16LNS0_11ScoringFuncE1EEEvPKT5_PKbPfiPT4_PiiiibPKf,"axG",@progbits,_ZN4vllm3moe10topkGatingILi1ELi1ELi4ELi2ELi64Ej14__hip_bfloat16LNS0_11ScoringFuncE1EEEvPKT5_PKbPfiPT4_PiiiibPKf,comdat
	.protected	_ZN4vllm3moe10topkGatingILi1ELi1ELi4ELi2ELi64Ej14__hip_bfloat16LNS0_11ScoringFuncE1EEEvPKT5_PKbPfiPT4_PiiiibPKf ; -- Begin function _ZN4vllm3moe10topkGatingILi1ELi1ELi4ELi2ELi64Ej14__hip_bfloat16LNS0_11ScoringFuncE1EEEvPKT5_PKbPfiPT4_PiiiibPKf
	.globl	_ZN4vllm3moe10topkGatingILi1ELi1ELi4ELi2ELi64Ej14__hip_bfloat16LNS0_11ScoringFuncE1EEEvPKT5_PKbPfiPT4_PiiiibPKf
	.p2align	8
	.type	_ZN4vllm3moe10topkGatingILi1ELi1ELi4ELi2ELi64Ej14__hip_bfloat16LNS0_11ScoringFuncE1EEEvPKT5_PKbPfiPT4_PiiiibPKf,@function
_ZN4vllm3moe10topkGatingILi1ELi1ELi4ELi2ELi64Ej14__hip_bfloat16LNS0_11ScoringFuncE1EEEvPKT5_PKbPfiPT4_PiiiibPKf: ; @_ZN4vllm3moe10topkGatingILi1ELi1ELi4ELi2ELi64Ej14__hip_bfloat16LNS0_11ScoringFuncE1EEEvPKT5_PKbPfiPT4_PiiiibPKf
; %bb.0:
	s_load_b32 s3, s[0:1], 0x18
	v_bfe_u32 v1, v0, 10, 10
	v_and_b32_e32 v0, 0x3ff, v0
	s_lshl_b32 s2, s15, 8
	s_delay_alu instid0(VALU_DEP_2) | instskip(NEXT) | instid1(VALU_DEP_1)
	v_lshlrev_b32_e32 v1, 6, v1
	v_add3_u32 v0, v1, v0, s2
	s_mov_b32 s2, exec_lo
	s_waitcnt lgkmcnt(0)
	s_delay_alu instid0(VALU_DEP_1)
	v_cmpx_gt_i32_e64 s3, v0
	s_cbranch_execz .LBB331_12
; %bb.1:
	s_clause 0x1
	s_load_b128 s[8:11], s[0:1], 0x0
	s_load_b64 s[12:13], s[0:1], 0x10
	v_ashrrev_i32_e32 v1, 31, v0
	s_waitcnt lgkmcnt(0)
	s_cmp_eq_u64 s[10:11], 0
	s_cbranch_scc1 .LBB331_3
; %bb.2:
	v_add_co_u32 v2, vcc_lo, s10, v0
	v_add_co_ci_u32_e32 v3, vcc_lo, s11, v1, vcc_lo
	global_load_u8 v2, v[2:3], off
	s_waitcnt vmcnt(0)
	v_and_b32_e32 v2, 1, v2
	s_delay_alu instid0(VALU_DEP_1) | instskip(SKIP_1) | instid1(SALU_CYCLE_1)
	v_cmp_eq_u32_e32 vcc_lo, 1, v2
	s_xor_b32 s2, vcc_lo, -1
	s_or_not1_b32 s10, s2, exec_lo
	s_branch .LBB331_4
.LBB331_3:
	s_mov_b32 s10, -1
.LBB331_4:
	s_load_b128 s[4:7], s[0:1], 0x30
	s_waitcnt lgkmcnt(0)
	s_bitcmp1_b32 s7, 0
	s_cselect_b32 s2, -1, 0
	s_cmp_gt_i32 s4, 0
	s_cselect_b32 s7, -1, 0
	s_cmp_lt_i32 s4, 1
	s_cbranch_scc1 .LBB331_8
; %bb.5:
	v_lshlrev_b64 v[1:2], 1, v[0:1]
	s_load_b128 s[16:19], s[0:1], 0x20
	s_cmp_lt_i32 s5, 1
	v_mov_b32_e32 v7, 0
	s_cselect_b32 s0, -1, 0
	s_cmp_gt_i32 s6, 0
	v_add_co_u32 v1, vcc_lo, s8, v1
	v_add_co_ci_u32_e32 v2, vcc_lo, s9, v2, vcc_lo
	s_cselect_b32 s1, -1, 0
	s_delay_alu instid0(SALU_CYCLE_1) | instskip(SKIP_3) | instid1(SALU_CYCLE_1)
	s_and_b32 s0, s0, s1
	global_load_u16 v1, v[1:2], off
	s_sub_i32 s1, 0, s5
	s_and_b32 s0, s10, s0
	v_cndmask_b32_e64 v8, 1, s1, s0
	s_waitcnt vmcnt(0)
	v_lshlrev_b32_e32 v1, 16, v1
	s_delay_alu instid0(VALU_DEP_1) | instskip(NEXT) | instid1(VALU_DEP_1)
	v_mul_f32_e32 v1, 0xbfb8aa3b, v1
	v_exp_f32_e32 v1, v1
	s_waitcnt_depctr 0xfff
	v_add_f32_e32 v9, 1.0, v1
	s_delay_alu instid0(VALU_DEP_1) | instskip(NEXT) | instid1(VALU_DEP_1)
	v_div_scale_f32 v3, null, v9, v9, 1.0
	v_rcp_f32_e32 v4, v3
	s_waitcnt_depctr 0xfff
	v_fma_f32 v1, -v3, v4, 1.0
	s_delay_alu instid0(VALU_DEP_1) | instskip(SKIP_2) | instid1(VALU_DEP_2)
	v_fmac_f32_e32 v4, v1, v4
	v_div_scale_f32 v10, vcc_lo, 1.0, v9, 1.0
	v_mul_lo_u32 v1, v0, s4
	v_mul_f32_e32 v11, v10, v4
	s_delay_alu instid0(VALU_DEP_2) | instskip(NEXT) | instid1(VALU_DEP_2)
	v_ashrrev_i32_e32 v2, 31, v1
	v_fma_f32 v5, -v3, v11, v10
	s_delay_alu instid0(VALU_DEP_1) | instskip(NEXT) | instid1(VALU_DEP_3)
	v_fmac_f32_e32 v11, v5, v4
	v_lshlrev_b64 v[5:6], 2, v[1:2]
	s_delay_alu instid0(VALU_DEP_2) | instskip(NEXT) | instid1(VALU_DEP_2)
	v_fma_f32 v3, -v3, v11, v10
	v_add_co_u32 v1, s0, s12, v5
	s_delay_alu instid0(VALU_DEP_1) | instskip(NEXT) | instid1(VALU_DEP_3)
	v_add_co_ci_u32_e64 v2, s0, s13, v6, s0
	v_div_fmas_f32 v10, v3, v4, v11
	s_waitcnt lgkmcnt(0)
	v_add_co_u32 v3, vcc_lo, s16, v5
	v_add_co_ci_u32_e32 v4, vcc_lo, s17, v6, vcc_lo
	s_delay_alu instid0(VALU_DEP_3) | instskip(SKIP_2) | instid1(VALU_DEP_3)
	v_div_fixup_f32 v9, v10, v9, 1.0
	v_add_co_u32 v5, vcc_lo, s18, v5
	v_add_co_ci_u32_e32 v6, vcc_lo, s19, v6, vcc_lo
	v_cmp_class_f32_e64 vcc_lo, v9, 0x1f8
	v_mov_b32_e32 v10, v0
	s_mov_b32 s0, s4
	v_cndmask_b32_e32 v9, 0, v9, vcc_lo
	.p2align	6
.LBB331_6:                              ; =>This Inner Loop Header: Depth=1
	global_store_b32 v[1:2], v9, off
	global_store_b32 v[3:4], v8, off
	;; [unrolled: 1-line block ×3, first 2 shown]
	v_add_co_u32 v1, vcc_lo, v1, 4
	v_add_co_ci_u32_e32 v2, vcc_lo, 0, v2, vcc_lo
	v_dual_add_f32 v11, v7, v9 :: v_dual_add_nc_u32 v10, s3, v10
	v_add_co_u32 v3, vcc_lo, v3, 4
	v_add_co_ci_u32_e32 v4, vcc_lo, 0, v4, vcc_lo
	v_add_co_u32 v5, vcc_lo, v5, 4
	s_delay_alu instid0(VALU_DEP_4) | instskip(SKIP_2) | instid1(SALU_CYCLE_1)
	v_cndmask_b32_e64 v7, v7, v11, s2
	v_add_co_ci_u32_e32 v6, vcc_lo, 0, v6, vcc_lo
	s_add_i32 s0, s0, -1
	s_cmp_lg_u32 s0, 0
	s_cbranch_scc1 .LBB331_6
; %bb.7:
	s_and_not1_b32 vcc_lo, exec_lo, s2
	s_cbranch_vccz .LBB331_9
	s_branch .LBB331_12
.LBB331_8:
	v_mov_b32_e32 v7, 0
	s_and_not1_b32 vcc_lo, exec_lo, s2
	s_cbranch_vccnz .LBB331_12
.LBB331_9:
	s_and_not1_b32 vcc_lo, exec_lo, s7
	s_cbranch_vccnz .LBB331_12
; %bb.10:
	v_mul_lo_u32 v0, v0, s4
	v_cmp_lt_f32_e32 vcc_lo, 0, v7
	v_cndmask_b32_e32 v2, 1.0, v7, vcc_lo
	s_delay_alu instid0(VALU_DEP_3) | instskip(NEXT) | instid1(VALU_DEP_1)
	v_ashrrev_i32_e32 v1, 31, v0
	v_lshlrev_b64 v[0:1], 2, v[0:1]
	s_delay_alu instid0(VALU_DEP_1) | instskip(NEXT) | instid1(VALU_DEP_2)
	v_add_co_u32 v0, vcc_lo, s12, v0
	v_add_co_ci_u32_e32 v1, vcc_lo, s13, v1, vcc_lo
	.p2align	6
.LBB331_11:                             ; =>This Inner Loop Header: Depth=1
	global_load_b32 v3, v[0:1], off
	s_add_i32 s4, s4, -1
	s_delay_alu instid0(SALU_CYCLE_1) | instskip(SKIP_3) | instid1(VALU_DEP_2)
	s_cmp_lg_u32 s4, 0
	s_waitcnt vmcnt(0)
	v_div_scale_f32 v4, null, v2, v2, v3
	v_div_scale_f32 v7, vcc_lo, v3, v2, v3
	v_rcp_f32_e32 v5, v4
	s_waitcnt_depctr 0xfff
	v_fma_f32 v6, -v4, v5, 1.0
	s_delay_alu instid0(VALU_DEP_1) | instskip(NEXT) | instid1(VALU_DEP_1)
	v_fmac_f32_e32 v5, v6, v5
	v_mul_f32_e32 v6, v7, v5
	s_delay_alu instid0(VALU_DEP_1) | instskip(NEXT) | instid1(VALU_DEP_1)
	v_fma_f32 v8, -v4, v6, v7
	v_fmac_f32_e32 v6, v8, v5
	s_delay_alu instid0(VALU_DEP_1) | instskip(NEXT) | instid1(VALU_DEP_1)
	v_fma_f32 v4, -v4, v6, v7
	v_div_fmas_f32 v4, v4, v5, v6
	s_delay_alu instid0(VALU_DEP_1)
	v_div_fixup_f32 v3, v4, v2, v3
	global_store_b32 v[0:1], v3, off
	v_add_co_u32 v0, vcc_lo, v0, 4
	v_add_co_ci_u32_e32 v1, vcc_lo, 0, v1, vcc_lo
	s_cbranch_scc1 .LBB331_11
.LBB331_12:
	s_nop 0
	s_sendmsg sendmsg(MSG_DEALLOC_VGPRS)
	s_endpgm
	.section	.rodata,"a",@progbits
	.p2align	6, 0x0
	.amdhsa_kernel _ZN4vllm3moe10topkGatingILi1ELi1ELi4ELi2ELi64Ej14__hip_bfloat16LNS0_11ScoringFuncE1EEEvPKT5_PKbPfiPT4_PiiiibPKf
		.amdhsa_group_segment_fixed_size 0
		.amdhsa_private_segment_fixed_size 0
		.amdhsa_kernarg_size 72
		.amdhsa_user_sgpr_count 15
		.amdhsa_user_sgpr_dispatch_ptr 0
		.amdhsa_user_sgpr_queue_ptr 0
		.amdhsa_user_sgpr_kernarg_segment_ptr 1
		.amdhsa_user_sgpr_dispatch_id 0
		.amdhsa_user_sgpr_private_segment_size 0
		.amdhsa_wavefront_size32 1
		.amdhsa_uses_dynamic_stack 0
		.amdhsa_enable_private_segment 0
		.amdhsa_system_sgpr_workgroup_id_x 1
		.amdhsa_system_sgpr_workgroup_id_y 0
		.amdhsa_system_sgpr_workgroup_id_z 0
		.amdhsa_system_sgpr_workgroup_info 0
		.amdhsa_system_vgpr_workitem_id 1
		.amdhsa_next_free_vgpr 12
		.amdhsa_next_free_sgpr 20
		.amdhsa_reserve_vcc 1
		.amdhsa_float_round_mode_32 0
		.amdhsa_float_round_mode_16_64 0
		.amdhsa_float_denorm_mode_32 3
		.amdhsa_float_denorm_mode_16_64 3
		.amdhsa_dx10_clamp 1
		.amdhsa_ieee_mode 1
		.amdhsa_fp16_overflow 0
		.amdhsa_workgroup_processor_mode 1
		.amdhsa_memory_ordered 1
		.amdhsa_forward_progress 0
		.amdhsa_shared_vgpr_count 0
		.amdhsa_exception_fp_ieee_invalid_op 0
		.amdhsa_exception_fp_denorm_src 0
		.amdhsa_exception_fp_ieee_div_zero 0
		.amdhsa_exception_fp_ieee_overflow 0
		.amdhsa_exception_fp_ieee_underflow 0
		.amdhsa_exception_fp_ieee_inexact 0
		.amdhsa_exception_int_div_zero 0
	.end_amdhsa_kernel
	.section	.text._ZN4vllm3moe10topkGatingILi1ELi1ELi4ELi2ELi64Ej14__hip_bfloat16LNS0_11ScoringFuncE1EEEvPKT5_PKbPfiPT4_PiiiibPKf,"axG",@progbits,_ZN4vllm3moe10topkGatingILi1ELi1ELi4ELi2ELi64Ej14__hip_bfloat16LNS0_11ScoringFuncE1EEEvPKT5_PKbPfiPT4_PiiiibPKf,comdat
.Lfunc_end331:
	.size	_ZN4vllm3moe10topkGatingILi1ELi1ELi4ELi2ELi64Ej14__hip_bfloat16LNS0_11ScoringFuncE1EEEvPKT5_PKbPfiPT4_PiiiibPKf, .Lfunc_end331-_ZN4vllm3moe10topkGatingILi1ELi1ELi4ELi2ELi64Ej14__hip_bfloat16LNS0_11ScoringFuncE1EEEvPKT5_PKbPfiPT4_PiiiibPKf
                                        ; -- End function
	.section	.AMDGPU.csdata,"",@progbits
; Kernel info:
; codeLenInByte = 820
; NumSgprs: 22
; NumVgprs: 12
; ScratchSize: 0
; MemoryBound: 0
; FloatMode: 240
; IeeeMode: 1
; LDSByteSize: 0 bytes/workgroup (compile time only)
; SGPRBlocks: 2
; VGPRBlocks: 1
; NumSGPRsForWavesPerEU: 22
; NumVGPRsForWavesPerEU: 12
; Occupancy: 16
; WaveLimiterHint : 0
; COMPUTE_PGM_RSRC2:SCRATCH_EN: 0
; COMPUTE_PGM_RSRC2:USER_SGPR: 15
; COMPUTE_PGM_RSRC2:TRAP_HANDLER: 0
; COMPUTE_PGM_RSRC2:TGID_X_EN: 1
; COMPUTE_PGM_RSRC2:TGID_Y_EN: 0
; COMPUTE_PGM_RSRC2:TGID_Z_EN: 0
; COMPUTE_PGM_RSRC2:TIDIG_COMP_CNT: 1
	.section	.text._ZN4vllm3moe10topkGatingILi1ELi1ELi4ELi2ELi32Ej14__hip_bfloat16LNS0_11ScoringFuncE1EEEvPKT5_PKbPfiPT4_PiiiibPKf,"axG",@progbits,_ZN4vllm3moe10topkGatingILi1ELi1ELi4ELi2ELi32Ej14__hip_bfloat16LNS0_11ScoringFuncE1EEEvPKT5_PKbPfiPT4_PiiiibPKf,comdat
	.protected	_ZN4vllm3moe10topkGatingILi1ELi1ELi4ELi2ELi32Ej14__hip_bfloat16LNS0_11ScoringFuncE1EEEvPKT5_PKbPfiPT4_PiiiibPKf ; -- Begin function _ZN4vllm3moe10topkGatingILi1ELi1ELi4ELi2ELi32Ej14__hip_bfloat16LNS0_11ScoringFuncE1EEEvPKT5_PKbPfiPT4_PiiiibPKf
	.globl	_ZN4vllm3moe10topkGatingILi1ELi1ELi4ELi2ELi32Ej14__hip_bfloat16LNS0_11ScoringFuncE1EEEvPKT5_PKbPfiPT4_PiiiibPKf
	.p2align	8
	.type	_ZN4vllm3moe10topkGatingILi1ELi1ELi4ELi2ELi32Ej14__hip_bfloat16LNS0_11ScoringFuncE1EEEvPKT5_PKbPfiPT4_PiiiibPKf,@function
_ZN4vllm3moe10topkGatingILi1ELi1ELi4ELi2ELi32Ej14__hip_bfloat16LNS0_11ScoringFuncE1EEEvPKT5_PKbPfiPT4_PiiiibPKf: ; @_ZN4vllm3moe10topkGatingILi1ELi1ELi4ELi2ELi32Ej14__hip_bfloat16LNS0_11ScoringFuncE1EEEvPKT5_PKbPfiPT4_PiiiibPKf
; %bb.0:
	s_load_b32 s3, s[0:1], 0x18
	v_bfe_u32 v1, v0, 10, 10
	v_and_b32_e32 v0, 0x3ff, v0
	s_lshl_b32 s2, s15, 7
	s_delay_alu instid0(VALU_DEP_2) | instskip(NEXT) | instid1(VALU_DEP_1)
	v_lshlrev_b32_e32 v1, 5, v1
	v_add3_u32 v0, v1, v0, s2
	s_mov_b32 s2, exec_lo
	s_waitcnt lgkmcnt(0)
	s_delay_alu instid0(VALU_DEP_1)
	v_cmpx_gt_i32_e64 s3, v0
	s_cbranch_execz .LBB332_12
; %bb.1:
	s_clause 0x1
	s_load_b128 s[8:11], s[0:1], 0x0
	s_load_b64 s[12:13], s[0:1], 0x10
	v_ashrrev_i32_e32 v1, 31, v0
	s_waitcnt lgkmcnt(0)
	s_cmp_eq_u64 s[10:11], 0
	s_cbranch_scc1 .LBB332_3
; %bb.2:
	v_add_co_u32 v2, vcc_lo, s10, v0
	v_add_co_ci_u32_e32 v3, vcc_lo, s11, v1, vcc_lo
	global_load_u8 v2, v[2:3], off
	s_waitcnt vmcnt(0)
	v_and_b32_e32 v2, 1, v2
	s_delay_alu instid0(VALU_DEP_1) | instskip(SKIP_1) | instid1(SALU_CYCLE_1)
	v_cmp_eq_u32_e32 vcc_lo, 1, v2
	s_xor_b32 s2, vcc_lo, -1
	s_or_not1_b32 s10, s2, exec_lo
	s_branch .LBB332_4
.LBB332_3:
	s_mov_b32 s10, -1
.LBB332_4:
	s_load_b128 s[4:7], s[0:1], 0x30
	s_waitcnt lgkmcnt(0)
	s_bitcmp1_b32 s7, 0
	s_cselect_b32 s2, -1, 0
	s_cmp_gt_i32 s4, 0
	s_cselect_b32 s7, -1, 0
	s_cmp_lt_i32 s4, 1
	s_cbranch_scc1 .LBB332_8
; %bb.5:
	v_lshlrev_b64 v[1:2], 1, v[0:1]
	s_load_b128 s[16:19], s[0:1], 0x20
	s_cmp_lt_i32 s5, 1
	v_mov_b32_e32 v7, 0
	s_cselect_b32 s0, -1, 0
	s_cmp_gt_i32 s6, 0
	v_add_co_u32 v1, vcc_lo, s8, v1
	v_add_co_ci_u32_e32 v2, vcc_lo, s9, v2, vcc_lo
	s_cselect_b32 s1, -1, 0
	s_delay_alu instid0(SALU_CYCLE_1) | instskip(SKIP_3) | instid1(SALU_CYCLE_1)
	s_and_b32 s0, s0, s1
	global_load_u16 v1, v[1:2], off
	s_sub_i32 s1, 0, s5
	s_and_b32 s0, s10, s0
	v_cndmask_b32_e64 v8, 1, s1, s0
	s_waitcnt vmcnt(0)
	v_lshlrev_b32_e32 v1, 16, v1
	s_delay_alu instid0(VALU_DEP_1) | instskip(NEXT) | instid1(VALU_DEP_1)
	v_mul_f32_e32 v1, 0xbfb8aa3b, v1
	v_exp_f32_e32 v1, v1
	s_waitcnt_depctr 0xfff
	v_add_f32_e32 v9, 1.0, v1
	s_delay_alu instid0(VALU_DEP_1) | instskip(NEXT) | instid1(VALU_DEP_1)
	v_div_scale_f32 v3, null, v9, v9, 1.0
	v_rcp_f32_e32 v4, v3
	s_waitcnt_depctr 0xfff
	v_fma_f32 v1, -v3, v4, 1.0
	s_delay_alu instid0(VALU_DEP_1) | instskip(SKIP_2) | instid1(VALU_DEP_2)
	v_fmac_f32_e32 v4, v1, v4
	v_div_scale_f32 v10, vcc_lo, 1.0, v9, 1.0
	v_mul_lo_u32 v1, v0, s4
	v_mul_f32_e32 v11, v10, v4
	s_delay_alu instid0(VALU_DEP_2) | instskip(NEXT) | instid1(VALU_DEP_2)
	v_ashrrev_i32_e32 v2, 31, v1
	v_fma_f32 v5, -v3, v11, v10
	s_delay_alu instid0(VALU_DEP_1) | instskip(NEXT) | instid1(VALU_DEP_3)
	v_fmac_f32_e32 v11, v5, v4
	v_lshlrev_b64 v[5:6], 2, v[1:2]
	s_delay_alu instid0(VALU_DEP_2) | instskip(NEXT) | instid1(VALU_DEP_2)
	v_fma_f32 v3, -v3, v11, v10
	v_add_co_u32 v1, s0, s12, v5
	s_delay_alu instid0(VALU_DEP_1) | instskip(NEXT) | instid1(VALU_DEP_3)
	v_add_co_ci_u32_e64 v2, s0, s13, v6, s0
	v_div_fmas_f32 v10, v3, v4, v11
	s_waitcnt lgkmcnt(0)
	v_add_co_u32 v3, vcc_lo, s16, v5
	v_add_co_ci_u32_e32 v4, vcc_lo, s17, v6, vcc_lo
	s_delay_alu instid0(VALU_DEP_3) | instskip(SKIP_2) | instid1(VALU_DEP_3)
	v_div_fixup_f32 v9, v10, v9, 1.0
	v_add_co_u32 v5, vcc_lo, s18, v5
	v_add_co_ci_u32_e32 v6, vcc_lo, s19, v6, vcc_lo
	v_cmp_class_f32_e64 vcc_lo, v9, 0x1f8
	v_mov_b32_e32 v10, v0
	s_mov_b32 s0, s4
	v_cndmask_b32_e32 v9, 0, v9, vcc_lo
	.p2align	6
.LBB332_6:                              ; =>This Inner Loop Header: Depth=1
	global_store_b32 v[1:2], v9, off
	global_store_b32 v[3:4], v8, off
	;; [unrolled: 1-line block ×3, first 2 shown]
	v_add_co_u32 v1, vcc_lo, v1, 4
	v_add_co_ci_u32_e32 v2, vcc_lo, 0, v2, vcc_lo
	v_dual_add_f32 v11, v7, v9 :: v_dual_add_nc_u32 v10, s3, v10
	v_add_co_u32 v3, vcc_lo, v3, 4
	v_add_co_ci_u32_e32 v4, vcc_lo, 0, v4, vcc_lo
	v_add_co_u32 v5, vcc_lo, v5, 4
	s_delay_alu instid0(VALU_DEP_4) | instskip(SKIP_2) | instid1(SALU_CYCLE_1)
	v_cndmask_b32_e64 v7, v7, v11, s2
	v_add_co_ci_u32_e32 v6, vcc_lo, 0, v6, vcc_lo
	s_add_i32 s0, s0, -1
	s_cmp_lg_u32 s0, 0
	s_cbranch_scc1 .LBB332_6
; %bb.7:
	s_and_not1_b32 vcc_lo, exec_lo, s2
	s_cbranch_vccz .LBB332_9
	s_branch .LBB332_12
.LBB332_8:
	v_mov_b32_e32 v7, 0
	s_and_not1_b32 vcc_lo, exec_lo, s2
	s_cbranch_vccnz .LBB332_12
.LBB332_9:
	s_and_not1_b32 vcc_lo, exec_lo, s7
	s_cbranch_vccnz .LBB332_12
; %bb.10:
	v_mul_lo_u32 v0, v0, s4
	v_cmp_lt_f32_e32 vcc_lo, 0, v7
	v_cndmask_b32_e32 v2, 1.0, v7, vcc_lo
	s_delay_alu instid0(VALU_DEP_3) | instskip(NEXT) | instid1(VALU_DEP_1)
	v_ashrrev_i32_e32 v1, 31, v0
	v_lshlrev_b64 v[0:1], 2, v[0:1]
	s_delay_alu instid0(VALU_DEP_1) | instskip(NEXT) | instid1(VALU_DEP_2)
	v_add_co_u32 v0, vcc_lo, s12, v0
	v_add_co_ci_u32_e32 v1, vcc_lo, s13, v1, vcc_lo
	.p2align	6
.LBB332_11:                             ; =>This Inner Loop Header: Depth=1
	global_load_b32 v3, v[0:1], off
	s_add_i32 s4, s4, -1
	s_delay_alu instid0(SALU_CYCLE_1) | instskip(SKIP_3) | instid1(VALU_DEP_2)
	s_cmp_lg_u32 s4, 0
	s_waitcnt vmcnt(0)
	v_div_scale_f32 v4, null, v2, v2, v3
	v_div_scale_f32 v7, vcc_lo, v3, v2, v3
	v_rcp_f32_e32 v5, v4
	s_waitcnt_depctr 0xfff
	v_fma_f32 v6, -v4, v5, 1.0
	s_delay_alu instid0(VALU_DEP_1) | instskip(NEXT) | instid1(VALU_DEP_1)
	v_fmac_f32_e32 v5, v6, v5
	v_mul_f32_e32 v6, v7, v5
	s_delay_alu instid0(VALU_DEP_1) | instskip(NEXT) | instid1(VALU_DEP_1)
	v_fma_f32 v8, -v4, v6, v7
	v_fmac_f32_e32 v6, v8, v5
	s_delay_alu instid0(VALU_DEP_1) | instskip(NEXT) | instid1(VALU_DEP_1)
	v_fma_f32 v4, -v4, v6, v7
	v_div_fmas_f32 v4, v4, v5, v6
	s_delay_alu instid0(VALU_DEP_1)
	v_div_fixup_f32 v3, v4, v2, v3
	global_store_b32 v[0:1], v3, off
	v_add_co_u32 v0, vcc_lo, v0, 4
	v_add_co_ci_u32_e32 v1, vcc_lo, 0, v1, vcc_lo
	s_cbranch_scc1 .LBB332_11
.LBB332_12:
	s_nop 0
	s_sendmsg sendmsg(MSG_DEALLOC_VGPRS)
	s_endpgm
	.section	.rodata,"a",@progbits
	.p2align	6, 0x0
	.amdhsa_kernel _ZN4vllm3moe10topkGatingILi1ELi1ELi4ELi2ELi32Ej14__hip_bfloat16LNS0_11ScoringFuncE1EEEvPKT5_PKbPfiPT4_PiiiibPKf
		.amdhsa_group_segment_fixed_size 0
		.amdhsa_private_segment_fixed_size 0
		.amdhsa_kernarg_size 72
		.amdhsa_user_sgpr_count 15
		.amdhsa_user_sgpr_dispatch_ptr 0
		.amdhsa_user_sgpr_queue_ptr 0
		.amdhsa_user_sgpr_kernarg_segment_ptr 1
		.amdhsa_user_sgpr_dispatch_id 0
		.amdhsa_user_sgpr_private_segment_size 0
		.amdhsa_wavefront_size32 1
		.amdhsa_uses_dynamic_stack 0
		.amdhsa_enable_private_segment 0
		.amdhsa_system_sgpr_workgroup_id_x 1
		.amdhsa_system_sgpr_workgroup_id_y 0
		.amdhsa_system_sgpr_workgroup_id_z 0
		.amdhsa_system_sgpr_workgroup_info 0
		.amdhsa_system_vgpr_workitem_id 1
		.amdhsa_next_free_vgpr 12
		.amdhsa_next_free_sgpr 20
		.amdhsa_reserve_vcc 1
		.amdhsa_float_round_mode_32 0
		.amdhsa_float_round_mode_16_64 0
		.amdhsa_float_denorm_mode_32 3
		.amdhsa_float_denorm_mode_16_64 3
		.amdhsa_dx10_clamp 1
		.amdhsa_ieee_mode 1
		.amdhsa_fp16_overflow 0
		.amdhsa_workgroup_processor_mode 1
		.amdhsa_memory_ordered 1
		.amdhsa_forward_progress 0
		.amdhsa_shared_vgpr_count 0
		.amdhsa_exception_fp_ieee_invalid_op 0
		.amdhsa_exception_fp_denorm_src 0
		.amdhsa_exception_fp_ieee_div_zero 0
		.amdhsa_exception_fp_ieee_overflow 0
		.amdhsa_exception_fp_ieee_underflow 0
		.amdhsa_exception_fp_ieee_inexact 0
		.amdhsa_exception_int_div_zero 0
	.end_amdhsa_kernel
	.section	.text._ZN4vllm3moe10topkGatingILi1ELi1ELi4ELi2ELi32Ej14__hip_bfloat16LNS0_11ScoringFuncE1EEEvPKT5_PKbPfiPT4_PiiiibPKf,"axG",@progbits,_ZN4vllm3moe10topkGatingILi1ELi1ELi4ELi2ELi32Ej14__hip_bfloat16LNS0_11ScoringFuncE1EEEvPKT5_PKbPfiPT4_PiiiibPKf,comdat
.Lfunc_end332:
	.size	_ZN4vllm3moe10topkGatingILi1ELi1ELi4ELi2ELi32Ej14__hip_bfloat16LNS0_11ScoringFuncE1EEEvPKT5_PKbPfiPT4_PiiiibPKf, .Lfunc_end332-_ZN4vllm3moe10topkGatingILi1ELi1ELi4ELi2ELi32Ej14__hip_bfloat16LNS0_11ScoringFuncE1EEEvPKT5_PKbPfiPT4_PiiiibPKf
                                        ; -- End function
	.section	.AMDGPU.csdata,"",@progbits
; Kernel info:
; codeLenInByte = 820
; NumSgprs: 22
; NumVgprs: 12
; ScratchSize: 0
; MemoryBound: 0
; FloatMode: 240
; IeeeMode: 1
; LDSByteSize: 0 bytes/workgroup (compile time only)
; SGPRBlocks: 2
; VGPRBlocks: 1
; NumSGPRsForWavesPerEU: 22
; NumVGPRsForWavesPerEU: 12
; Occupancy: 16
; WaveLimiterHint : 0
; COMPUTE_PGM_RSRC2:SCRATCH_EN: 0
; COMPUTE_PGM_RSRC2:USER_SGPR: 15
; COMPUTE_PGM_RSRC2:TRAP_HANDLER: 0
; COMPUTE_PGM_RSRC2:TGID_X_EN: 1
; COMPUTE_PGM_RSRC2:TGID_Y_EN: 0
; COMPUTE_PGM_RSRC2:TGID_Z_EN: 0
; COMPUTE_PGM_RSRC2:TIDIG_COMP_CNT: 1
	.section	.text._ZN4vllm3moe10topkGatingILi2ELi2ELi4ELi4ELi64Ej14__hip_bfloat16LNS0_11ScoringFuncE1EEEvPKT5_PKbPfiPT4_PiiiibPKf,"axG",@progbits,_ZN4vllm3moe10topkGatingILi2ELi2ELi4ELi4ELi64Ej14__hip_bfloat16LNS0_11ScoringFuncE1EEEvPKT5_PKbPfiPT4_PiiiibPKf,comdat
	.protected	_ZN4vllm3moe10topkGatingILi2ELi2ELi4ELi4ELi64Ej14__hip_bfloat16LNS0_11ScoringFuncE1EEEvPKT5_PKbPfiPT4_PiiiibPKf ; -- Begin function _ZN4vllm3moe10topkGatingILi2ELi2ELi4ELi4ELi64Ej14__hip_bfloat16LNS0_11ScoringFuncE1EEEvPKT5_PKbPfiPT4_PiiiibPKf
	.globl	_ZN4vllm3moe10topkGatingILi2ELi2ELi4ELi4ELi64Ej14__hip_bfloat16LNS0_11ScoringFuncE1EEEvPKT5_PKbPfiPT4_PiiiibPKf
	.p2align	8
	.type	_ZN4vllm3moe10topkGatingILi2ELi2ELi4ELi4ELi64Ej14__hip_bfloat16LNS0_11ScoringFuncE1EEEvPKT5_PKbPfiPT4_PiiiibPKf,@function
_ZN4vllm3moe10topkGatingILi2ELi2ELi4ELi4ELi64Ej14__hip_bfloat16LNS0_11ScoringFuncE1EEEvPKT5_PKbPfiPT4_PiiiibPKf: ; @_ZN4vllm3moe10topkGatingILi2ELi2ELi4ELi4ELi64Ej14__hip_bfloat16LNS0_11ScoringFuncE1EEEvPKT5_PKbPfiPT4_PiiiibPKf
; %bb.0:
	s_load_b32 s3, s[0:1], 0x18
	v_bfe_u32 v1, v0, 10, 10
	v_and_b32_e32 v0, 0x3ff, v0
	s_lshl_b32 s2, s15, 8
	s_delay_alu instid0(VALU_DEP_2) | instskip(NEXT) | instid1(VALU_DEP_1)
	v_lshlrev_b32_e32 v1, 6, v1
	v_add3_u32 v10, v1, v0, s2
	s_mov_b32 s2, exec_lo
	s_waitcnt lgkmcnt(0)
	s_delay_alu instid0(VALU_DEP_1)
	v_cmpx_gt_i32_e64 s3, v10
	s_cbranch_execz .LBB333_14
; %bb.1:
	s_clause 0x1
	s_load_b128 s[4:7], s[0:1], 0x0
	s_load_b64 s[8:9], s[0:1], 0x10
	s_waitcnt lgkmcnt(0)
	s_cmp_eq_u64 s[6:7], 0
	s_cbranch_scc1 .LBB333_3
; %bb.2:
	v_ashrrev_i32_e32 v1, 31, v10
	v_add_co_u32 v0, vcc_lo, s6, v10
	s_delay_alu instid0(VALU_DEP_2) | instskip(SKIP_3) | instid1(VALU_DEP_1)
	v_add_co_ci_u32_e32 v1, vcc_lo, s7, v1, vcc_lo
	global_load_u8 v0, v[0:1], off
	s_waitcnt vmcnt(0)
	v_and_b32_e32 v0, 1, v0
	v_cmp_eq_u32_e32 vcc_lo, 1, v0
	s_xor_b32 s2, vcc_lo, -1
	s_delay_alu instid0(SALU_CYCLE_1)
	s_or_not1_b32 s10, s2, exec_lo
	s_branch .LBB333_4
.LBB333_3:
	s_mov_b32 s10, -1
.LBB333_4:
	v_lshlrev_b32_e32 v0, 1, v10
	s_delay_alu instid0(VALU_DEP_1) | instskip(NEXT) | instid1(VALU_DEP_1)
	v_ashrrev_i32_e32 v1, 31, v0
	v_lshlrev_b64 v[0:1], 1, v[0:1]
	s_delay_alu instid0(VALU_DEP_1) | instskip(NEXT) | instid1(VALU_DEP_2)
	v_add_co_u32 v0, vcc_lo, s4, v0
	v_add_co_ci_u32_e32 v1, vcc_lo, s5, v1, vcc_lo
	s_load_b64 s[4:5], s[0:1], 0x40
	global_load_b32 v0, v[0:1], off
	s_waitcnt lgkmcnt(0)
	s_cmp_eq_u64 s[4:5], 0
	s_waitcnt vmcnt(0)
	v_lshlrev_b32_e32 v1, 16, v0
	s_delay_alu instid0(VALU_DEP_1) | instskip(NEXT) | instid1(VALU_DEP_1)
	v_mul_f32_e32 v1, 0xbfb8aa3b, v1
	v_exp_f32_e32 v1, v1
	s_waitcnt_depctr 0xfff
	v_dual_add_f32 v1, 1.0, v1 :: v_dual_and_b32 v0, 0xffff0000, v0
	s_delay_alu instid0(VALU_DEP_1) | instskip(NEXT) | instid1(VALU_DEP_2)
	v_mul_f32_e32 v0, 0xbfb8aa3b, v0
	v_div_scale_f32 v2, null, v1, v1, 1.0
	s_delay_alu instid0(VALU_DEP_2) | instskip(SKIP_1) | instid1(VALU_DEP_2)
	v_exp_f32_e32 v0, v0
	v_div_scale_f32 v8, vcc_lo, 1.0, v1, 1.0
	v_rcp_f32_e32 v4, v2
	s_waitcnt_depctr 0xfff
	v_add_f32_e32 v0, 1.0, v0
	v_fma_f32 v6, -v2, v4, 1.0
	s_delay_alu instid0(VALU_DEP_2) | instskip(NEXT) | instid1(VALU_DEP_1)
	v_div_scale_f32 v3, null, v0, v0, 1.0
	v_rcp_f32_e32 v5, v3
	s_waitcnt_depctr 0xfff
	v_fma_f32 v7, -v3, v5, 1.0
	s_delay_alu instid0(VALU_DEP_1) | instskip(SKIP_1) | instid1(VALU_DEP_1)
	v_dual_fmac_f32 v5, v7, v5 :: v_dual_fmac_f32 v4, v6, v4
	v_div_scale_f32 v6, s2, 1.0, v0, 1.0
	v_mul_f32_e32 v9, v6, v5
	s_delay_alu instid0(VALU_DEP_1) | instskip(NEXT) | instid1(VALU_DEP_1)
	v_fma_f32 v12, -v3, v9, v6
	v_fmac_f32_e32 v9, v12, v5
	v_mul_f32_e32 v7, v8, v4
	s_delay_alu instid0(VALU_DEP_2) | instskip(NEXT) | instid1(VALU_DEP_2)
	v_fma_f32 v3, -v3, v9, v6
	v_fma_f32 v11, -v2, v7, v8
	s_delay_alu instid0(VALU_DEP_1) | instskip(NEXT) | instid1(VALU_DEP_1)
	v_fmac_f32_e32 v7, v11, v4
	v_fma_f32 v2, -v2, v7, v8
	s_delay_alu instid0(VALU_DEP_1) | instskip(SKIP_2) | instid1(VALU_DEP_2)
	v_div_fmas_f32 v2, v2, v4, v7
	s_mov_b32 vcc_lo, s2
	v_div_fmas_f32 v3, v3, v5, v9
	v_div_fixup_f32 v1, v2, v1, 1.0
	s_delay_alu instid0(VALU_DEP_2) | instskip(NEXT) | instid1(VALU_DEP_2)
	v_div_fixup_f32 v2, v3, v0, 1.0
	v_cmp_class_f32_e64 vcc_lo, v1, 0x1f8
	v_cndmask_b32_e32 v0, 0, v1, vcc_lo
	s_delay_alu instid0(VALU_DEP_3) | instskip(SKIP_1) | instid1(VALU_DEP_1)
	v_cmp_class_f32_e64 vcc_lo, v2, 0x1f8
	v_cndmask_b32_e32 v1, 0, v2, vcc_lo
	v_dual_mov_b32 v3, v1 :: v_dual_mov_b32 v2, v0
	s_cbranch_scc1 .LBB333_6
; %bb.5:
	s_load_b64 s[4:5], s[4:5], 0x0
	s_waitcnt lgkmcnt(0)
	v_dual_add_f32 v2, s4, v0 :: v_dual_add_f32 v3, s5, v1
.LBB333_6:
	s_load_b128 s[4:7], s[0:1], 0x30
	s_waitcnt lgkmcnt(0)
	s_bitcmp1_b32 s7, 0
	s_cselect_b32 vcc_lo, -1, 0
	s_cmp_gt_i32 s4, 0
	s_cselect_b32 s7, -1, 0
	s_cmp_lt_i32 s4, 1
	s_cbranch_scc1 .LBB333_10
; %bb.7:
	v_mul_lo_u32 v4, v10, s4
	s_load_b128 s[12:15], s[0:1], 0x20
	v_dual_mov_b32 v11, 0 :: v_dual_mov_b32 v12, v10
	s_mov_b32 s11, 0
	s_delay_alu instid0(VALU_DEP_2) | instskip(NEXT) | instid1(VALU_DEP_1)
	v_ashrrev_i32_e32 v5, 31, v4
	v_lshlrev_b64 v[8:9], 2, v[4:5]
	s_delay_alu instid0(VALU_DEP_1) | instskip(NEXT) | instid1(VALU_DEP_1)
	v_add_co_u32 v4, s0, s8, v8
	v_add_co_ci_u32_e64 v5, s0, s9, v9, s0
	s_waitcnt lgkmcnt(0)
	v_add_co_u32 v6, s0, s12, v8
	s_delay_alu instid0(VALU_DEP_1) | instskip(SKIP_1) | instid1(VALU_DEP_1)
	v_add_co_ci_u32_e64 v7, s0, s13, v9, s0
	v_add_co_u32 v8, s0, s14, v8
	v_add_co_ci_u32_e64 v9, s0, s15, v9, s0
.LBB333_8:                              ; =>This Inner Loop Header: Depth=1
	v_cmp_gt_f32_e64 s0, v3, v2
	s_add_i32 s11, s11, 1
	s_delay_alu instid0(VALU_DEP_1) | instskip(SKIP_3) | instid1(VALU_DEP_4)
	v_cndmask_b32_e64 v13, 0, 1, s0
	v_cndmask_b32_e64 v14, v0, v1, s0
	;; [unrolled: 1-line block ×4, first 2 shown]
	v_cmp_le_i32_e64 s1, s5, v13
	v_cmp_gt_i32_e64 s2, s6, v13
	v_subrev_nc_u32_e32 v13, s5, v13
	global_store_b32 v[4:5], v14, off
	v_add_f32_e32 v16, v11, v14
	s_and_b32 s1, s1, s2
	s_delay_alu instid0(SALU_CYCLE_1)
	s_and_b32 s1, s10, s1
	s_cmp_lt_i32 s11, s4
	v_cndmask_b32_e64 v13, 2, v13, s1
	s_cselect_b32 s0, -1, 0
	v_cndmask_b32_e32 v11, v11, v16, vcc_lo
	v_cndmask_b32_e64 v3, v3, v17, s0
	v_cndmask_b32_e64 v2, v2, v15, s0
	v_add_co_u32 v4, s0, v4, 4
	s_delay_alu instid0(VALU_DEP_1) | instskip(SKIP_3) | instid1(VALU_DEP_1)
	v_add_co_ci_u32_e64 v5, s0, 0, v5, s0
	global_store_b32 v[6:7], v13, off
	global_store_b32 v[8:9], v12, off
	v_add_co_u32 v6, s0, v6, 4
	v_add_co_ci_u32_e64 v7, s0, 0, v7, s0
	v_add_co_u32 v8, s0, v8, 4
	v_add_nc_u32_e32 v12, s3, v12
	v_add_co_ci_u32_e64 v9, s0, 0, v9, s0
	s_cmp_eq_u32 s4, s11
	s_cbranch_scc0 .LBB333_8
; %bb.9:
	s_and_b32 vcc_lo, exec_lo, vcc_lo
	s_cbranch_vccnz .LBB333_11
	s_branch .LBB333_14
.LBB333_10:
	v_mov_b32_e32 v11, 0
	s_and_b32 vcc_lo, exec_lo, vcc_lo
	s_cbranch_vccz .LBB333_14
.LBB333_11:
	s_and_not1_b32 vcc_lo, exec_lo, s7
	s_cbranch_vccnz .LBB333_14
; %bb.12:
	v_mul_lo_u32 v0, v10, s4
	v_cmp_lt_f32_e32 vcc_lo, 0, v11
	v_cndmask_b32_e32 v2, 1.0, v11, vcc_lo
	s_delay_alu instid0(VALU_DEP_3) | instskip(NEXT) | instid1(VALU_DEP_1)
	v_ashrrev_i32_e32 v1, 31, v0
	v_lshlrev_b64 v[0:1], 2, v[0:1]
	s_delay_alu instid0(VALU_DEP_1) | instskip(NEXT) | instid1(VALU_DEP_2)
	v_add_co_u32 v0, vcc_lo, s8, v0
	v_add_co_ci_u32_e32 v1, vcc_lo, s9, v1, vcc_lo
	.p2align	6
.LBB333_13:                             ; =>This Inner Loop Header: Depth=1
	global_load_b32 v3, v[0:1], off
	s_add_i32 s4, s4, -1
	s_delay_alu instid0(SALU_CYCLE_1) | instskip(SKIP_3) | instid1(VALU_DEP_2)
	s_cmp_lg_u32 s4, 0
	s_waitcnt vmcnt(0)
	v_div_scale_f32 v4, null, v2, v2, v3
	v_div_scale_f32 v7, vcc_lo, v3, v2, v3
	v_rcp_f32_e32 v5, v4
	s_waitcnt_depctr 0xfff
	v_fma_f32 v6, -v4, v5, 1.0
	s_delay_alu instid0(VALU_DEP_1) | instskip(NEXT) | instid1(VALU_DEP_1)
	v_fmac_f32_e32 v5, v6, v5
	v_mul_f32_e32 v6, v7, v5
	s_delay_alu instid0(VALU_DEP_1) | instskip(NEXT) | instid1(VALU_DEP_1)
	v_fma_f32 v8, -v4, v6, v7
	v_fmac_f32_e32 v6, v8, v5
	s_delay_alu instid0(VALU_DEP_1) | instskip(NEXT) | instid1(VALU_DEP_1)
	v_fma_f32 v4, -v4, v6, v7
	v_div_fmas_f32 v4, v4, v5, v6
	s_delay_alu instid0(VALU_DEP_1)
	v_div_fixup_f32 v3, v4, v2, v3
	global_store_b32 v[0:1], v3, off
	v_add_co_u32 v0, vcc_lo, v0, 4
	v_add_co_ci_u32_e32 v1, vcc_lo, 0, v1, vcc_lo
	s_cbranch_scc1 .LBB333_13
.LBB333_14:
	s_nop 0
	s_sendmsg sendmsg(MSG_DEALLOC_VGPRS)
	s_endpgm
	.section	.rodata,"a",@progbits
	.p2align	6, 0x0
	.amdhsa_kernel _ZN4vllm3moe10topkGatingILi2ELi2ELi4ELi4ELi64Ej14__hip_bfloat16LNS0_11ScoringFuncE1EEEvPKT5_PKbPfiPT4_PiiiibPKf
		.amdhsa_group_segment_fixed_size 0
		.amdhsa_private_segment_fixed_size 0
		.amdhsa_kernarg_size 72
		.amdhsa_user_sgpr_count 15
		.amdhsa_user_sgpr_dispatch_ptr 0
		.amdhsa_user_sgpr_queue_ptr 0
		.amdhsa_user_sgpr_kernarg_segment_ptr 1
		.amdhsa_user_sgpr_dispatch_id 0
		.amdhsa_user_sgpr_private_segment_size 0
		.amdhsa_wavefront_size32 1
		.amdhsa_uses_dynamic_stack 0
		.amdhsa_enable_private_segment 0
		.amdhsa_system_sgpr_workgroup_id_x 1
		.amdhsa_system_sgpr_workgroup_id_y 0
		.amdhsa_system_sgpr_workgroup_id_z 0
		.amdhsa_system_sgpr_workgroup_info 0
		.amdhsa_system_vgpr_workitem_id 1
		.amdhsa_next_free_vgpr 18
		.amdhsa_next_free_sgpr 16
		.amdhsa_reserve_vcc 1
		.amdhsa_float_round_mode_32 0
		.amdhsa_float_round_mode_16_64 0
		.amdhsa_float_denorm_mode_32 3
		.amdhsa_float_denorm_mode_16_64 3
		.amdhsa_dx10_clamp 1
		.amdhsa_ieee_mode 1
		.amdhsa_fp16_overflow 0
		.amdhsa_workgroup_processor_mode 1
		.amdhsa_memory_ordered 1
		.amdhsa_forward_progress 0
		.amdhsa_shared_vgpr_count 0
		.amdhsa_exception_fp_ieee_invalid_op 0
		.amdhsa_exception_fp_denorm_src 0
		.amdhsa_exception_fp_ieee_div_zero 0
		.amdhsa_exception_fp_ieee_overflow 0
		.amdhsa_exception_fp_ieee_underflow 0
		.amdhsa_exception_fp_ieee_inexact 0
		.amdhsa_exception_int_div_zero 0
	.end_amdhsa_kernel
	.section	.text._ZN4vllm3moe10topkGatingILi2ELi2ELi4ELi4ELi64Ej14__hip_bfloat16LNS0_11ScoringFuncE1EEEvPKT5_PKbPfiPT4_PiiiibPKf,"axG",@progbits,_ZN4vllm3moe10topkGatingILi2ELi2ELi4ELi4ELi64Ej14__hip_bfloat16LNS0_11ScoringFuncE1EEEvPKT5_PKbPfiPT4_PiiiibPKf,comdat
.Lfunc_end333:
	.size	_ZN4vllm3moe10topkGatingILi2ELi2ELi4ELi4ELi64Ej14__hip_bfloat16LNS0_11ScoringFuncE1EEEvPKT5_PKbPfiPT4_PiiiibPKf, .Lfunc_end333-_ZN4vllm3moe10topkGatingILi2ELi2ELi4ELi4ELi64Ej14__hip_bfloat16LNS0_11ScoringFuncE1EEEvPKT5_PKbPfiPT4_PiiiibPKf
                                        ; -- End function
	.section	.AMDGPU.csdata,"",@progbits
; Kernel info:
; codeLenInByte = 1124
; NumSgprs: 18
; NumVgprs: 18
; ScratchSize: 0
; MemoryBound: 0
; FloatMode: 240
; IeeeMode: 1
; LDSByteSize: 0 bytes/workgroup (compile time only)
; SGPRBlocks: 2
; VGPRBlocks: 2
; NumSGPRsForWavesPerEU: 18
; NumVGPRsForWavesPerEU: 18
; Occupancy: 16
; WaveLimiterHint : 0
; COMPUTE_PGM_RSRC2:SCRATCH_EN: 0
; COMPUTE_PGM_RSRC2:USER_SGPR: 15
; COMPUTE_PGM_RSRC2:TRAP_HANDLER: 0
; COMPUTE_PGM_RSRC2:TGID_X_EN: 1
; COMPUTE_PGM_RSRC2:TGID_Y_EN: 0
; COMPUTE_PGM_RSRC2:TGID_Z_EN: 0
; COMPUTE_PGM_RSRC2:TIDIG_COMP_CNT: 1
	.section	.text._ZN4vllm3moe10topkGatingILi2ELi2ELi4ELi4ELi32Ej14__hip_bfloat16LNS0_11ScoringFuncE1EEEvPKT5_PKbPfiPT4_PiiiibPKf,"axG",@progbits,_ZN4vllm3moe10topkGatingILi2ELi2ELi4ELi4ELi32Ej14__hip_bfloat16LNS0_11ScoringFuncE1EEEvPKT5_PKbPfiPT4_PiiiibPKf,comdat
	.protected	_ZN4vllm3moe10topkGatingILi2ELi2ELi4ELi4ELi32Ej14__hip_bfloat16LNS0_11ScoringFuncE1EEEvPKT5_PKbPfiPT4_PiiiibPKf ; -- Begin function _ZN4vllm3moe10topkGatingILi2ELi2ELi4ELi4ELi32Ej14__hip_bfloat16LNS0_11ScoringFuncE1EEEvPKT5_PKbPfiPT4_PiiiibPKf
	.globl	_ZN4vllm3moe10topkGatingILi2ELi2ELi4ELi4ELi32Ej14__hip_bfloat16LNS0_11ScoringFuncE1EEEvPKT5_PKbPfiPT4_PiiiibPKf
	.p2align	8
	.type	_ZN4vllm3moe10topkGatingILi2ELi2ELi4ELi4ELi32Ej14__hip_bfloat16LNS0_11ScoringFuncE1EEEvPKT5_PKbPfiPT4_PiiiibPKf,@function
_ZN4vllm3moe10topkGatingILi2ELi2ELi4ELi4ELi32Ej14__hip_bfloat16LNS0_11ScoringFuncE1EEEvPKT5_PKbPfiPT4_PiiiibPKf: ; @_ZN4vllm3moe10topkGatingILi2ELi2ELi4ELi4ELi32Ej14__hip_bfloat16LNS0_11ScoringFuncE1EEEvPKT5_PKbPfiPT4_PiiiibPKf
; %bb.0:
	s_load_b32 s3, s[0:1], 0x18
	v_bfe_u32 v1, v0, 10, 10
	v_and_b32_e32 v0, 0x3ff, v0
	s_lshl_b32 s2, s15, 7
	s_delay_alu instid0(VALU_DEP_2) | instskip(NEXT) | instid1(VALU_DEP_1)
	v_lshlrev_b32_e32 v1, 5, v1
	v_add3_u32 v10, v1, v0, s2
	s_mov_b32 s2, exec_lo
	s_waitcnt lgkmcnt(0)
	s_delay_alu instid0(VALU_DEP_1)
	v_cmpx_gt_i32_e64 s3, v10
	s_cbranch_execz .LBB334_14
; %bb.1:
	s_clause 0x1
	s_load_b128 s[4:7], s[0:1], 0x0
	s_load_b64 s[8:9], s[0:1], 0x10
	s_waitcnt lgkmcnt(0)
	s_cmp_eq_u64 s[6:7], 0
	s_cbranch_scc1 .LBB334_3
; %bb.2:
	v_ashrrev_i32_e32 v1, 31, v10
	v_add_co_u32 v0, vcc_lo, s6, v10
	s_delay_alu instid0(VALU_DEP_2) | instskip(SKIP_3) | instid1(VALU_DEP_1)
	v_add_co_ci_u32_e32 v1, vcc_lo, s7, v1, vcc_lo
	global_load_u8 v0, v[0:1], off
	s_waitcnt vmcnt(0)
	v_and_b32_e32 v0, 1, v0
	v_cmp_eq_u32_e32 vcc_lo, 1, v0
	s_xor_b32 s2, vcc_lo, -1
	s_delay_alu instid0(SALU_CYCLE_1)
	s_or_not1_b32 s10, s2, exec_lo
	s_branch .LBB334_4
.LBB334_3:
	s_mov_b32 s10, -1
.LBB334_4:
	v_lshlrev_b32_e32 v0, 1, v10
	s_delay_alu instid0(VALU_DEP_1) | instskip(NEXT) | instid1(VALU_DEP_1)
	v_ashrrev_i32_e32 v1, 31, v0
	v_lshlrev_b64 v[0:1], 1, v[0:1]
	s_delay_alu instid0(VALU_DEP_1) | instskip(NEXT) | instid1(VALU_DEP_2)
	v_add_co_u32 v0, vcc_lo, s4, v0
	v_add_co_ci_u32_e32 v1, vcc_lo, s5, v1, vcc_lo
	s_load_b64 s[4:5], s[0:1], 0x40
	global_load_b32 v0, v[0:1], off
	s_waitcnt lgkmcnt(0)
	s_cmp_eq_u64 s[4:5], 0
	s_waitcnt vmcnt(0)
	v_lshlrev_b32_e32 v1, 16, v0
	s_delay_alu instid0(VALU_DEP_1) | instskip(NEXT) | instid1(VALU_DEP_1)
	v_mul_f32_e32 v1, 0xbfb8aa3b, v1
	v_exp_f32_e32 v1, v1
	s_waitcnt_depctr 0xfff
	v_dual_add_f32 v1, 1.0, v1 :: v_dual_and_b32 v0, 0xffff0000, v0
	s_delay_alu instid0(VALU_DEP_1) | instskip(NEXT) | instid1(VALU_DEP_2)
	v_mul_f32_e32 v0, 0xbfb8aa3b, v0
	v_div_scale_f32 v2, null, v1, v1, 1.0
	s_delay_alu instid0(VALU_DEP_2) | instskip(SKIP_1) | instid1(VALU_DEP_2)
	v_exp_f32_e32 v0, v0
	v_div_scale_f32 v8, vcc_lo, 1.0, v1, 1.0
	v_rcp_f32_e32 v4, v2
	s_waitcnt_depctr 0xfff
	v_add_f32_e32 v0, 1.0, v0
	v_fma_f32 v6, -v2, v4, 1.0
	s_delay_alu instid0(VALU_DEP_2) | instskip(NEXT) | instid1(VALU_DEP_1)
	v_div_scale_f32 v3, null, v0, v0, 1.0
	v_rcp_f32_e32 v5, v3
	s_waitcnt_depctr 0xfff
	v_fma_f32 v7, -v3, v5, 1.0
	s_delay_alu instid0(VALU_DEP_1) | instskip(SKIP_1) | instid1(VALU_DEP_1)
	v_dual_fmac_f32 v5, v7, v5 :: v_dual_fmac_f32 v4, v6, v4
	v_div_scale_f32 v6, s2, 1.0, v0, 1.0
	v_mul_f32_e32 v9, v6, v5
	s_delay_alu instid0(VALU_DEP_1) | instskip(NEXT) | instid1(VALU_DEP_1)
	v_fma_f32 v12, -v3, v9, v6
	v_fmac_f32_e32 v9, v12, v5
	v_mul_f32_e32 v7, v8, v4
	s_delay_alu instid0(VALU_DEP_2) | instskip(NEXT) | instid1(VALU_DEP_2)
	v_fma_f32 v3, -v3, v9, v6
	v_fma_f32 v11, -v2, v7, v8
	s_delay_alu instid0(VALU_DEP_1) | instskip(NEXT) | instid1(VALU_DEP_1)
	v_fmac_f32_e32 v7, v11, v4
	v_fma_f32 v2, -v2, v7, v8
	s_delay_alu instid0(VALU_DEP_1) | instskip(SKIP_2) | instid1(VALU_DEP_2)
	v_div_fmas_f32 v2, v2, v4, v7
	s_mov_b32 vcc_lo, s2
	v_div_fmas_f32 v3, v3, v5, v9
	v_div_fixup_f32 v1, v2, v1, 1.0
	s_delay_alu instid0(VALU_DEP_2) | instskip(NEXT) | instid1(VALU_DEP_2)
	v_div_fixup_f32 v2, v3, v0, 1.0
	v_cmp_class_f32_e64 vcc_lo, v1, 0x1f8
	v_cndmask_b32_e32 v0, 0, v1, vcc_lo
	s_delay_alu instid0(VALU_DEP_3) | instskip(SKIP_1) | instid1(VALU_DEP_1)
	v_cmp_class_f32_e64 vcc_lo, v2, 0x1f8
	v_cndmask_b32_e32 v1, 0, v2, vcc_lo
	v_dual_mov_b32 v3, v1 :: v_dual_mov_b32 v2, v0
	s_cbranch_scc1 .LBB334_6
; %bb.5:
	s_load_b64 s[4:5], s[4:5], 0x0
	s_waitcnt lgkmcnt(0)
	v_dual_add_f32 v2, s4, v0 :: v_dual_add_f32 v3, s5, v1
.LBB334_6:
	s_load_b128 s[4:7], s[0:1], 0x30
	s_waitcnt lgkmcnt(0)
	s_bitcmp1_b32 s7, 0
	s_cselect_b32 vcc_lo, -1, 0
	s_cmp_gt_i32 s4, 0
	s_cselect_b32 s7, -1, 0
	s_cmp_lt_i32 s4, 1
	s_cbranch_scc1 .LBB334_10
; %bb.7:
	v_mul_lo_u32 v4, v10, s4
	s_load_b128 s[12:15], s[0:1], 0x20
	v_dual_mov_b32 v11, 0 :: v_dual_mov_b32 v12, v10
	s_mov_b32 s11, 0
	s_delay_alu instid0(VALU_DEP_2) | instskip(NEXT) | instid1(VALU_DEP_1)
	v_ashrrev_i32_e32 v5, 31, v4
	v_lshlrev_b64 v[8:9], 2, v[4:5]
	s_delay_alu instid0(VALU_DEP_1) | instskip(NEXT) | instid1(VALU_DEP_1)
	v_add_co_u32 v4, s0, s8, v8
	v_add_co_ci_u32_e64 v5, s0, s9, v9, s0
	s_waitcnt lgkmcnt(0)
	v_add_co_u32 v6, s0, s12, v8
	s_delay_alu instid0(VALU_DEP_1) | instskip(SKIP_1) | instid1(VALU_DEP_1)
	v_add_co_ci_u32_e64 v7, s0, s13, v9, s0
	v_add_co_u32 v8, s0, s14, v8
	v_add_co_ci_u32_e64 v9, s0, s15, v9, s0
.LBB334_8:                              ; =>This Inner Loop Header: Depth=1
	v_cmp_gt_f32_e64 s0, v3, v2
	s_add_i32 s11, s11, 1
	s_delay_alu instid0(VALU_DEP_1) | instskip(SKIP_3) | instid1(VALU_DEP_4)
	v_cndmask_b32_e64 v13, 0, 1, s0
	v_cndmask_b32_e64 v14, v0, v1, s0
	;; [unrolled: 1-line block ×4, first 2 shown]
	v_cmp_le_i32_e64 s1, s5, v13
	v_cmp_gt_i32_e64 s2, s6, v13
	v_subrev_nc_u32_e32 v13, s5, v13
	global_store_b32 v[4:5], v14, off
	v_add_f32_e32 v16, v11, v14
	s_and_b32 s1, s1, s2
	s_delay_alu instid0(SALU_CYCLE_1)
	s_and_b32 s1, s10, s1
	s_cmp_lt_i32 s11, s4
	v_cndmask_b32_e64 v13, 2, v13, s1
	s_cselect_b32 s0, -1, 0
	v_cndmask_b32_e32 v11, v11, v16, vcc_lo
	v_cndmask_b32_e64 v3, v3, v17, s0
	v_cndmask_b32_e64 v2, v2, v15, s0
	v_add_co_u32 v4, s0, v4, 4
	s_delay_alu instid0(VALU_DEP_1) | instskip(SKIP_3) | instid1(VALU_DEP_1)
	v_add_co_ci_u32_e64 v5, s0, 0, v5, s0
	global_store_b32 v[6:7], v13, off
	global_store_b32 v[8:9], v12, off
	v_add_co_u32 v6, s0, v6, 4
	v_add_co_ci_u32_e64 v7, s0, 0, v7, s0
	v_add_co_u32 v8, s0, v8, 4
	v_add_nc_u32_e32 v12, s3, v12
	v_add_co_ci_u32_e64 v9, s0, 0, v9, s0
	s_cmp_eq_u32 s4, s11
	s_cbranch_scc0 .LBB334_8
; %bb.9:
	s_and_b32 vcc_lo, exec_lo, vcc_lo
	s_cbranch_vccnz .LBB334_11
	s_branch .LBB334_14
.LBB334_10:
	v_mov_b32_e32 v11, 0
	s_and_b32 vcc_lo, exec_lo, vcc_lo
	s_cbranch_vccz .LBB334_14
.LBB334_11:
	s_and_not1_b32 vcc_lo, exec_lo, s7
	s_cbranch_vccnz .LBB334_14
; %bb.12:
	v_mul_lo_u32 v0, v10, s4
	v_cmp_lt_f32_e32 vcc_lo, 0, v11
	v_cndmask_b32_e32 v2, 1.0, v11, vcc_lo
	s_delay_alu instid0(VALU_DEP_3) | instskip(NEXT) | instid1(VALU_DEP_1)
	v_ashrrev_i32_e32 v1, 31, v0
	v_lshlrev_b64 v[0:1], 2, v[0:1]
	s_delay_alu instid0(VALU_DEP_1) | instskip(NEXT) | instid1(VALU_DEP_2)
	v_add_co_u32 v0, vcc_lo, s8, v0
	v_add_co_ci_u32_e32 v1, vcc_lo, s9, v1, vcc_lo
	.p2align	6
.LBB334_13:                             ; =>This Inner Loop Header: Depth=1
	global_load_b32 v3, v[0:1], off
	s_add_i32 s4, s4, -1
	s_delay_alu instid0(SALU_CYCLE_1) | instskip(SKIP_3) | instid1(VALU_DEP_2)
	s_cmp_lg_u32 s4, 0
	s_waitcnt vmcnt(0)
	v_div_scale_f32 v4, null, v2, v2, v3
	v_div_scale_f32 v7, vcc_lo, v3, v2, v3
	v_rcp_f32_e32 v5, v4
	s_waitcnt_depctr 0xfff
	v_fma_f32 v6, -v4, v5, 1.0
	s_delay_alu instid0(VALU_DEP_1) | instskip(NEXT) | instid1(VALU_DEP_1)
	v_fmac_f32_e32 v5, v6, v5
	v_mul_f32_e32 v6, v7, v5
	s_delay_alu instid0(VALU_DEP_1) | instskip(NEXT) | instid1(VALU_DEP_1)
	v_fma_f32 v8, -v4, v6, v7
	v_fmac_f32_e32 v6, v8, v5
	s_delay_alu instid0(VALU_DEP_1) | instskip(NEXT) | instid1(VALU_DEP_1)
	v_fma_f32 v4, -v4, v6, v7
	v_div_fmas_f32 v4, v4, v5, v6
	s_delay_alu instid0(VALU_DEP_1)
	v_div_fixup_f32 v3, v4, v2, v3
	global_store_b32 v[0:1], v3, off
	v_add_co_u32 v0, vcc_lo, v0, 4
	v_add_co_ci_u32_e32 v1, vcc_lo, 0, v1, vcc_lo
	s_cbranch_scc1 .LBB334_13
.LBB334_14:
	s_nop 0
	s_sendmsg sendmsg(MSG_DEALLOC_VGPRS)
	s_endpgm
	.section	.rodata,"a",@progbits
	.p2align	6, 0x0
	.amdhsa_kernel _ZN4vllm3moe10topkGatingILi2ELi2ELi4ELi4ELi32Ej14__hip_bfloat16LNS0_11ScoringFuncE1EEEvPKT5_PKbPfiPT4_PiiiibPKf
		.amdhsa_group_segment_fixed_size 0
		.amdhsa_private_segment_fixed_size 0
		.amdhsa_kernarg_size 72
		.amdhsa_user_sgpr_count 15
		.amdhsa_user_sgpr_dispatch_ptr 0
		.amdhsa_user_sgpr_queue_ptr 0
		.amdhsa_user_sgpr_kernarg_segment_ptr 1
		.amdhsa_user_sgpr_dispatch_id 0
		.amdhsa_user_sgpr_private_segment_size 0
		.amdhsa_wavefront_size32 1
		.amdhsa_uses_dynamic_stack 0
		.amdhsa_enable_private_segment 0
		.amdhsa_system_sgpr_workgroup_id_x 1
		.amdhsa_system_sgpr_workgroup_id_y 0
		.amdhsa_system_sgpr_workgroup_id_z 0
		.amdhsa_system_sgpr_workgroup_info 0
		.amdhsa_system_vgpr_workitem_id 1
		.amdhsa_next_free_vgpr 18
		.amdhsa_next_free_sgpr 16
		.amdhsa_reserve_vcc 1
		.amdhsa_float_round_mode_32 0
		.amdhsa_float_round_mode_16_64 0
		.amdhsa_float_denorm_mode_32 3
		.amdhsa_float_denorm_mode_16_64 3
		.amdhsa_dx10_clamp 1
		.amdhsa_ieee_mode 1
		.amdhsa_fp16_overflow 0
		.amdhsa_workgroup_processor_mode 1
		.amdhsa_memory_ordered 1
		.amdhsa_forward_progress 0
		.amdhsa_shared_vgpr_count 0
		.amdhsa_exception_fp_ieee_invalid_op 0
		.amdhsa_exception_fp_denorm_src 0
		.amdhsa_exception_fp_ieee_div_zero 0
		.amdhsa_exception_fp_ieee_overflow 0
		.amdhsa_exception_fp_ieee_underflow 0
		.amdhsa_exception_fp_ieee_inexact 0
		.amdhsa_exception_int_div_zero 0
	.end_amdhsa_kernel
	.section	.text._ZN4vllm3moe10topkGatingILi2ELi2ELi4ELi4ELi32Ej14__hip_bfloat16LNS0_11ScoringFuncE1EEEvPKT5_PKbPfiPT4_PiiiibPKf,"axG",@progbits,_ZN4vllm3moe10topkGatingILi2ELi2ELi4ELi4ELi32Ej14__hip_bfloat16LNS0_11ScoringFuncE1EEEvPKT5_PKbPfiPT4_PiiiibPKf,comdat
.Lfunc_end334:
	.size	_ZN4vllm3moe10topkGatingILi2ELi2ELi4ELi4ELi32Ej14__hip_bfloat16LNS0_11ScoringFuncE1EEEvPKT5_PKbPfiPT4_PiiiibPKf, .Lfunc_end334-_ZN4vllm3moe10topkGatingILi2ELi2ELi4ELi4ELi32Ej14__hip_bfloat16LNS0_11ScoringFuncE1EEEvPKT5_PKbPfiPT4_PiiiibPKf
                                        ; -- End function
	.section	.AMDGPU.csdata,"",@progbits
; Kernel info:
; codeLenInByte = 1124
; NumSgprs: 18
; NumVgprs: 18
; ScratchSize: 0
; MemoryBound: 0
; FloatMode: 240
; IeeeMode: 1
; LDSByteSize: 0 bytes/workgroup (compile time only)
; SGPRBlocks: 2
; VGPRBlocks: 2
; NumSGPRsForWavesPerEU: 18
; NumVGPRsForWavesPerEU: 18
; Occupancy: 16
; WaveLimiterHint : 0
; COMPUTE_PGM_RSRC2:SCRATCH_EN: 0
; COMPUTE_PGM_RSRC2:USER_SGPR: 15
; COMPUTE_PGM_RSRC2:TRAP_HANDLER: 0
; COMPUTE_PGM_RSRC2:TGID_X_EN: 1
; COMPUTE_PGM_RSRC2:TGID_Y_EN: 0
; COMPUTE_PGM_RSRC2:TGID_Z_EN: 0
; COMPUTE_PGM_RSRC2:TIDIG_COMP_CNT: 1
	.section	.text._ZN4vllm3moe10topkGatingILi4ELi4ELi4ELi8ELi64Ej14__hip_bfloat16LNS0_11ScoringFuncE1EEEvPKT5_PKbPfiPT4_PiiiibPKf,"axG",@progbits,_ZN4vllm3moe10topkGatingILi4ELi4ELi4ELi8ELi64Ej14__hip_bfloat16LNS0_11ScoringFuncE1EEEvPKT5_PKbPfiPT4_PiiiibPKf,comdat
	.protected	_ZN4vllm3moe10topkGatingILi4ELi4ELi4ELi8ELi64Ej14__hip_bfloat16LNS0_11ScoringFuncE1EEEvPKT5_PKbPfiPT4_PiiiibPKf ; -- Begin function _ZN4vllm3moe10topkGatingILi4ELi4ELi4ELi8ELi64Ej14__hip_bfloat16LNS0_11ScoringFuncE1EEEvPKT5_PKbPfiPT4_PiiiibPKf
	.globl	_ZN4vllm3moe10topkGatingILi4ELi4ELi4ELi8ELi64Ej14__hip_bfloat16LNS0_11ScoringFuncE1EEEvPKT5_PKbPfiPT4_PiiiibPKf
	.p2align	8
	.type	_ZN4vllm3moe10topkGatingILi4ELi4ELi4ELi8ELi64Ej14__hip_bfloat16LNS0_11ScoringFuncE1EEEvPKT5_PKbPfiPT4_PiiiibPKf,@function
_ZN4vllm3moe10topkGatingILi4ELi4ELi4ELi8ELi64Ej14__hip_bfloat16LNS0_11ScoringFuncE1EEEvPKT5_PKbPfiPT4_PiiiibPKf: ; @_ZN4vllm3moe10topkGatingILi4ELi4ELi4ELi8ELi64Ej14__hip_bfloat16LNS0_11ScoringFuncE1EEEvPKT5_PKbPfiPT4_PiiiibPKf
; %bb.0:
	s_load_b32 s10, s[0:1], 0x18
	v_bfe_u32 v1, v0, 10, 10
	v_and_b32_e32 v0, 0x3ff, v0
	s_lshl_b32 s2, s15, 8
	s_delay_alu instid0(VALU_DEP_2) | instskip(NEXT) | instid1(VALU_DEP_1)
	v_lshlrev_b32_e32 v1, 6, v1
	v_add3_u32 v14, v1, v0, s2
	s_mov_b32 s2, exec_lo
	s_waitcnt lgkmcnt(0)
	s_delay_alu instid0(VALU_DEP_1)
	v_cmpx_gt_i32_e64 s10, v14
	s_cbranch_execz .LBB335_15
; %bb.1:
	s_clause 0x1
	s_load_b128 s[4:7], s[0:1], 0x0
	s_load_b64 s[8:9], s[0:1], 0x10
	s_mov_b32 s12, -1
	s_mov_b32 s11, -1
	s_waitcnt lgkmcnt(0)
	s_cmp_eq_u64 s[6:7], 0
	s_cbranch_scc1 .LBB335_3
; %bb.2:
	v_ashrrev_i32_e32 v1, 31, v14
	v_add_co_u32 v0, vcc_lo, s6, v14
	s_delay_alu instid0(VALU_DEP_2) | instskip(SKIP_3) | instid1(VALU_DEP_1)
	v_add_co_ci_u32_e32 v1, vcc_lo, s7, v1, vcc_lo
	global_load_u8 v0, v[0:1], off
	s_waitcnt vmcnt(0)
	v_and_b32_e32 v0, 1, v0
	v_cmp_eq_u32_e32 vcc_lo, 1, v0
	s_xor_b32 s2, vcc_lo, -1
	s_delay_alu instid0(SALU_CYCLE_1)
	s_or_not1_b32 s11, s2, exec_lo
.LBB335_3:
	v_lshlrev_b32_e32 v0, 2, v14
	s_load_b64 s[6:7], s[0:1], 0x40
	s_delay_alu instid0(VALU_DEP_1) | instskip(NEXT) | instid1(VALU_DEP_1)
	v_ashrrev_i32_e32 v1, 31, v0
	v_lshlrev_b64 v[0:1], 1, v[0:1]
	s_delay_alu instid0(VALU_DEP_1) | instskip(NEXT) | instid1(VALU_DEP_2)
	v_add_co_u32 v0, vcc_lo, s4, v0
	v_add_co_ci_u32_e32 v1, vcc_lo, s5, v1, vcc_lo
	s_waitcnt lgkmcnt(0)
	s_cmp_eq_u64 s[6:7], 0
	global_load_b64 v[0:1], v[0:1], off
	s_waitcnt vmcnt(0)
	v_lshlrev_b32_e32 v2, 16, v0
	v_and_b32_e32 v3, 0xffff0000, v0
	v_alignbit_b32 v0, v1, v0, 16
	s_delay_alu instid0(VALU_DEP_1) | instskip(NEXT) | instid1(VALU_DEP_1)
	v_and_b32_e32 v0, 0xffff0000, v0
	v_mul_f32_e32 v0, 0xbfb8aa3b, v0
	s_delay_alu instid0(VALU_DEP_1) | instskip(SKIP_2) | instid1(VALU_DEP_1)
	v_exp_f32_e32 v0, v0
	s_waitcnt_depctr 0xfff
	v_dual_add_f32 v0, 1.0, v0 :: v_dual_and_b32 v1, 0xffff0000, v1
	v_dual_mul_f32 v1, 0xbfb8aa3b, v1 :: v_dual_mul_f32 v2, 0xbfb8aa3b, v2
	s_delay_alu instid0(VALU_DEP_2) | instskip(NEXT) | instid1(VALU_DEP_2)
	v_div_scale_f32 v9, null, v0, v0, 1.0
	v_exp_f32_e32 v2, v2
	s_delay_alu instid0(VALU_DEP_2) | instskip(NEXT) | instid1(VALU_DEP_1)
	v_exp_f32_e32 v1, v1
	v_rcp_f32_e32 v12, v9
	s_delay_alu instid0(TRANS32_DEP_3) | instskip(SKIP_4) | instid1(VALU_DEP_2)
	v_dual_add_f32 v2, 1.0, v2 :: v_dual_mul_f32 v3, 0xbfb8aa3b, v3
	s_waitcnt_depctr 0xfff
	v_add_f32_e32 v1, 1.0, v1
	v_div_scale_f32 v4, null, v2, v2, 1.0
	v_exp_f32_e32 v3, v3
	v_div_scale_f32 v6, null, v1, v1, 1.0
	s_delay_alu instid0(VALU_DEP_2) | instskip(SKIP_1) | instid1(VALU_DEP_2)
	v_rcp_f32_e32 v7, v4
	v_div_scale_f32 v11, vcc_lo, 1.0, v2, 1.0
	v_rcp_f32_e32 v10, v6
	v_div_scale_f32 v18, s3, 1.0, v1, 1.0
	s_delay_alu instid0(TRANS32_DEP_3) | instskip(SKIP_4) | instid1(VALU_DEP_3)
	v_add_f32_e32 v3, 1.0, v3
	s_waitcnt_depctr 0xfff
	v_fma_f32 v15, -v4, v7, 1.0
	v_div_scale_f32 v5, null, v3, v3, 1.0
	v_fma_f32 v17, -v6, v10, 1.0
	v_fmac_f32_e32 v7, v15, v7
	v_div_scale_f32 v13, s2, 1.0, v3, 1.0
	s_delay_alu instid0(VALU_DEP_4) | instskip(NEXT) | instid1(VALU_DEP_3)
	v_rcp_f32_e32 v8, v5
	v_fmac_f32_e32 v10, v17, v10
	v_fma_f32 v15, -v9, v12, 1.0
	v_mul_f32_e32 v17, v11, v7
	s_delay_alu instid0(VALU_DEP_1) | instskip(SKIP_3) | instid1(VALU_DEP_2)
	v_fma_f32 v20, -v4, v17, v11
	s_waitcnt_depctr 0xfff
	v_fma_f32 v16, -v5, v8, 1.0
	v_dual_fmac_f32 v17, v20, v7 :: v_dual_fmac_f32 v12, v15, v12
	v_dual_mul_f32 v15, v18, v10 :: v_dual_fmac_f32 v8, v16, v8
	v_div_scale_f32 v16, s4, 1.0, v0, 1.0
	s_delay_alu instid0(VALU_DEP_3) | instskip(NEXT) | instid1(VALU_DEP_3)
	v_fma_f32 v4, -v4, v17, v11
	v_fma_f32 v23, -v6, v15, v18
	s_delay_alu instid0(VALU_DEP_3) | instskip(NEXT) | instid1(VALU_DEP_3)
	v_mul_f32_e32 v22, v16, v12
	v_div_fmas_f32 v4, v4, v7, v17
	s_delay_alu instid0(VALU_DEP_3) | instskip(SKIP_1) | instid1(VALU_DEP_3)
	v_fmac_f32_e32 v15, v23, v10
	s_mov_b32 vcc_lo, s2
	v_fma_f32 v20, -v9, v22, v16
	s_delay_alu instid0(VALU_DEP_3) | instskip(SKIP_2) | instid1(VALU_DEP_2)
	v_div_fixup_f32 v2, v4, v2, 1.0
	v_mul_f32_e32 v19, v13, v8
	v_fma_f32 v6, -v6, v15, v18
	v_fma_f32 v21, -v5, v19, v13
	s_delay_alu instid0(VALU_DEP_1) | instskip(NEXT) | instid1(VALU_DEP_1)
	v_fmac_f32_e32 v19, v21, v8
	v_fma_f32 v5, -v5, v19, v13
	s_delay_alu instid0(VALU_DEP_1) | instskip(SKIP_1) | instid1(VALU_DEP_1)
	v_div_fmas_f32 v5, v5, v8, v19
	s_mov_b32 vcc_lo, s4
	v_div_fixup_f32 v3, v5, v3, 1.0
	v_fmac_f32_e32 v22, v20, v12
	s_delay_alu instid0(VALU_DEP_1) | instskip(NEXT) | instid1(VALU_DEP_1)
	v_fma_f32 v7, -v9, v22, v16
	v_div_fmas_f32 v4, v7, v12, v22
	s_mov_b32 vcc_lo, s3
	v_div_fmas_f32 v6, v6, v10, v15
	v_cmp_class_f32_e64 vcc_lo, v2, 0x1f8
	s_delay_alu instid0(VALU_DEP_3) | instskip(NEXT) | instid1(VALU_DEP_3)
	v_div_fixup_f32 v4, v4, v0, 1.0
	v_div_fixup_f32 v5, v6, v1, 1.0
	v_cndmask_b32_e32 v0, 0, v2, vcc_lo
	v_cmp_class_f32_e64 vcc_lo, v3, 0x1f8
	v_cndmask_b32_e32 v1, 0, v3, vcc_lo
	v_cmp_class_f32_e64 vcc_lo, v4, 0x1f8
	;; [unrolled: 2-line block ×3, first 2 shown]
	v_cndmask_b32_e32 v3, 0, v5, vcc_lo
	s_cbranch_scc1 .LBB335_10
; %bb.4:
	s_load_b128 s[4:7], s[6:7], 0x0
	s_waitcnt lgkmcnt(0)
	v_dual_add_f32 v4, s4, v0 :: v_dual_add_f32 v5, s5, v1
	v_dual_add_f32 v6, s6, v2 :: v_dual_add_f32 v7, s7, v3
	s_cbranch_execnz .LBB335_6
.LBB335_5:
	v_dual_mov_b32 v7, v3 :: v_dual_mov_b32 v6, v2
	v_dual_mov_b32 v5, v1 :: v_dual_mov_b32 v4, v0
.LBB335_6:
	s_load_b128 s[4:7], s[0:1], 0x30
	s_waitcnt lgkmcnt(0)
	s_bitcmp1_b32 s7, 0
	s_mov_b32 s7, 0
	s_cselect_b32 vcc_lo, -1, 0
	s_cmp_gt_i32 s4, 0
	s_cselect_b32 s3, -1, 0
	s_cmp_lt_i32 s4, 1
	s_cbranch_scc1 .LBB335_11
; %bb.7:
	v_mul_lo_u32 v8, v14, s4
	s_load_b128 s[12:15], s[0:1], 0x20
	v_dual_mov_b32 v15, 0 :: v_dual_mov_b32 v16, v14
	s_delay_alu instid0(VALU_DEP_2) | instskip(NEXT) | instid1(VALU_DEP_1)
	v_ashrrev_i32_e32 v9, 31, v8
	v_lshlrev_b64 v[12:13], 2, v[8:9]
	s_delay_alu instid0(VALU_DEP_1) | instskip(NEXT) | instid1(VALU_DEP_1)
	v_add_co_u32 v8, s0, s8, v12
	v_add_co_ci_u32_e64 v9, s0, s9, v13, s0
	s_waitcnt lgkmcnt(0)
	v_add_co_u32 v10, s0, s12, v12
	s_delay_alu instid0(VALU_DEP_1) | instskip(SKIP_1) | instid1(VALU_DEP_1)
	v_add_co_ci_u32_e64 v11, s0, s13, v13, s0
	v_add_co_u32 v12, s0, s14, v12
	v_add_co_ci_u32_e64 v13, s0, s15, v13, s0
.LBB335_8:                              ; =>This Inner Loop Header: Depth=1
	v_cmp_gt_f32_e64 s0, v5, v4
	s_add_i32 s7, s7, 1
	s_delay_alu instid0(VALU_DEP_1) | instskip(SKIP_2) | instid1(VALU_DEP_3)
	v_cndmask_b32_e64 v18, v4, v5, s0
	v_cndmask_b32_e64 v17, 0, 1, s0
	;; [unrolled: 1-line block ×3, first 2 shown]
	v_cmp_gt_f32_e64 s1, v6, v18
	s_delay_alu instid0(VALU_DEP_1) | instskip(NEXT) | instid1(VALU_DEP_4)
	v_cndmask_b32_e64 v18, v18, v6, s1
	v_cndmask_b32_e64 v17, v17, 2, s1
	s_delay_alu instid0(VALU_DEP_4) | instskip(NEXT) | instid1(VALU_DEP_3)
	v_cndmask_b32_e64 v19, v19, v2, s1
	v_cmp_gt_f32_e64 s0, v7, v18
	s_delay_alu instid0(VALU_DEP_1) | instskip(NEXT) | instid1(VALU_DEP_3)
	v_cndmask_b32_e64 v17, v17, 3, s0
	v_cndmask_b32_e64 v18, v19, v3, s0
	s_delay_alu instid0(VALU_DEP_2)
	v_cmp_ne_u32_e64 s2, 0, v17
	v_cmp_le_i32_e64 s0, s5, v17
	v_cmp_gt_i32_e64 s1, s6, v17
	v_subrev_nc_u32_e32 v19, s5, v17
	v_add_f32_e32 v23, v15, v18
	v_cndmask_b32_e64 v20, 0xc61c4000, v4, s2
	v_cmp_ne_u32_e64 s2, 1, v17
	s_and_b32 s0, s0, s1
	global_store_b32 v[8:9], v18, off
	s_and_b32 s0, s11, s0
	s_cmp_lt_i32 s7, s4
	v_cndmask_b32_e64 v21, 0xc61c4000, v5, s2
	v_cmp_ne_u32_e64 s2, 2, v17
	v_cndmask_b32_e64 v18, 4, v19, s0
	s_cselect_b32 s0, -1, 0
	global_store_b32 v[10:11], v18, off
	global_store_b32 v[12:13], v16, off
	v_add_nc_u32_e32 v16, s10, v16
	v_cndmask_b32_e64 v22, 0xc61c4000, v6, s2
	v_cmp_ne_u32_e64 s2, 3, v17
	v_cndmask_b32_e64 v5, v5, v21, s0
	v_cndmask_b32_e64 v4, v4, v20, s0
	v_cndmask_b32_e32 v15, v15, v23, vcc_lo
	v_cndmask_b32_e64 v6, v6, v22, s0
	v_cndmask_b32_e64 v17, 0xc61c4000, v7, s2
	s_cmp_eq_u32 s4, s7
	s_delay_alu instid0(VALU_DEP_1) | instskip(SKIP_1) | instid1(VALU_DEP_1)
	v_cndmask_b32_e64 v7, v7, v17, s0
	v_add_co_u32 v8, s0, v8, 4
	v_add_co_ci_u32_e64 v9, s0, 0, v9, s0
	v_add_co_u32 v10, s0, v10, 4
	s_delay_alu instid0(VALU_DEP_1) | instskip(SKIP_1) | instid1(VALU_DEP_1)
	v_add_co_ci_u32_e64 v11, s0, 0, v11, s0
	v_add_co_u32 v12, s0, v12, 4
	v_add_co_ci_u32_e64 v13, s0, 0, v13, s0
	s_cbranch_scc0 .LBB335_8
; %bb.9:
	s_and_b32 vcc_lo, exec_lo, vcc_lo
	s_cbranch_vccnz .LBB335_12
	s_branch .LBB335_15
.LBB335_10:
                                        ; implicit-def: $vgpr4_vgpr5_vgpr6_vgpr7
	s_and_not1_b32 vcc_lo, exec_lo, s12
	s_cbranch_vccz .LBB335_5
	s_branch .LBB335_6
.LBB335_11:
	v_mov_b32_e32 v15, 0
	s_and_b32 vcc_lo, exec_lo, vcc_lo
	s_cbranch_vccz .LBB335_15
.LBB335_12:
	s_and_not1_b32 vcc_lo, exec_lo, s3
	s_cbranch_vccnz .LBB335_15
; %bb.13:
	v_mul_lo_u32 v0, v14, s4
	v_cmp_lt_f32_e32 vcc_lo, 0, v15
	v_cndmask_b32_e32 v2, 1.0, v15, vcc_lo
	s_delay_alu instid0(VALU_DEP_3) | instskip(NEXT) | instid1(VALU_DEP_1)
	v_ashrrev_i32_e32 v1, 31, v0
	v_lshlrev_b64 v[0:1], 2, v[0:1]
	s_delay_alu instid0(VALU_DEP_1) | instskip(NEXT) | instid1(VALU_DEP_2)
	v_add_co_u32 v0, vcc_lo, s8, v0
	v_add_co_ci_u32_e32 v1, vcc_lo, s9, v1, vcc_lo
	.p2align	6
.LBB335_14:                             ; =>This Inner Loop Header: Depth=1
	global_load_b32 v3, v[0:1], off
	s_add_i32 s4, s4, -1
	s_delay_alu instid0(SALU_CYCLE_1) | instskip(SKIP_3) | instid1(VALU_DEP_2)
	s_cmp_lg_u32 s4, 0
	s_waitcnt vmcnt(0)
	v_div_scale_f32 v4, null, v2, v2, v3
	v_div_scale_f32 v7, vcc_lo, v3, v2, v3
	v_rcp_f32_e32 v5, v4
	s_waitcnt_depctr 0xfff
	v_fma_f32 v6, -v4, v5, 1.0
	s_delay_alu instid0(VALU_DEP_1) | instskip(NEXT) | instid1(VALU_DEP_1)
	v_fmac_f32_e32 v5, v6, v5
	v_mul_f32_e32 v6, v7, v5
	s_delay_alu instid0(VALU_DEP_1) | instskip(NEXT) | instid1(VALU_DEP_1)
	v_fma_f32 v8, -v4, v6, v7
	v_fmac_f32_e32 v6, v8, v5
	s_delay_alu instid0(VALU_DEP_1) | instskip(NEXT) | instid1(VALU_DEP_1)
	v_fma_f32 v4, -v4, v6, v7
	v_div_fmas_f32 v4, v4, v5, v6
	s_delay_alu instid0(VALU_DEP_1)
	v_div_fixup_f32 v3, v4, v2, v3
	global_store_b32 v[0:1], v3, off
	v_add_co_u32 v0, vcc_lo, v0, 4
	v_add_co_ci_u32_e32 v1, vcc_lo, 0, v1, vcc_lo
	s_cbranch_scc1 .LBB335_14
.LBB335_15:
	s_nop 0
	s_sendmsg sendmsg(MSG_DEALLOC_VGPRS)
	s_endpgm
	.section	.rodata,"a",@progbits
	.p2align	6, 0x0
	.amdhsa_kernel _ZN4vllm3moe10topkGatingILi4ELi4ELi4ELi8ELi64Ej14__hip_bfloat16LNS0_11ScoringFuncE1EEEvPKT5_PKbPfiPT4_PiiiibPKf
		.amdhsa_group_segment_fixed_size 0
		.amdhsa_private_segment_fixed_size 0
		.amdhsa_kernarg_size 72
		.amdhsa_user_sgpr_count 15
		.amdhsa_user_sgpr_dispatch_ptr 0
		.amdhsa_user_sgpr_queue_ptr 0
		.amdhsa_user_sgpr_kernarg_segment_ptr 1
		.amdhsa_user_sgpr_dispatch_id 0
		.amdhsa_user_sgpr_private_segment_size 0
		.amdhsa_wavefront_size32 1
		.amdhsa_uses_dynamic_stack 0
		.amdhsa_enable_private_segment 0
		.amdhsa_system_sgpr_workgroup_id_x 1
		.amdhsa_system_sgpr_workgroup_id_y 0
		.amdhsa_system_sgpr_workgroup_id_z 0
		.amdhsa_system_sgpr_workgroup_info 0
		.amdhsa_system_vgpr_workitem_id 1
		.amdhsa_next_free_vgpr 24
		.amdhsa_next_free_sgpr 16
		.amdhsa_reserve_vcc 1
		.amdhsa_float_round_mode_32 0
		.amdhsa_float_round_mode_16_64 0
		.amdhsa_float_denorm_mode_32 3
		.amdhsa_float_denorm_mode_16_64 3
		.amdhsa_dx10_clamp 1
		.amdhsa_ieee_mode 1
		.amdhsa_fp16_overflow 0
		.amdhsa_workgroup_processor_mode 1
		.amdhsa_memory_ordered 1
		.amdhsa_forward_progress 0
		.amdhsa_shared_vgpr_count 0
		.amdhsa_exception_fp_ieee_invalid_op 0
		.amdhsa_exception_fp_denorm_src 0
		.amdhsa_exception_fp_ieee_div_zero 0
		.amdhsa_exception_fp_ieee_overflow 0
		.amdhsa_exception_fp_ieee_underflow 0
		.amdhsa_exception_fp_ieee_inexact 0
		.amdhsa_exception_int_div_zero 0
	.end_amdhsa_kernel
	.section	.text._ZN4vllm3moe10topkGatingILi4ELi4ELi4ELi8ELi64Ej14__hip_bfloat16LNS0_11ScoringFuncE1EEEvPKT5_PKbPfiPT4_PiiiibPKf,"axG",@progbits,_ZN4vllm3moe10topkGatingILi4ELi4ELi4ELi8ELi64Ej14__hip_bfloat16LNS0_11ScoringFuncE1EEEvPKT5_PKbPfiPT4_PiiiibPKf,comdat
.Lfunc_end335:
	.size	_ZN4vllm3moe10topkGatingILi4ELi4ELi4ELi8ELi64Ej14__hip_bfloat16LNS0_11ScoringFuncE1EEEvPKT5_PKbPfiPT4_PiiiibPKf, .Lfunc_end335-_ZN4vllm3moe10topkGatingILi4ELi4ELi4ELi8ELi64Ej14__hip_bfloat16LNS0_11ScoringFuncE1EEEvPKT5_PKbPfiPT4_PiiiibPKf
                                        ; -- End function
	.section	.AMDGPU.csdata,"",@progbits
; Kernel info:
; codeLenInByte = 1572
; NumSgprs: 18
; NumVgprs: 24
; ScratchSize: 0
; MemoryBound: 0
; FloatMode: 240
; IeeeMode: 1
; LDSByteSize: 0 bytes/workgroup (compile time only)
; SGPRBlocks: 2
; VGPRBlocks: 2
; NumSGPRsForWavesPerEU: 18
; NumVGPRsForWavesPerEU: 24
; Occupancy: 16
; WaveLimiterHint : 0
; COMPUTE_PGM_RSRC2:SCRATCH_EN: 0
; COMPUTE_PGM_RSRC2:USER_SGPR: 15
; COMPUTE_PGM_RSRC2:TRAP_HANDLER: 0
; COMPUTE_PGM_RSRC2:TGID_X_EN: 1
; COMPUTE_PGM_RSRC2:TGID_Y_EN: 0
; COMPUTE_PGM_RSRC2:TGID_Z_EN: 0
; COMPUTE_PGM_RSRC2:TIDIG_COMP_CNT: 1
	.section	.text._ZN4vllm3moe10topkGatingILi4ELi4ELi4ELi8ELi32Ej14__hip_bfloat16LNS0_11ScoringFuncE1EEEvPKT5_PKbPfiPT4_PiiiibPKf,"axG",@progbits,_ZN4vllm3moe10topkGatingILi4ELi4ELi4ELi8ELi32Ej14__hip_bfloat16LNS0_11ScoringFuncE1EEEvPKT5_PKbPfiPT4_PiiiibPKf,comdat
	.protected	_ZN4vllm3moe10topkGatingILi4ELi4ELi4ELi8ELi32Ej14__hip_bfloat16LNS0_11ScoringFuncE1EEEvPKT5_PKbPfiPT4_PiiiibPKf ; -- Begin function _ZN4vllm3moe10topkGatingILi4ELi4ELi4ELi8ELi32Ej14__hip_bfloat16LNS0_11ScoringFuncE1EEEvPKT5_PKbPfiPT4_PiiiibPKf
	.globl	_ZN4vllm3moe10topkGatingILi4ELi4ELi4ELi8ELi32Ej14__hip_bfloat16LNS0_11ScoringFuncE1EEEvPKT5_PKbPfiPT4_PiiiibPKf
	.p2align	8
	.type	_ZN4vllm3moe10topkGatingILi4ELi4ELi4ELi8ELi32Ej14__hip_bfloat16LNS0_11ScoringFuncE1EEEvPKT5_PKbPfiPT4_PiiiibPKf,@function
_ZN4vllm3moe10topkGatingILi4ELi4ELi4ELi8ELi32Ej14__hip_bfloat16LNS0_11ScoringFuncE1EEEvPKT5_PKbPfiPT4_PiiiibPKf: ; @_ZN4vllm3moe10topkGatingILi4ELi4ELi4ELi8ELi32Ej14__hip_bfloat16LNS0_11ScoringFuncE1EEEvPKT5_PKbPfiPT4_PiiiibPKf
; %bb.0:
	s_load_b32 s10, s[0:1], 0x18
	v_bfe_u32 v1, v0, 10, 10
	v_and_b32_e32 v0, 0x3ff, v0
	s_lshl_b32 s2, s15, 7
	s_delay_alu instid0(VALU_DEP_2) | instskip(NEXT) | instid1(VALU_DEP_1)
	v_lshlrev_b32_e32 v1, 5, v1
	v_add3_u32 v14, v1, v0, s2
	s_mov_b32 s2, exec_lo
	s_waitcnt lgkmcnt(0)
	s_delay_alu instid0(VALU_DEP_1)
	v_cmpx_gt_i32_e64 s10, v14
	s_cbranch_execz .LBB336_15
; %bb.1:
	s_clause 0x1
	s_load_b128 s[4:7], s[0:1], 0x0
	s_load_b64 s[8:9], s[0:1], 0x10
	s_mov_b32 s12, -1
	s_mov_b32 s11, -1
	s_waitcnt lgkmcnt(0)
	s_cmp_eq_u64 s[6:7], 0
	s_cbranch_scc1 .LBB336_3
; %bb.2:
	v_ashrrev_i32_e32 v1, 31, v14
	v_add_co_u32 v0, vcc_lo, s6, v14
	s_delay_alu instid0(VALU_DEP_2) | instskip(SKIP_3) | instid1(VALU_DEP_1)
	v_add_co_ci_u32_e32 v1, vcc_lo, s7, v1, vcc_lo
	global_load_u8 v0, v[0:1], off
	s_waitcnt vmcnt(0)
	v_and_b32_e32 v0, 1, v0
	v_cmp_eq_u32_e32 vcc_lo, 1, v0
	s_xor_b32 s2, vcc_lo, -1
	s_delay_alu instid0(SALU_CYCLE_1)
	s_or_not1_b32 s11, s2, exec_lo
.LBB336_3:
	v_lshlrev_b32_e32 v0, 2, v14
	s_load_b64 s[6:7], s[0:1], 0x40
	s_delay_alu instid0(VALU_DEP_1) | instskip(NEXT) | instid1(VALU_DEP_1)
	v_ashrrev_i32_e32 v1, 31, v0
	v_lshlrev_b64 v[0:1], 1, v[0:1]
	s_delay_alu instid0(VALU_DEP_1) | instskip(NEXT) | instid1(VALU_DEP_2)
	v_add_co_u32 v0, vcc_lo, s4, v0
	v_add_co_ci_u32_e32 v1, vcc_lo, s5, v1, vcc_lo
	s_waitcnt lgkmcnt(0)
	s_cmp_eq_u64 s[6:7], 0
	global_load_b64 v[0:1], v[0:1], off
	s_waitcnt vmcnt(0)
	v_lshlrev_b32_e32 v2, 16, v0
	v_and_b32_e32 v3, 0xffff0000, v0
	v_alignbit_b32 v0, v1, v0, 16
	s_delay_alu instid0(VALU_DEP_1) | instskip(NEXT) | instid1(VALU_DEP_1)
	v_and_b32_e32 v0, 0xffff0000, v0
	v_mul_f32_e32 v0, 0xbfb8aa3b, v0
	s_delay_alu instid0(VALU_DEP_1) | instskip(SKIP_2) | instid1(VALU_DEP_1)
	v_exp_f32_e32 v0, v0
	s_waitcnt_depctr 0xfff
	v_dual_add_f32 v0, 1.0, v0 :: v_dual_and_b32 v1, 0xffff0000, v1
	v_dual_mul_f32 v1, 0xbfb8aa3b, v1 :: v_dual_mul_f32 v2, 0xbfb8aa3b, v2
	s_delay_alu instid0(VALU_DEP_2) | instskip(NEXT) | instid1(VALU_DEP_2)
	v_div_scale_f32 v9, null, v0, v0, 1.0
	v_exp_f32_e32 v2, v2
	s_delay_alu instid0(VALU_DEP_2) | instskip(NEXT) | instid1(VALU_DEP_1)
	v_exp_f32_e32 v1, v1
	v_rcp_f32_e32 v12, v9
	s_delay_alu instid0(TRANS32_DEP_3) | instskip(SKIP_4) | instid1(VALU_DEP_2)
	v_dual_add_f32 v2, 1.0, v2 :: v_dual_mul_f32 v3, 0xbfb8aa3b, v3
	s_waitcnt_depctr 0xfff
	v_add_f32_e32 v1, 1.0, v1
	v_div_scale_f32 v4, null, v2, v2, 1.0
	v_exp_f32_e32 v3, v3
	v_div_scale_f32 v6, null, v1, v1, 1.0
	s_delay_alu instid0(VALU_DEP_2) | instskip(SKIP_1) | instid1(VALU_DEP_2)
	v_rcp_f32_e32 v7, v4
	v_div_scale_f32 v11, vcc_lo, 1.0, v2, 1.0
	v_rcp_f32_e32 v10, v6
	v_div_scale_f32 v18, s3, 1.0, v1, 1.0
	s_delay_alu instid0(TRANS32_DEP_3) | instskip(SKIP_4) | instid1(VALU_DEP_3)
	v_add_f32_e32 v3, 1.0, v3
	s_waitcnt_depctr 0xfff
	v_fma_f32 v15, -v4, v7, 1.0
	v_div_scale_f32 v5, null, v3, v3, 1.0
	v_fma_f32 v17, -v6, v10, 1.0
	v_fmac_f32_e32 v7, v15, v7
	v_div_scale_f32 v13, s2, 1.0, v3, 1.0
	s_delay_alu instid0(VALU_DEP_4) | instskip(NEXT) | instid1(VALU_DEP_3)
	v_rcp_f32_e32 v8, v5
	v_fmac_f32_e32 v10, v17, v10
	v_fma_f32 v15, -v9, v12, 1.0
	v_mul_f32_e32 v17, v11, v7
	s_delay_alu instid0(VALU_DEP_1) | instskip(SKIP_3) | instid1(VALU_DEP_2)
	v_fma_f32 v20, -v4, v17, v11
	s_waitcnt_depctr 0xfff
	v_fma_f32 v16, -v5, v8, 1.0
	v_dual_fmac_f32 v17, v20, v7 :: v_dual_fmac_f32 v12, v15, v12
	v_dual_mul_f32 v15, v18, v10 :: v_dual_fmac_f32 v8, v16, v8
	v_div_scale_f32 v16, s4, 1.0, v0, 1.0
	s_delay_alu instid0(VALU_DEP_3) | instskip(NEXT) | instid1(VALU_DEP_3)
	v_fma_f32 v4, -v4, v17, v11
	v_fma_f32 v23, -v6, v15, v18
	s_delay_alu instid0(VALU_DEP_3) | instskip(NEXT) | instid1(VALU_DEP_3)
	v_mul_f32_e32 v22, v16, v12
	v_div_fmas_f32 v4, v4, v7, v17
	s_delay_alu instid0(VALU_DEP_3) | instskip(SKIP_1) | instid1(VALU_DEP_3)
	v_fmac_f32_e32 v15, v23, v10
	s_mov_b32 vcc_lo, s2
	v_fma_f32 v20, -v9, v22, v16
	s_delay_alu instid0(VALU_DEP_3) | instskip(SKIP_2) | instid1(VALU_DEP_2)
	v_div_fixup_f32 v2, v4, v2, 1.0
	v_mul_f32_e32 v19, v13, v8
	v_fma_f32 v6, -v6, v15, v18
	v_fma_f32 v21, -v5, v19, v13
	s_delay_alu instid0(VALU_DEP_1) | instskip(NEXT) | instid1(VALU_DEP_1)
	v_fmac_f32_e32 v19, v21, v8
	v_fma_f32 v5, -v5, v19, v13
	s_delay_alu instid0(VALU_DEP_1) | instskip(SKIP_1) | instid1(VALU_DEP_1)
	v_div_fmas_f32 v5, v5, v8, v19
	s_mov_b32 vcc_lo, s4
	v_div_fixup_f32 v3, v5, v3, 1.0
	v_fmac_f32_e32 v22, v20, v12
	s_delay_alu instid0(VALU_DEP_1) | instskip(NEXT) | instid1(VALU_DEP_1)
	v_fma_f32 v7, -v9, v22, v16
	v_div_fmas_f32 v4, v7, v12, v22
	s_mov_b32 vcc_lo, s3
	v_div_fmas_f32 v6, v6, v10, v15
	v_cmp_class_f32_e64 vcc_lo, v2, 0x1f8
	s_delay_alu instid0(VALU_DEP_3) | instskip(NEXT) | instid1(VALU_DEP_3)
	v_div_fixup_f32 v4, v4, v0, 1.0
	v_div_fixup_f32 v5, v6, v1, 1.0
	v_cndmask_b32_e32 v0, 0, v2, vcc_lo
	v_cmp_class_f32_e64 vcc_lo, v3, 0x1f8
	v_cndmask_b32_e32 v1, 0, v3, vcc_lo
	v_cmp_class_f32_e64 vcc_lo, v4, 0x1f8
	;; [unrolled: 2-line block ×3, first 2 shown]
	v_cndmask_b32_e32 v3, 0, v5, vcc_lo
	s_cbranch_scc1 .LBB336_10
; %bb.4:
	s_load_b128 s[4:7], s[6:7], 0x0
	s_waitcnt lgkmcnt(0)
	v_dual_add_f32 v4, s4, v0 :: v_dual_add_f32 v5, s5, v1
	v_dual_add_f32 v6, s6, v2 :: v_dual_add_f32 v7, s7, v3
	s_cbranch_execnz .LBB336_6
.LBB336_5:
	v_dual_mov_b32 v7, v3 :: v_dual_mov_b32 v6, v2
	v_dual_mov_b32 v5, v1 :: v_dual_mov_b32 v4, v0
.LBB336_6:
	s_load_b128 s[4:7], s[0:1], 0x30
	s_waitcnt lgkmcnt(0)
	s_bitcmp1_b32 s7, 0
	s_mov_b32 s7, 0
	s_cselect_b32 vcc_lo, -1, 0
	s_cmp_gt_i32 s4, 0
	s_cselect_b32 s3, -1, 0
	s_cmp_lt_i32 s4, 1
	s_cbranch_scc1 .LBB336_11
; %bb.7:
	v_mul_lo_u32 v8, v14, s4
	s_load_b128 s[12:15], s[0:1], 0x20
	v_dual_mov_b32 v15, 0 :: v_dual_mov_b32 v16, v14
	s_delay_alu instid0(VALU_DEP_2) | instskip(NEXT) | instid1(VALU_DEP_1)
	v_ashrrev_i32_e32 v9, 31, v8
	v_lshlrev_b64 v[12:13], 2, v[8:9]
	s_delay_alu instid0(VALU_DEP_1) | instskip(NEXT) | instid1(VALU_DEP_1)
	v_add_co_u32 v8, s0, s8, v12
	v_add_co_ci_u32_e64 v9, s0, s9, v13, s0
	s_waitcnt lgkmcnt(0)
	v_add_co_u32 v10, s0, s12, v12
	s_delay_alu instid0(VALU_DEP_1) | instskip(SKIP_1) | instid1(VALU_DEP_1)
	v_add_co_ci_u32_e64 v11, s0, s13, v13, s0
	v_add_co_u32 v12, s0, s14, v12
	v_add_co_ci_u32_e64 v13, s0, s15, v13, s0
.LBB336_8:                              ; =>This Inner Loop Header: Depth=1
	v_cmp_gt_f32_e64 s0, v5, v4
	s_add_i32 s7, s7, 1
	s_delay_alu instid0(VALU_DEP_1) | instskip(SKIP_2) | instid1(VALU_DEP_3)
	v_cndmask_b32_e64 v18, v4, v5, s0
	v_cndmask_b32_e64 v17, 0, 1, s0
	;; [unrolled: 1-line block ×3, first 2 shown]
	v_cmp_gt_f32_e64 s1, v6, v18
	s_delay_alu instid0(VALU_DEP_1) | instskip(NEXT) | instid1(VALU_DEP_4)
	v_cndmask_b32_e64 v18, v18, v6, s1
	v_cndmask_b32_e64 v17, v17, 2, s1
	s_delay_alu instid0(VALU_DEP_4) | instskip(NEXT) | instid1(VALU_DEP_3)
	v_cndmask_b32_e64 v19, v19, v2, s1
	v_cmp_gt_f32_e64 s0, v7, v18
	s_delay_alu instid0(VALU_DEP_1) | instskip(NEXT) | instid1(VALU_DEP_3)
	v_cndmask_b32_e64 v17, v17, 3, s0
	v_cndmask_b32_e64 v18, v19, v3, s0
	s_delay_alu instid0(VALU_DEP_2)
	v_cmp_ne_u32_e64 s2, 0, v17
	v_cmp_le_i32_e64 s0, s5, v17
	v_cmp_gt_i32_e64 s1, s6, v17
	v_subrev_nc_u32_e32 v19, s5, v17
	v_add_f32_e32 v23, v15, v18
	v_cndmask_b32_e64 v20, 0xc61c4000, v4, s2
	v_cmp_ne_u32_e64 s2, 1, v17
	s_and_b32 s0, s0, s1
	global_store_b32 v[8:9], v18, off
	s_and_b32 s0, s11, s0
	s_cmp_lt_i32 s7, s4
	v_cndmask_b32_e64 v21, 0xc61c4000, v5, s2
	v_cmp_ne_u32_e64 s2, 2, v17
	v_cndmask_b32_e64 v18, 4, v19, s0
	s_cselect_b32 s0, -1, 0
	global_store_b32 v[10:11], v18, off
	global_store_b32 v[12:13], v16, off
	v_add_nc_u32_e32 v16, s10, v16
	v_cndmask_b32_e64 v22, 0xc61c4000, v6, s2
	v_cmp_ne_u32_e64 s2, 3, v17
	v_cndmask_b32_e64 v5, v5, v21, s0
	v_cndmask_b32_e64 v4, v4, v20, s0
	v_cndmask_b32_e32 v15, v15, v23, vcc_lo
	v_cndmask_b32_e64 v6, v6, v22, s0
	v_cndmask_b32_e64 v17, 0xc61c4000, v7, s2
	s_cmp_eq_u32 s4, s7
	s_delay_alu instid0(VALU_DEP_1) | instskip(SKIP_1) | instid1(VALU_DEP_1)
	v_cndmask_b32_e64 v7, v7, v17, s0
	v_add_co_u32 v8, s0, v8, 4
	v_add_co_ci_u32_e64 v9, s0, 0, v9, s0
	v_add_co_u32 v10, s0, v10, 4
	s_delay_alu instid0(VALU_DEP_1) | instskip(SKIP_1) | instid1(VALU_DEP_1)
	v_add_co_ci_u32_e64 v11, s0, 0, v11, s0
	v_add_co_u32 v12, s0, v12, 4
	v_add_co_ci_u32_e64 v13, s0, 0, v13, s0
	s_cbranch_scc0 .LBB336_8
; %bb.9:
	s_and_b32 vcc_lo, exec_lo, vcc_lo
	s_cbranch_vccnz .LBB336_12
	s_branch .LBB336_15
.LBB336_10:
                                        ; implicit-def: $vgpr4_vgpr5_vgpr6_vgpr7
	s_and_not1_b32 vcc_lo, exec_lo, s12
	s_cbranch_vccz .LBB336_5
	s_branch .LBB336_6
.LBB336_11:
	v_mov_b32_e32 v15, 0
	s_and_b32 vcc_lo, exec_lo, vcc_lo
	s_cbranch_vccz .LBB336_15
.LBB336_12:
	s_and_not1_b32 vcc_lo, exec_lo, s3
	s_cbranch_vccnz .LBB336_15
; %bb.13:
	v_mul_lo_u32 v0, v14, s4
	v_cmp_lt_f32_e32 vcc_lo, 0, v15
	v_cndmask_b32_e32 v2, 1.0, v15, vcc_lo
	s_delay_alu instid0(VALU_DEP_3) | instskip(NEXT) | instid1(VALU_DEP_1)
	v_ashrrev_i32_e32 v1, 31, v0
	v_lshlrev_b64 v[0:1], 2, v[0:1]
	s_delay_alu instid0(VALU_DEP_1) | instskip(NEXT) | instid1(VALU_DEP_2)
	v_add_co_u32 v0, vcc_lo, s8, v0
	v_add_co_ci_u32_e32 v1, vcc_lo, s9, v1, vcc_lo
	.p2align	6
.LBB336_14:                             ; =>This Inner Loop Header: Depth=1
	global_load_b32 v3, v[0:1], off
	s_add_i32 s4, s4, -1
	s_delay_alu instid0(SALU_CYCLE_1) | instskip(SKIP_3) | instid1(VALU_DEP_2)
	s_cmp_lg_u32 s4, 0
	s_waitcnt vmcnt(0)
	v_div_scale_f32 v4, null, v2, v2, v3
	v_div_scale_f32 v7, vcc_lo, v3, v2, v3
	v_rcp_f32_e32 v5, v4
	s_waitcnt_depctr 0xfff
	v_fma_f32 v6, -v4, v5, 1.0
	s_delay_alu instid0(VALU_DEP_1) | instskip(NEXT) | instid1(VALU_DEP_1)
	v_fmac_f32_e32 v5, v6, v5
	v_mul_f32_e32 v6, v7, v5
	s_delay_alu instid0(VALU_DEP_1) | instskip(NEXT) | instid1(VALU_DEP_1)
	v_fma_f32 v8, -v4, v6, v7
	v_fmac_f32_e32 v6, v8, v5
	s_delay_alu instid0(VALU_DEP_1) | instskip(NEXT) | instid1(VALU_DEP_1)
	v_fma_f32 v4, -v4, v6, v7
	v_div_fmas_f32 v4, v4, v5, v6
	s_delay_alu instid0(VALU_DEP_1)
	v_div_fixup_f32 v3, v4, v2, v3
	global_store_b32 v[0:1], v3, off
	v_add_co_u32 v0, vcc_lo, v0, 4
	v_add_co_ci_u32_e32 v1, vcc_lo, 0, v1, vcc_lo
	s_cbranch_scc1 .LBB336_14
.LBB336_15:
	s_nop 0
	s_sendmsg sendmsg(MSG_DEALLOC_VGPRS)
	s_endpgm
	.section	.rodata,"a",@progbits
	.p2align	6, 0x0
	.amdhsa_kernel _ZN4vllm3moe10topkGatingILi4ELi4ELi4ELi8ELi32Ej14__hip_bfloat16LNS0_11ScoringFuncE1EEEvPKT5_PKbPfiPT4_PiiiibPKf
		.amdhsa_group_segment_fixed_size 0
		.amdhsa_private_segment_fixed_size 0
		.amdhsa_kernarg_size 72
		.amdhsa_user_sgpr_count 15
		.amdhsa_user_sgpr_dispatch_ptr 0
		.amdhsa_user_sgpr_queue_ptr 0
		.amdhsa_user_sgpr_kernarg_segment_ptr 1
		.amdhsa_user_sgpr_dispatch_id 0
		.amdhsa_user_sgpr_private_segment_size 0
		.amdhsa_wavefront_size32 1
		.amdhsa_uses_dynamic_stack 0
		.amdhsa_enable_private_segment 0
		.amdhsa_system_sgpr_workgroup_id_x 1
		.amdhsa_system_sgpr_workgroup_id_y 0
		.amdhsa_system_sgpr_workgroup_id_z 0
		.amdhsa_system_sgpr_workgroup_info 0
		.amdhsa_system_vgpr_workitem_id 1
		.amdhsa_next_free_vgpr 24
		.amdhsa_next_free_sgpr 16
		.amdhsa_reserve_vcc 1
		.amdhsa_float_round_mode_32 0
		.amdhsa_float_round_mode_16_64 0
		.amdhsa_float_denorm_mode_32 3
		.amdhsa_float_denorm_mode_16_64 3
		.amdhsa_dx10_clamp 1
		.amdhsa_ieee_mode 1
		.amdhsa_fp16_overflow 0
		.amdhsa_workgroup_processor_mode 1
		.amdhsa_memory_ordered 1
		.amdhsa_forward_progress 0
		.amdhsa_shared_vgpr_count 0
		.amdhsa_exception_fp_ieee_invalid_op 0
		.amdhsa_exception_fp_denorm_src 0
		.amdhsa_exception_fp_ieee_div_zero 0
		.amdhsa_exception_fp_ieee_overflow 0
		.amdhsa_exception_fp_ieee_underflow 0
		.amdhsa_exception_fp_ieee_inexact 0
		.amdhsa_exception_int_div_zero 0
	.end_amdhsa_kernel
	.section	.text._ZN4vllm3moe10topkGatingILi4ELi4ELi4ELi8ELi32Ej14__hip_bfloat16LNS0_11ScoringFuncE1EEEvPKT5_PKbPfiPT4_PiiiibPKf,"axG",@progbits,_ZN4vllm3moe10topkGatingILi4ELi4ELi4ELi8ELi32Ej14__hip_bfloat16LNS0_11ScoringFuncE1EEEvPKT5_PKbPfiPT4_PiiiibPKf,comdat
.Lfunc_end336:
	.size	_ZN4vllm3moe10topkGatingILi4ELi4ELi4ELi8ELi32Ej14__hip_bfloat16LNS0_11ScoringFuncE1EEEvPKT5_PKbPfiPT4_PiiiibPKf, .Lfunc_end336-_ZN4vllm3moe10topkGatingILi4ELi4ELi4ELi8ELi32Ej14__hip_bfloat16LNS0_11ScoringFuncE1EEEvPKT5_PKbPfiPT4_PiiiibPKf
                                        ; -- End function
	.section	.AMDGPU.csdata,"",@progbits
; Kernel info:
; codeLenInByte = 1572
; NumSgprs: 18
; NumVgprs: 24
; ScratchSize: 0
; MemoryBound: 0
; FloatMode: 240
; IeeeMode: 1
; LDSByteSize: 0 bytes/workgroup (compile time only)
; SGPRBlocks: 2
; VGPRBlocks: 2
; NumSGPRsForWavesPerEU: 18
; NumVGPRsForWavesPerEU: 24
; Occupancy: 16
; WaveLimiterHint : 0
; COMPUTE_PGM_RSRC2:SCRATCH_EN: 0
; COMPUTE_PGM_RSRC2:USER_SGPR: 15
; COMPUTE_PGM_RSRC2:TRAP_HANDLER: 0
; COMPUTE_PGM_RSRC2:TGID_X_EN: 1
; COMPUTE_PGM_RSRC2:TGID_Y_EN: 0
; COMPUTE_PGM_RSRC2:TGID_Z_EN: 0
; COMPUTE_PGM_RSRC2:TIDIG_COMP_CNT: 1
	.section	.text._ZN4vllm3moe10topkGatingILi8ELi8ELi4ELi16ELi64Ej14__hip_bfloat16LNS0_11ScoringFuncE1EEEvPKT5_PKbPfiPT4_PiiiibPKf,"axG",@progbits,_ZN4vllm3moe10topkGatingILi8ELi8ELi4ELi16ELi64Ej14__hip_bfloat16LNS0_11ScoringFuncE1EEEvPKT5_PKbPfiPT4_PiiiibPKf,comdat
	.protected	_ZN4vllm3moe10topkGatingILi8ELi8ELi4ELi16ELi64Ej14__hip_bfloat16LNS0_11ScoringFuncE1EEEvPKT5_PKbPfiPT4_PiiiibPKf ; -- Begin function _ZN4vllm3moe10topkGatingILi8ELi8ELi4ELi16ELi64Ej14__hip_bfloat16LNS0_11ScoringFuncE1EEEvPKT5_PKbPfiPT4_PiiiibPKf
	.globl	_ZN4vllm3moe10topkGatingILi8ELi8ELi4ELi16ELi64Ej14__hip_bfloat16LNS0_11ScoringFuncE1EEEvPKT5_PKbPfiPT4_PiiiibPKf
	.p2align	8
	.type	_ZN4vllm3moe10topkGatingILi8ELi8ELi4ELi16ELi64Ej14__hip_bfloat16LNS0_11ScoringFuncE1EEEvPKT5_PKbPfiPT4_PiiiibPKf,@function
_ZN4vllm3moe10topkGatingILi8ELi8ELi4ELi16ELi64Ej14__hip_bfloat16LNS0_11ScoringFuncE1EEEvPKT5_PKbPfiPT4_PiiiibPKf: ; @_ZN4vllm3moe10topkGatingILi8ELi8ELi4ELi16ELi64Ej14__hip_bfloat16LNS0_11ScoringFuncE1EEEvPKT5_PKbPfiPT4_PiiiibPKf
; %bb.0:
	s_load_b32 s14, s[0:1], 0x18
	v_bfe_u32 v1, v0, 10, 10
	v_and_b32_e32 v0, 0x3ff, v0
	s_lshl_b32 s2, s15, 8
	s_delay_alu instid0(VALU_DEP_2) | instskip(NEXT) | instid1(VALU_DEP_1)
	v_lshlrev_b32_e32 v1, 6, v1
	v_add3_u32 v16, v1, v0, s2
	s_mov_b32 s2, exec_lo
	s_waitcnt lgkmcnt(0)
	s_delay_alu instid0(VALU_DEP_1)
	v_cmpx_gt_i32_e64 s14, v16
	s_cbranch_execz .LBB337_15
; %bb.1:
	s_clause 0x1
	s_load_b128 s[4:7], s[0:1], 0x0
	s_load_b64 s[12:13], s[0:1], 0x10
	s_mov_b32 s9, -1
	s_mov_b32 s15, -1
	s_waitcnt lgkmcnt(0)
	s_cmp_eq_u64 s[6:7], 0
	s_cbranch_scc1 .LBB337_3
; %bb.2:
	v_ashrrev_i32_e32 v1, 31, v16
	v_add_co_u32 v0, vcc_lo, s6, v16
	s_delay_alu instid0(VALU_DEP_2) | instskip(SKIP_3) | instid1(VALU_DEP_1)
	v_add_co_ci_u32_e32 v1, vcc_lo, s7, v1, vcc_lo
	global_load_u8 v0, v[0:1], off
	s_waitcnt vmcnt(0)
	v_and_b32_e32 v0, 1, v0
	v_cmp_eq_u32_e32 vcc_lo, 1, v0
	s_xor_b32 s2, vcc_lo, -1
	s_delay_alu instid0(SALU_CYCLE_1)
	s_or_not1_b32 s15, s2, exec_lo
.LBB337_3:
	v_lshlrev_b32_e32 v0, 3, v16
	s_load_b64 s[10:11], s[0:1], 0x40
	s_delay_alu instid0(VALU_DEP_1) | instskip(NEXT) | instid1(VALU_DEP_1)
	v_ashrrev_i32_e32 v1, 31, v0
	v_lshlrev_b64 v[0:1], 1, v[0:1]
	s_delay_alu instid0(VALU_DEP_1) | instskip(NEXT) | instid1(VALU_DEP_2)
	v_add_co_u32 v0, vcc_lo, s4, v0
	v_add_co_ci_u32_e32 v1, vcc_lo, s5, v1, vcc_lo
	s_waitcnt lgkmcnt(0)
	s_cmp_eq_u64 s[10:11], 0
	global_load_b128 v[0:3], v[0:1], off
	s_waitcnt vmcnt(0)
	v_lshlrev_b32_e32 v5, 16, v1
	v_and_b32_e32 v1, 0xffff0000, v1
	s_delay_alu instid0(VALU_DEP_1) | instskip(NEXT) | instid1(VALU_DEP_1)
	v_dual_mul_f32 v1, 0xbfb8aa3b, v1 :: v_dual_lshlrev_b32 v4, 16, v0
	v_dual_mul_f32 v4, 0xbfb8aa3b, v4 :: v_dual_mul_f32 v5, 0xbfb8aa3b, v5
	s_delay_alu instid0(VALU_DEP_2) | instskip(NEXT) | instid1(VALU_DEP_1)
	v_exp_f32_e32 v1, v1
	v_exp_f32_e32 v4, v4
	s_delay_alu instid0(VALU_DEP_1) | instskip(NEXT) | instid1(TRANS32_DEP_3)
	v_exp_f32_e32 v5, v5
	v_dual_add_f32 v1, 1.0, v1 :: v_dual_and_b32 v0, 0xffff0000, v0
	s_waitcnt_depctr 0xfff
	v_dual_add_f32 v4, 1.0, v4 :: v_dual_add_f32 v5, 1.0, v5
	v_dual_mul_f32 v0, 0xbfb8aa3b, v0 :: v_dual_lshlrev_b32 v7, 16, v3
	v_lshlrev_b32_e32 v6, 16, v2
	v_and_b32_e32 v2, 0xffff0000, v2
	s_delay_alu instid0(VALU_DEP_4) | instskip(NEXT) | instid1(VALU_DEP_4)
	v_div_scale_f32 v12, null, v5, v5, 1.0
	v_exp_f32_e32 v0, v0
	v_mul_f32_e32 v7, 0xbfb8aa3b, v7
	v_and_b32_e32 v3, 0xffff0000, v3
	v_div_scale_f32 v14, null, v1, v1, 1.0
	v_rcp_f32_e32 v26, v12
	s_delay_alu instid0(VALU_DEP_3) | instskip(SKIP_1) | instid1(VALU_DEP_2)
	v_exp_f32_e32 v7, v7
	v_mul_f32_e32 v2, 0xbfb8aa3b, v2
	v_rcp_f32_e32 v27, v14
	v_div_scale_f32 v13, s3, 1.0, v5, 1.0
	v_add_f32_e32 v0, 1.0, v0
	v_dual_mul_f32 v6, 0xbfb8aa3b, v6 :: v_dual_mul_f32 v3, 0xbfb8aa3b, v3
	v_div_scale_f32 v15, s4, 1.0, v1, 1.0
	s_delay_alu instid0(VALU_DEP_3) | instskip(NEXT) | instid1(TRANS32_DEP_2)
	v_div_scale_f32 v10, null, v0, v0, 1.0
	v_add_f32_e32 v7, 1.0, v7
	v_exp_f32_e32 v2, v2
	v_exp_f32_e32 v6, v6
	s_delay_alu instid0(VALU_DEP_2)
	v_rcp_f32_e32 v25, v10
	v_exp_f32_e32 v3, v3
	v_div_scale_f32 v21, null, v7, v7, 1.0
	v_fma_f32 v35, -v12, v26, 1.0
	v_fma_f32 v36, -v14, v27, 1.0
	v_div_scale_f32 v11, s2, 1.0, v0, 1.0
	s_delay_alu instid0(VALU_DEP_4) | instskip(SKIP_1) | instid1(TRANS32_DEP_3)
	v_rcp_f32_e32 v30, v21
	v_add_f32_e32 v6, 1.0, v6
	v_fma_f32 v34, -v10, v25, 1.0
	s_delay_alu instid0(TRANS32_DEP_2) | instskip(SKIP_1) | instid1(VALU_DEP_3)
	v_dual_add_f32 v9, 1.0, v3 :: v_dual_add_f32 v8, 1.0, v2
	v_div_scale_f32 v2, null, v4, v4, 1.0
	v_fmac_f32_e32 v25, v34, v25
	v_div_scale_f32 v17, null, v6, v6, 1.0
	s_delay_alu instid0(VALU_DEP_4) | instskip(NEXT) | instid1(VALU_DEP_4)
	v_div_scale_f32 v19, null, v8, v8, 1.0
	v_rcp_f32_e32 v24, v2
	v_div_scale_f32 v23, null, v9, v9, 1.0
	s_delay_alu instid0(VALU_DEP_2) | instskip(SKIP_2) | instid1(VALU_DEP_2)
	v_rcp_f32_e32 v29, v19
	v_rcp_f32_e32 v28, v17
	v_div_scale_f32 v3, vcc_lo, 1.0, v4, 1.0
	v_rcp_f32_e32 v31, v23
	v_div_scale_f32 v20, s6, 1.0, v8, 1.0
	v_fma_f32 v33, -v2, v24, 1.0
	v_fmac_f32_e32 v27, v36, v27
	v_div_scale_f32 v18, s5, 1.0, v6, 1.0
	s_delay_alu instid0(TRANS32_DEP_3) | instskip(NEXT) | instid1(VALU_DEP_4)
	v_fma_f32 v38, -v19, v29, 1.0
	v_fmac_f32_e32 v24, v33, v24
	s_delay_alu instid0(TRANS32_DEP_2) | instskip(SKIP_1) | instid1(TRANS32_DEP_1)
	v_fma_f32 v37, -v17, v28, 1.0
	v_fmac_f32_e32 v26, v35, v26
	v_fma_f32 v40, -v23, v31, 1.0
	v_fmac_f32_e32 v29, v38, v29
	v_mul_f32_e32 v33, v3, v24
	v_fma_f32 v39, -v21, v30, 1.0
	s_delay_alu instid0(VALU_DEP_4)
	v_dual_fmac_f32 v28, v37, v28 :: v_dual_fmac_f32 v31, v40, v31
	v_dual_mul_f32 v34, v11, v25 :: v_dual_mul_f32 v35, v13, v26
	v_div_scale_f32 v32, s8, 1.0, v9, 1.0
	v_mul_f32_e32 v38, v20, v29
	v_fma_f32 v41, -v2, v33, v3
	v_div_scale_f32 v22, s7, 1.0, v7, 1.0
	v_dual_fmac_f32 v30, v39, v30 :: v_dual_mul_f32 v37, v18, v28
	v_mul_f32_e32 v36, v15, v27
	v_fma_f32 v42, -v10, v34, v11
	v_fma_f32 v43, -v12, v35, v13
	s_delay_alu instid0(VALU_DEP_4) | instskip(SKIP_2) | instid1(VALU_DEP_4)
	v_dual_mul_f32 v39, v22, v30 :: v_dual_mul_f32 v40, v32, v31
	v_fmac_f32_e32 v33, v41, v24
	v_fma_f32 v44, -v14, v36, v15
	v_dual_fmac_f32 v34, v42, v25 :: v_dual_fmac_f32 v35, v43, v26
	v_fma_f32 v45, -v17, v37, v18
	v_fma_f32 v46, -v19, v38, v20
	;; [unrolled: 1-line block ×3, first 2 shown]
	v_fmac_f32_e32 v36, v44, v27
	v_fma_f32 v3, -v10, v34, v11
	v_fmac_f32_e32 v37, v45, v28
	v_fma_f32 v10, -v12, v35, v13
	v_fma_f32 v47, -v21, v39, v22
	v_fmac_f32_e32 v38, v46, v29
	v_div_fmas_f32 v2, v2, v24, v33
	s_mov_b32 vcc_lo, s2
	v_fma_f32 v11, -v14, v36, v15
	v_fmac_f32_e32 v39, v47, v30
	v_div_fmas_f32 v3, v3, v25, v34
	s_mov_b32 vcc_lo, s3
	v_fma_f32 v12, -v17, v37, v18
	v_div_fmas_f32 v10, v10, v26, v35
	s_mov_b32 vcc_lo, s4
	v_fma_f32 v13, -v19, v38, v20
	v_div_fixup_f32 v2, v2, v4, 1.0
	v_div_fmas_f32 v4, v11, v27, v36
	s_mov_b32 vcc_lo, s5
	v_fma_f32 v48, -v23, v40, v32
	v_div_fmas_f32 v11, v12, v28, v37
	s_mov_b32 vcc_lo, s6
	v_div_fixup_f32 v5, v10, v5, 1.0
	v_div_fmas_f32 v10, v13, v29, v38
	v_cmp_class_f32_e64 vcc_lo, v2, 0x1f8
	v_fma_f32 v14, -v21, v39, v22
	v_div_fixup_f32 v3, v3, v0, 1.0
	v_div_fixup_f32 v4, v4, v1, 1.0
	v_fmac_f32_e32 v40, v48, v31
	v_cndmask_b32_e32 v0, 0, v2, vcc_lo
	s_mov_b32 vcc_lo, s7
	v_div_fixup_f32 v6, v11, v6, 1.0
	v_div_fmas_f32 v12, v14, v30, v39
	v_cmp_class_f32_e64 vcc_lo, v3, 0x1f8
	v_fma_f32 v15, -v23, v40, v32
	s_delay_alu instid0(VALU_DEP_3) | instskip(SKIP_2) | instid1(VALU_DEP_3)
	v_div_fixup_f32 v7, v12, v7, 1.0
	v_cndmask_b32_e32 v1, 0, v3, vcc_lo
	s_mov_b32 vcc_lo, s8
	v_div_fmas_f32 v11, v15, v31, v40
	v_cmp_class_f32_e64 vcc_lo, v5, 0x1f8
	v_cndmask_b32_e32 v2, 0, v5, vcc_lo
	v_cmp_class_f32_e64 vcc_lo, v4, 0x1f8
	v_div_fixup_f32 v5, v10, v8, 1.0
	v_div_fixup_f32 v8, v11, v9, 1.0
	v_cndmask_b32_e32 v3, 0, v4, vcc_lo
	v_cmp_class_f32_e64 vcc_lo, v6, 0x1f8
	v_cndmask_b32_e32 v4, 0, v6, vcc_lo
	v_cmp_class_f32_e64 vcc_lo, v5, 0x1f8
	;; [unrolled: 2-line block ×4, first 2 shown]
	v_cndmask_b32_e32 v7, 0, v8, vcc_lo
	s_cbranch_scc1 .LBB337_10
; %bb.4:
	s_load_b256 s[4:11], s[10:11], 0x0
	s_waitcnt lgkmcnt(0)
	v_dual_add_f32 v8, s4, v0 :: v_dual_add_f32 v9, s5, v1
	v_dual_add_f32 v10, s6, v2 :: v_dual_add_f32 v11, s7, v3
	;; [unrolled: 1-line block ×4, first 2 shown]
	s_cbranch_execnz .LBB337_6
.LBB337_5:
	v_dual_mov_b32 v15, v7 :: v_dual_mov_b32 v14, v6
	v_dual_mov_b32 v13, v5 :: v_dual_mov_b32 v12, v4
	;; [unrolled: 1-line block ×4, first 2 shown]
.LBB337_6:
	s_load_b128 s[4:7], s[0:1], 0x30
	s_mov_b32 s16, 0
	s_waitcnt lgkmcnt(0)
	s_bitcmp1_b32 s7, 0
	s_cselect_b32 vcc_lo, -1, 0
	s_cmp_gt_i32 s4, 0
	s_cselect_b32 s7, -1, 0
	s_cmp_lt_i32 s4, 1
	s_cbranch_scc1 .LBB337_11
; %bb.7:
	s_load_b128 s[8:11], s[0:1], 0x20
	v_mul_lo_u32 v18, v16, s4
	v_mov_b32_e32 v17, 0
	v_mov_b32_e32 v19, v16
.LBB337_8:                              ; =>This Inner Loop Header: Depth=1
	v_cmp_gt_f32_e64 s0, v9, v8
	s_delay_alu instid0(VALU_DEP_1) | instskip(SKIP_2) | instid1(VALU_DEP_3)
	v_cndmask_b32_e64 v21, v8, v9, s0
	v_cndmask_b32_e64 v20, 0, 1, s0
	;; [unrolled: 1-line block ×3, first 2 shown]
	v_cmp_gt_f32_e64 s1, v10, v21
	s_delay_alu instid0(VALU_DEP_1) | instskip(NEXT) | instid1(VALU_DEP_4)
	v_cndmask_b32_e64 v21, v21, v10, s1
	v_cndmask_b32_e64 v20, v20, 2, s1
	s_delay_alu instid0(VALU_DEP_4) | instskip(NEXT) | instid1(VALU_DEP_3)
	v_cndmask_b32_e64 v22, v22, v2, s1
	v_cmp_gt_f32_e64 s2, v11, v21
	s_delay_alu instid0(VALU_DEP_1) | instskip(NEXT) | instid1(VALU_DEP_4)
	v_cndmask_b32_e64 v21, v21, v11, s2
	v_cndmask_b32_e64 v20, v20, 3, s2
	s_delay_alu instid0(VALU_DEP_4) | instskip(NEXT) | instid1(VALU_DEP_3)
	v_cndmask_b32_e64 v22, v22, v3, s2
	v_cmp_gt_f32_e64 s3, v12, v21
	s_delay_alu instid0(VALU_DEP_1) | instskip(NEXT) | instid1(VALU_DEP_4)
	v_cndmask_b32_e64 v24, v21, v12, s3
	v_cndmask_b32_e64 v23, v20, 4, s3
	v_add_nc_u32_e32 v20, s16, v18
	v_cndmask_b32_e64 v26, v22, v4, s3
	s_add_i32 s16, s16, 1
	v_cmp_gt_f32_e64 s0, v13, v24
	s_delay_alu instid0(VALU_DEP_3) | instskip(NEXT) | instid1(VALU_DEP_2)
	v_ashrrev_i32_e32 v21, 31, v20
	v_cndmask_b32_e64 v24, v24, v13, s0
	v_cndmask_b32_e64 v25, v23, 5, s0
	s_delay_alu instid0(VALU_DEP_3) | instskip(SKIP_1) | instid1(VALU_DEP_4)
	v_lshlrev_b64 v[20:21], 2, v[20:21]
	v_cndmask_b32_e64 v26, v26, v5, s0
	v_cmp_gt_f32_e64 s1, v14, v24
	s_delay_alu instid0(VALU_DEP_3) | instskip(NEXT) | instid1(VALU_DEP_2)
	v_add_co_u32 v22, s2, s12, v20
	v_cndmask_b32_e64 v28, v24, v14, s1
	s_waitcnt lgkmcnt(0)
	v_add_co_u32 v24, s0, s8, v20
	v_cndmask_b32_e64 v27, v25, 6, s1
	v_add_co_ci_u32_e64 v25, s0, s9, v21, s0
	v_cmp_gt_f32_e64 s0, v15, v28
	v_add_co_ci_u32_e64 v23, s2, s13, v21, s2
	v_cndmask_b32_e64 v26, v26, v6, s1
	v_add_co_u32 v20, s1, s10, v20
	s_delay_alu instid0(VALU_DEP_4) | instskip(SKIP_1) | instid1(VALU_DEP_4)
	v_cndmask_b32_e64 v27, v27, 7, s0
	v_add_co_ci_u32_e64 v21, s1, s11, v21, s1
	v_cndmask_b32_e64 v26, v26, v7, s0
	s_delay_alu instid0(VALU_DEP_3)
	v_cmp_ne_u32_e64 s2, 0, v27
	v_cmp_le_i32_e64 s0, s5, v27
	v_cmp_gt_i32_e64 s1, s6, v27
	v_subrev_nc_u32_e32 v28, s5, v27
	v_add_f32_e32 v36, v17, v26
	v_cndmask_b32_e64 v29, 0xc61c4000, v8, s2
	v_cmp_ne_u32_e64 s2, 1, v27
	s_and_b32 s1, s0, s1
	v_cmp_ne_u32_e64 s0, 7, v27
	s_delay_alu instid0(VALU_DEP_2) | instskip(SKIP_1) | instid1(VALU_DEP_1)
	v_cndmask_b32_e64 v30, 0xc61c4000, v9, s2
	v_cmp_ne_u32_e64 s2, 2, v27
	v_cndmask_b32_e64 v31, 0xc61c4000, v10, s2
	v_cmp_ne_u32_e64 s2, 3, v27
	s_delay_alu instid0(VALU_DEP_1) | instskip(SKIP_1) | instid1(VALU_DEP_1)
	v_cndmask_b32_e64 v32, 0xc61c4000, v11, s2
	v_cmp_ne_u32_e64 s2, 4, v27
	v_cndmask_b32_e64 v33, 0xc61c4000, v12, s2
	v_cmp_ne_u32_e64 s2, 5, v27
	s_delay_alu instid0(VALU_DEP_1)
	v_cndmask_b32_e64 v34, 0xc61c4000, v13, s2
	v_cmp_ne_u32_e64 s2, 6, v27
	v_cndmask_b32_e64 v27, 0xc61c4000, v15, s0
	s_and_b32 s0, s15, s1
	s_cmp_lt_i32 s16, s4
	v_cndmask_b32_e64 v28, 8, v28, s0
	v_cndmask_b32_e64 v35, 0xc61c4000, v14, s2
	s_cselect_b32 s0, -1, 0
	global_store_b32 v[24:25], v28, off
	global_store_b32 v[20:21], v19, off
	v_add_nc_u32_e32 v19, s14, v19
	v_cndmask_b32_e32 v17, v17, v36, vcc_lo
	v_cndmask_b32_e64 v15, v15, v27, s0
	v_cndmask_b32_e64 v14, v14, v35, s0
	;; [unrolled: 1-line block ×8, first 2 shown]
	s_cmp_eq_u32 s4, s16
	global_store_b32 v[22:23], v26, off
	s_cbranch_scc0 .LBB337_8
; %bb.9:
	s_and_b32 vcc_lo, exec_lo, vcc_lo
	s_cbranch_vccnz .LBB337_12
	s_branch .LBB337_15
.LBB337_10:
                                        ; implicit-def: $vgpr8_vgpr9_vgpr10_vgpr11_vgpr12_vgpr13_vgpr14_vgpr15
	s_and_not1_b32 vcc_lo, exec_lo, s9
	s_cbranch_vccz .LBB337_5
	s_branch .LBB337_6
.LBB337_11:
	v_mov_b32_e32 v17, 0
	s_and_b32 vcc_lo, exec_lo, vcc_lo
	s_cbranch_vccz .LBB337_15
.LBB337_12:
	s_and_not1_b32 vcc_lo, exec_lo, s7
	s_cbranch_vccnz .LBB337_15
; %bb.13:
	v_mul_lo_u32 v0, v16, s4
	v_cmp_lt_f32_e32 vcc_lo, 0, v17
	v_cndmask_b32_e32 v2, 1.0, v17, vcc_lo
	s_delay_alu instid0(VALU_DEP_3) | instskip(NEXT) | instid1(VALU_DEP_1)
	v_ashrrev_i32_e32 v1, 31, v0
	v_lshlrev_b64 v[0:1], 2, v[0:1]
	s_delay_alu instid0(VALU_DEP_1) | instskip(NEXT) | instid1(VALU_DEP_2)
	v_add_co_u32 v0, vcc_lo, s12, v0
	v_add_co_ci_u32_e32 v1, vcc_lo, s13, v1, vcc_lo
	.p2align	6
.LBB337_14:                             ; =>This Inner Loop Header: Depth=1
	global_load_b32 v3, v[0:1], off
	s_add_i32 s4, s4, -1
	s_delay_alu instid0(SALU_CYCLE_1) | instskip(SKIP_3) | instid1(VALU_DEP_2)
	s_cmp_lg_u32 s4, 0
	s_waitcnt vmcnt(0)
	v_div_scale_f32 v4, null, v2, v2, v3
	v_div_scale_f32 v7, vcc_lo, v3, v2, v3
	v_rcp_f32_e32 v5, v4
	s_waitcnt_depctr 0xfff
	v_fma_f32 v6, -v4, v5, 1.0
	s_delay_alu instid0(VALU_DEP_1) | instskip(NEXT) | instid1(VALU_DEP_1)
	v_fmac_f32_e32 v5, v6, v5
	v_mul_f32_e32 v6, v7, v5
	s_delay_alu instid0(VALU_DEP_1) | instskip(NEXT) | instid1(VALU_DEP_1)
	v_fma_f32 v8, -v4, v6, v7
	v_fmac_f32_e32 v6, v8, v5
	s_delay_alu instid0(VALU_DEP_1) | instskip(NEXT) | instid1(VALU_DEP_1)
	v_fma_f32 v4, -v4, v6, v7
	v_div_fmas_f32 v4, v4, v5, v6
	s_delay_alu instid0(VALU_DEP_1)
	v_div_fixup_f32 v3, v4, v2, v3
	global_store_b32 v[0:1], v3, off
	v_add_co_u32 v0, vcc_lo, v0, 4
	v_add_co_ci_u32_e32 v1, vcc_lo, 0, v1, vcc_lo
	s_cbranch_scc1 .LBB337_14
.LBB337_15:
	s_nop 0
	s_sendmsg sendmsg(MSG_DEALLOC_VGPRS)
	s_endpgm
	.section	.rodata,"a",@progbits
	.p2align	6, 0x0
	.amdhsa_kernel _ZN4vllm3moe10topkGatingILi8ELi8ELi4ELi16ELi64Ej14__hip_bfloat16LNS0_11ScoringFuncE1EEEvPKT5_PKbPfiPT4_PiiiibPKf
		.amdhsa_group_segment_fixed_size 0
		.amdhsa_private_segment_fixed_size 0
		.amdhsa_kernarg_size 72
		.amdhsa_user_sgpr_count 15
		.amdhsa_user_sgpr_dispatch_ptr 0
		.amdhsa_user_sgpr_queue_ptr 0
		.amdhsa_user_sgpr_kernarg_segment_ptr 1
		.amdhsa_user_sgpr_dispatch_id 0
		.amdhsa_user_sgpr_private_segment_size 0
		.amdhsa_wavefront_size32 1
		.amdhsa_uses_dynamic_stack 0
		.amdhsa_enable_private_segment 0
		.amdhsa_system_sgpr_workgroup_id_x 1
		.amdhsa_system_sgpr_workgroup_id_y 0
		.amdhsa_system_sgpr_workgroup_id_z 0
		.amdhsa_system_sgpr_workgroup_info 0
		.amdhsa_system_vgpr_workitem_id 1
		.amdhsa_next_free_vgpr 49
		.amdhsa_next_free_sgpr 17
		.amdhsa_reserve_vcc 1
		.amdhsa_float_round_mode_32 0
		.amdhsa_float_round_mode_16_64 0
		.amdhsa_float_denorm_mode_32 3
		.amdhsa_float_denorm_mode_16_64 3
		.amdhsa_dx10_clamp 1
		.amdhsa_ieee_mode 1
		.amdhsa_fp16_overflow 0
		.amdhsa_workgroup_processor_mode 1
		.amdhsa_memory_ordered 1
		.amdhsa_forward_progress 0
		.amdhsa_shared_vgpr_count 0
		.amdhsa_exception_fp_ieee_invalid_op 0
		.amdhsa_exception_fp_denorm_src 0
		.amdhsa_exception_fp_ieee_div_zero 0
		.amdhsa_exception_fp_ieee_overflow 0
		.amdhsa_exception_fp_ieee_underflow 0
		.amdhsa_exception_fp_ieee_inexact 0
		.amdhsa_exception_int_div_zero 0
	.end_amdhsa_kernel
	.section	.text._ZN4vllm3moe10topkGatingILi8ELi8ELi4ELi16ELi64Ej14__hip_bfloat16LNS0_11ScoringFuncE1EEEvPKT5_PKbPfiPT4_PiiiibPKf,"axG",@progbits,_ZN4vllm3moe10topkGatingILi8ELi8ELi4ELi16ELi64Ej14__hip_bfloat16LNS0_11ScoringFuncE1EEEvPKT5_PKbPfiPT4_PiiiibPKf,comdat
.Lfunc_end337:
	.size	_ZN4vllm3moe10topkGatingILi8ELi8ELi4ELi16ELi64Ej14__hip_bfloat16LNS0_11ScoringFuncE1EEEvPKT5_PKbPfiPT4_PiiiibPKf, .Lfunc_end337-_ZN4vllm3moe10topkGatingILi8ELi8ELi4ELi16ELi64Ej14__hip_bfloat16LNS0_11ScoringFuncE1EEEvPKT5_PKbPfiPT4_PiiiibPKf
                                        ; -- End function
	.section	.AMDGPU.csdata,"",@progbits
; Kernel info:
; codeLenInByte = 2240
; NumSgprs: 19
; NumVgprs: 49
; ScratchSize: 0
; MemoryBound: 0
; FloatMode: 240
; IeeeMode: 1
; LDSByteSize: 0 bytes/workgroup (compile time only)
; SGPRBlocks: 2
; VGPRBlocks: 6
; NumSGPRsForWavesPerEU: 19
; NumVGPRsForWavesPerEU: 49
; Occupancy: 16
; WaveLimiterHint : 0
; COMPUTE_PGM_RSRC2:SCRATCH_EN: 0
; COMPUTE_PGM_RSRC2:USER_SGPR: 15
; COMPUTE_PGM_RSRC2:TRAP_HANDLER: 0
; COMPUTE_PGM_RSRC2:TGID_X_EN: 1
; COMPUTE_PGM_RSRC2:TGID_Y_EN: 0
; COMPUTE_PGM_RSRC2:TGID_Z_EN: 0
; COMPUTE_PGM_RSRC2:TIDIG_COMP_CNT: 1
	.section	.text._ZN4vllm3moe10topkGatingILi8ELi8ELi4ELi16ELi32Ej14__hip_bfloat16LNS0_11ScoringFuncE1EEEvPKT5_PKbPfiPT4_PiiiibPKf,"axG",@progbits,_ZN4vllm3moe10topkGatingILi8ELi8ELi4ELi16ELi32Ej14__hip_bfloat16LNS0_11ScoringFuncE1EEEvPKT5_PKbPfiPT4_PiiiibPKf,comdat
	.protected	_ZN4vllm3moe10topkGatingILi8ELi8ELi4ELi16ELi32Ej14__hip_bfloat16LNS0_11ScoringFuncE1EEEvPKT5_PKbPfiPT4_PiiiibPKf ; -- Begin function _ZN4vllm3moe10topkGatingILi8ELi8ELi4ELi16ELi32Ej14__hip_bfloat16LNS0_11ScoringFuncE1EEEvPKT5_PKbPfiPT4_PiiiibPKf
	.globl	_ZN4vllm3moe10topkGatingILi8ELi8ELi4ELi16ELi32Ej14__hip_bfloat16LNS0_11ScoringFuncE1EEEvPKT5_PKbPfiPT4_PiiiibPKf
	.p2align	8
	.type	_ZN4vllm3moe10topkGatingILi8ELi8ELi4ELi16ELi32Ej14__hip_bfloat16LNS0_11ScoringFuncE1EEEvPKT5_PKbPfiPT4_PiiiibPKf,@function
_ZN4vllm3moe10topkGatingILi8ELi8ELi4ELi16ELi32Ej14__hip_bfloat16LNS0_11ScoringFuncE1EEEvPKT5_PKbPfiPT4_PiiiibPKf: ; @_ZN4vllm3moe10topkGatingILi8ELi8ELi4ELi16ELi32Ej14__hip_bfloat16LNS0_11ScoringFuncE1EEEvPKT5_PKbPfiPT4_PiiiibPKf
; %bb.0:
	s_load_b32 s14, s[0:1], 0x18
	v_bfe_u32 v1, v0, 10, 10
	v_and_b32_e32 v0, 0x3ff, v0
	s_lshl_b32 s2, s15, 7
	s_delay_alu instid0(VALU_DEP_2) | instskip(NEXT) | instid1(VALU_DEP_1)
	v_lshlrev_b32_e32 v1, 5, v1
	v_add3_u32 v16, v1, v0, s2
	s_mov_b32 s2, exec_lo
	s_waitcnt lgkmcnt(0)
	s_delay_alu instid0(VALU_DEP_1)
	v_cmpx_gt_i32_e64 s14, v16
	s_cbranch_execz .LBB338_15
; %bb.1:
	s_clause 0x1
	s_load_b128 s[4:7], s[0:1], 0x0
	s_load_b64 s[12:13], s[0:1], 0x10
	s_mov_b32 s9, -1
	s_mov_b32 s15, -1
	s_waitcnt lgkmcnt(0)
	s_cmp_eq_u64 s[6:7], 0
	s_cbranch_scc1 .LBB338_3
; %bb.2:
	v_ashrrev_i32_e32 v1, 31, v16
	v_add_co_u32 v0, vcc_lo, s6, v16
	s_delay_alu instid0(VALU_DEP_2) | instskip(SKIP_3) | instid1(VALU_DEP_1)
	v_add_co_ci_u32_e32 v1, vcc_lo, s7, v1, vcc_lo
	global_load_u8 v0, v[0:1], off
	s_waitcnt vmcnt(0)
	v_and_b32_e32 v0, 1, v0
	v_cmp_eq_u32_e32 vcc_lo, 1, v0
	s_xor_b32 s2, vcc_lo, -1
	s_delay_alu instid0(SALU_CYCLE_1)
	s_or_not1_b32 s15, s2, exec_lo
.LBB338_3:
	v_lshlrev_b32_e32 v0, 3, v16
	s_load_b64 s[10:11], s[0:1], 0x40
	s_delay_alu instid0(VALU_DEP_1) | instskip(NEXT) | instid1(VALU_DEP_1)
	v_ashrrev_i32_e32 v1, 31, v0
	v_lshlrev_b64 v[0:1], 1, v[0:1]
	s_delay_alu instid0(VALU_DEP_1) | instskip(NEXT) | instid1(VALU_DEP_2)
	v_add_co_u32 v0, vcc_lo, s4, v0
	v_add_co_ci_u32_e32 v1, vcc_lo, s5, v1, vcc_lo
	s_waitcnt lgkmcnt(0)
	s_cmp_eq_u64 s[10:11], 0
	global_load_b128 v[0:3], v[0:1], off
	s_waitcnt vmcnt(0)
	v_lshlrev_b32_e32 v5, 16, v1
	v_and_b32_e32 v1, 0xffff0000, v1
	s_delay_alu instid0(VALU_DEP_1) | instskip(NEXT) | instid1(VALU_DEP_1)
	v_dual_mul_f32 v1, 0xbfb8aa3b, v1 :: v_dual_lshlrev_b32 v4, 16, v0
	v_dual_mul_f32 v4, 0xbfb8aa3b, v4 :: v_dual_mul_f32 v5, 0xbfb8aa3b, v5
	s_delay_alu instid0(VALU_DEP_2) | instskip(NEXT) | instid1(VALU_DEP_1)
	v_exp_f32_e32 v1, v1
	v_exp_f32_e32 v4, v4
	s_delay_alu instid0(VALU_DEP_1) | instskip(NEXT) | instid1(TRANS32_DEP_3)
	v_exp_f32_e32 v5, v5
	v_dual_add_f32 v1, 1.0, v1 :: v_dual_and_b32 v0, 0xffff0000, v0
	s_waitcnt_depctr 0xfff
	v_dual_add_f32 v4, 1.0, v4 :: v_dual_add_f32 v5, 1.0, v5
	v_dual_mul_f32 v0, 0xbfb8aa3b, v0 :: v_dual_lshlrev_b32 v7, 16, v3
	v_lshlrev_b32_e32 v6, 16, v2
	v_and_b32_e32 v2, 0xffff0000, v2
	s_delay_alu instid0(VALU_DEP_4) | instskip(NEXT) | instid1(VALU_DEP_4)
	v_div_scale_f32 v12, null, v5, v5, 1.0
	v_exp_f32_e32 v0, v0
	v_mul_f32_e32 v7, 0xbfb8aa3b, v7
	v_and_b32_e32 v3, 0xffff0000, v3
	v_div_scale_f32 v14, null, v1, v1, 1.0
	v_rcp_f32_e32 v26, v12
	s_delay_alu instid0(VALU_DEP_3) | instskip(SKIP_1) | instid1(VALU_DEP_2)
	v_exp_f32_e32 v7, v7
	v_mul_f32_e32 v2, 0xbfb8aa3b, v2
	v_rcp_f32_e32 v27, v14
	v_div_scale_f32 v13, s3, 1.0, v5, 1.0
	v_add_f32_e32 v0, 1.0, v0
	v_dual_mul_f32 v6, 0xbfb8aa3b, v6 :: v_dual_mul_f32 v3, 0xbfb8aa3b, v3
	v_div_scale_f32 v15, s4, 1.0, v1, 1.0
	s_delay_alu instid0(VALU_DEP_3) | instskip(NEXT) | instid1(TRANS32_DEP_2)
	v_div_scale_f32 v10, null, v0, v0, 1.0
	v_add_f32_e32 v7, 1.0, v7
	v_exp_f32_e32 v2, v2
	v_exp_f32_e32 v6, v6
	s_delay_alu instid0(VALU_DEP_2)
	v_rcp_f32_e32 v25, v10
	v_exp_f32_e32 v3, v3
	v_div_scale_f32 v21, null, v7, v7, 1.0
	v_fma_f32 v35, -v12, v26, 1.0
	v_fma_f32 v36, -v14, v27, 1.0
	v_div_scale_f32 v11, s2, 1.0, v0, 1.0
	s_delay_alu instid0(VALU_DEP_4) | instskip(SKIP_1) | instid1(TRANS32_DEP_3)
	v_rcp_f32_e32 v30, v21
	v_add_f32_e32 v6, 1.0, v6
	v_fma_f32 v34, -v10, v25, 1.0
	s_delay_alu instid0(TRANS32_DEP_2) | instskip(SKIP_1) | instid1(VALU_DEP_3)
	v_dual_add_f32 v9, 1.0, v3 :: v_dual_add_f32 v8, 1.0, v2
	v_div_scale_f32 v2, null, v4, v4, 1.0
	v_fmac_f32_e32 v25, v34, v25
	v_div_scale_f32 v17, null, v6, v6, 1.0
	s_delay_alu instid0(VALU_DEP_4) | instskip(NEXT) | instid1(VALU_DEP_4)
	v_div_scale_f32 v19, null, v8, v8, 1.0
	v_rcp_f32_e32 v24, v2
	v_div_scale_f32 v23, null, v9, v9, 1.0
	s_delay_alu instid0(VALU_DEP_2) | instskip(SKIP_2) | instid1(VALU_DEP_2)
	v_rcp_f32_e32 v29, v19
	v_rcp_f32_e32 v28, v17
	v_div_scale_f32 v3, vcc_lo, 1.0, v4, 1.0
	v_rcp_f32_e32 v31, v23
	v_div_scale_f32 v20, s6, 1.0, v8, 1.0
	v_fma_f32 v33, -v2, v24, 1.0
	v_fmac_f32_e32 v27, v36, v27
	v_div_scale_f32 v18, s5, 1.0, v6, 1.0
	s_delay_alu instid0(TRANS32_DEP_3) | instskip(NEXT) | instid1(VALU_DEP_4)
	v_fma_f32 v38, -v19, v29, 1.0
	v_fmac_f32_e32 v24, v33, v24
	s_delay_alu instid0(TRANS32_DEP_2) | instskip(SKIP_1) | instid1(TRANS32_DEP_1)
	v_fma_f32 v37, -v17, v28, 1.0
	v_fmac_f32_e32 v26, v35, v26
	v_fma_f32 v40, -v23, v31, 1.0
	v_fmac_f32_e32 v29, v38, v29
	v_mul_f32_e32 v33, v3, v24
	v_fma_f32 v39, -v21, v30, 1.0
	s_delay_alu instid0(VALU_DEP_4)
	v_dual_fmac_f32 v28, v37, v28 :: v_dual_fmac_f32 v31, v40, v31
	v_dual_mul_f32 v34, v11, v25 :: v_dual_mul_f32 v35, v13, v26
	v_div_scale_f32 v32, s8, 1.0, v9, 1.0
	v_mul_f32_e32 v38, v20, v29
	v_fma_f32 v41, -v2, v33, v3
	v_div_scale_f32 v22, s7, 1.0, v7, 1.0
	v_dual_fmac_f32 v30, v39, v30 :: v_dual_mul_f32 v37, v18, v28
	v_mul_f32_e32 v36, v15, v27
	v_fma_f32 v42, -v10, v34, v11
	v_fma_f32 v43, -v12, v35, v13
	s_delay_alu instid0(VALU_DEP_4) | instskip(SKIP_2) | instid1(VALU_DEP_4)
	v_dual_mul_f32 v39, v22, v30 :: v_dual_mul_f32 v40, v32, v31
	v_fmac_f32_e32 v33, v41, v24
	v_fma_f32 v44, -v14, v36, v15
	v_dual_fmac_f32 v34, v42, v25 :: v_dual_fmac_f32 v35, v43, v26
	v_fma_f32 v45, -v17, v37, v18
	v_fma_f32 v46, -v19, v38, v20
	;; [unrolled: 1-line block ×3, first 2 shown]
	v_fmac_f32_e32 v36, v44, v27
	v_fma_f32 v3, -v10, v34, v11
	v_fmac_f32_e32 v37, v45, v28
	v_fma_f32 v10, -v12, v35, v13
	v_fma_f32 v47, -v21, v39, v22
	v_fmac_f32_e32 v38, v46, v29
	v_div_fmas_f32 v2, v2, v24, v33
	s_mov_b32 vcc_lo, s2
	v_fma_f32 v11, -v14, v36, v15
	v_fmac_f32_e32 v39, v47, v30
	v_div_fmas_f32 v3, v3, v25, v34
	s_mov_b32 vcc_lo, s3
	v_fma_f32 v12, -v17, v37, v18
	v_div_fmas_f32 v10, v10, v26, v35
	s_mov_b32 vcc_lo, s4
	v_fma_f32 v13, -v19, v38, v20
	v_div_fixup_f32 v2, v2, v4, 1.0
	v_div_fmas_f32 v4, v11, v27, v36
	s_mov_b32 vcc_lo, s5
	v_fma_f32 v48, -v23, v40, v32
	v_div_fmas_f32 v11, v12, v28, v37
	s_mov_b32 vcc_lo, s6
	v_div_fixup_f32 v5, v10, v5, 1.0
	v_div_fmas_f32 v10, v13, v29, v38
	v_cmp_class_f32_e64 vcc_lo, v2, 0x1f8
	v_fma_f32 v14, -v21, v39, v22
	v_div_fixup_f32 v3, v3, v0, 1.0
	v_div_fixup_f32 v4, v4, v1, 1.0
	v_fmac_f32_e32 v40, v48, v31
	v_cndmask_b32_e32 v0, 0, v2, vcc_lo
	s_mov_b32 vcc_lo, s7
	v_div_fixup_f32 v6, v11, v6, 1.0
	v_div_fmas_f32 v12, v14, v30, v39
	v_cmp_class_f32_e64 vcc_lo, v3, 0x1f8
	v_fma_f32 v15, -v23, v40, v32
	s_delay_alu instid0(VALU_DEP_3) | instskip(SKIP_2) | instid1(VALU_DEP_3)
	v_div_fixup_f32 v7, v12, v7, 1.0
	v_cndmask_b32_e32 v1, 0, v3, vcc_lo
	s_mov_b32 vcc_lo, s8
	v_div_fmas_f32 v11, v15, v31, v40
	v_cmp_class_f32_e64 vcc_lo, v5, 0x1f8
	v_cndmask_b32_e32 v2, 0, v5, vcc_lo
	v_cmp_class_f32_e64 vcc_lo, v4, 0x1f8
	v_div_fixup_f32 v5, v10, v8, 1.0
	v_div_fixup_f32 v8, v11, v9, 1.0
	v_cndmask_b32_e32 v3, 0, v4, vcc_lo
	v_cmp_class_f32_e64 vcc_lo, v6, 0x1f8
	v_cndmask_b32_e32 v4, 0, v6, vcc_lo
	v_cmp_class_f32_e64 vcc_lo, v5, 0x1f8
	;; [unrolled: 2-line block ×4, first 2 shown]
	v_cndmask_b32_e32 v7, 0, v8, vcc_lo
	s_cbranch_scc1 .LBB338_10
; %bb.4:
	s_load_b256 s[4:11], s[10:11], 0x0
	s_waitcnt lgkmcnt(0)
	v_dual_add_f32 v8, s4, v0 :: v_dual_add_f32 v9, s5, v1
	v_dual_add_f32 v10, s6, v2 :: v_dual_add_f32 v11, s7, v3
	;; [unrolled: 1-line block ×4, first 2 shown]
	s_cbranch_execnz .LBB338_6
.LBB338_5:
	v_dual_mov_b32 v15, v7 :: v_dual_mov_b32 v14, v6
	v_dual_mov_b32 v13, v5 :: v_dual_mov_b32 v12, v4
	;; [unrolled: 1-line block ×4, first 2 shown]
.LBB338_6:
	s_load_b128 s[4:7], s[0:1], 0x30
	s_mov_b32 s16, 0
	s_waitcnt lgkmcnt(0)
	s_bitcmp1_b32 s7, 0
	s_cselect_b32 vcc_lo, -1, 0
	s_cmp_gt_i32 s4, 0
	s_cselect_b32 s7, -1, 0
	s_cmp_lt_i32 s4, 1
	s_cbranch_scc1 .LBB338_11
; %bb.7:
	s_load_b128 s[8:11], s[0:1], 0x20
	v_mul_lo_u32 v18, v16, s4
	v_mov_b32_e32 v17, 0
	v_mov_b32_e32 v19, v16
.LBB338_8:                              ; =>This Inner Loop Header: Depth=1
	v_cmp_gt_f32_e64 s0, v9, v8
	s_delay_alu instid0(VALU_DEP_1) | instskip(SKIP_2) | instid1(VALU_DEP_3)
	v_cndmask_b32_e64 v21, v8, v9, s0
	v_cndmask_b32_e64 v20, 0, 1, s0
	;; [unrolled: 1-line block ×3, first 2 shown]
	v_cmp_gt_f32_e64 s1, v10, v21
	s_delay_alu instid0(VALU_DEP_1) | instskip(NEXT) | instid1(VALU_DEP_4)
	v_cndmask_b32_e64 v21, v21, v10, s1
	v_cndmask_b32_e64 v20, v20, 2, s1
	s_delay_alu instid0(VALU_DEP_4) | instskip(NEXT) | instid1(VALU_DEP_3)
	v_cndmask_b32_e64 v22, v22, v2, s1
	v_cmp_gt_f32_e64 s2, v11, v21
	s_delay_alu instid0(VALU_DEP_1) | instskip(NEXT) | instid1(VALU_DEP_4)
	v_cndmask_b32_e64 v21, v21, v11, s2
	v_cndmask_b32_e64 v20, v20, 3, s2
	s_delay_alu instid0(VALU_DEP_4) | instskip(NEXT) | instid1(VALU_DEP_3)
	v_cndmask_b32_e64 v22, v22, v3, s2
	v_cmp_gt_f32_e64 s3, v12, v21
	s_delay_alu instid0(VALU_DEP_1) | instskip(NEXT) | instid1(VALU_DEP_4)
	v_cndmask_b32_e64 v24, v21, v12, s3
	v_cndmask_b32_e64 v23, v20, 4, s3
	v_add_nc_u32_e32 v20, s16, v18
	v_cndmask_b32_e64 v26, v22, v4, s3
	s_add_i32 s16, s16, 1
	v_cmp_gt_f32_e64 s0, v13, v24
	s_delay_alu instid0(VALU_DEP_3) | instskip(NEXT) | instid1(VALU_DEP_2)
	v_ashrrev_i32_e32 v21, 31, v20
	v_cndmask_b32_e64 v24, v24, v13, s0
	v_cndmask_b32_e64 v25, v23, 5, s0
	s_delay_alu instid0(VALU_DEP_3) | instskip(SKIP_1) | instid1(VALU_DEP_4)
	v_lshlrev_b64 v[20:21], 2, v[20:21]
	v_cndmask_b32_e64 v26, v26, v5, s0
	v_cmp_gt_f32_e64 s1, v14, v24
	s_delay_alu instid0(VALU_DEP_3) | instskip(NEXT) | instid1(VALU_DEP_2)
	v_add_co_u32 v22, s2, s12, v20
	v_cndmask_b32_e64 v28, v24, v14, s1
	s_waitcnt lgkmcnt(0)
	v_add_co_u32 v24, s0, s8, v20
	v_cndmask_b32_e64 v27, v25, 6, s1
	v_add_co_ci_u32_e64 v25, s0, s9, v21, s0
	v_cmp_gt_f32_e64 s0, v15, v28
	v_add_co_ci_u32_e64 v23, s2, s13, v21, s2
	v_cndmask_b32_e64 v26, v26, v6, s1
	v_add_co_u32 v20, s1, s10, v20
	s_delay_alu instid0(VALU_DEP_4) | instskip(SKIP_1) | instid1(VALU_DEP_4)
	v_cndmask_b32_e64 v27, v27, 7, s0
	v_add_co_ci_u32_e64 v21, s1, s11, v21, s1
	v_cndmask_b32_e64 v26, v26, v7, s0
	s_delay_alu instid0(VALU_DEP_3)
	v_cmp_ne_u32_e64 s2, 0, v27
	v_cmp_le_i32_e64 s0, s5, v27
	v_cmp_gt_i32_e64 s1, s6, v27
	v_subrev_nc_u32_e32 v28, s5, v27
	v_add_f32_e32 v36, v17, v26
	v_cndmask_b32_e64 v29, 0xc61c4000, v8, s2
	v_cmp_ne_u32_e64 s2, 1, v27
	s_and_b32 s1, s0, s1
	v_cmp_ne_u32_e64 s0, 7, v27
	s_delay_alu instid0(VALU_DEP_2) | instskip(SKIP_1) | instid1(VALU_DEP_1)
	v_cndmask_b32_e64 v30, 0xc61c4000, v9, s2
	v_cmp_ne_u32_e64 s2, 2, v27
	v_cndmask_b32_e64 v31, 0xc61c4000, v10, s2
	v_cmp_ne_u32_e64 s2, 3, v27
	s_delay_alu instid0(VALU_DEP_1) | instskip(SKIP_1) | instid1(VALU_DEP_1)
	v_cndmask_b32_e64 v32, 0xc61c4000, v11, s2
	v_cmp_ne_u32_e64 s2, 4, v27
	v_cndmask_b32_e64 v33, 0xc61c4000, v12, s2
	v_cmp_ne_u32_e64 s2, 5, v27
	s_delay_alu instid0(VALU_DEP_1)
	v_cndmask_b32_e64 v34, 0xc61c4000, v13, s2
	v_cmp_ne_u32_e64 s2, 6, v27
	v_cndmask_b32_e64 v27, 0xc61c4000, v15, s0
	s_and_b32 s0, s15, s1
	s_cmp_lt_i32 s16, s4
	v_cndmask_b32_e64 v28, 8, v28, s0
	v_cndmask_b32_e64 v35, 0xc61c4000, v14, s2
	s_cselect_b32 s0, -1, 0
	global_store_b32 v[24:25], v28, off
	global_store_b32 v[20:21], v19, off
	v_add_nc_u32_e32 v19, s14, v19
	v_cndmask_b32_e32 v17, v17, v36, vcc_lo
	v_cndmask_b32_e64 v15, v15, v27, s0
	v_cndmask_b32_e64 v14, v14, v35, s0
	;; [unrolled: 1-line block ×8, first 2 shown]
	s_cmp_eq_u32 s4, s16
	global_store_b32 v[22:23], v26, off
	s_cbranch_scc0 .LBB338_8
; %bb.9:
	s_and_b32 vcc_lo, exec_lo, vcc_lo
	s_cbranch_vccnz .LBB338_12
	s_branch .LBB338_15
.LBB338_10:
                                        ; implicit-def: $vgpr8_vgpr9_vgpr10_vgpr11_vgpr12_vgpr13_vgpr14_vgpr15
	s_and_not1_b32 vcc_lo, exec_lo, s9
	s_cbranch_vccz .LBB338_5
	s_branch .LBB338_6
.LBB338_11:
	v_mov_b32_e32 v17, 0
	s_and_b32 vcc_lo, exec_lo, vcc_lo
	s_cbranch_vccz .LBB338_15
.LBB338_12:
	s_and_not1_b32 vcc_lo, exec_lo, s7
	s_cbranch_vccnz .LBB338_15
; %bb.13:
	v_mul_lo_u32 v0, v16, s4
	v_cmp_lt_f32_e32 vcc_lo, 0, v17
	v_cndmask_b32_e32 v2, 1.0, v17, vcc_lo
	s_delay_alu instid0(VALU_DEP_3) | instskip(NEXT) | instid1(VALU_DEP_1)
	v_ashrrev_i32_e32 v1, 31, v0
	v_lshlrev_b64 v[0:1], 2, v[0:1]
	s_delay_alu instid0(VALU_DEP_1) | instskip(NEXT) | instid1(VALU_DEP_2)
	v_add_co_u32 v0, vcc_lo, s12, v0
	v_add_co_ci_u32_e32 v1, vcc_lo, s13, v1, vcc_lo
	.p2align	6
.LBB338_14:                             ; =>This Inner Loop Header: Depth=1
	global_load_b32 v3, v[0:1], off
	s_add_i32 s4, s4, -1
	s_delay_alu instid0(SALU_CYCLE_1) | instskip(SKIP_3) | instid1(VALU_DEP_2)
	s_cmp_lg_u32 s4, 0
	s_waitcnt vmcnt(0)
	v_div_scale_f32 v4, null, v2, v2, v3
	v_div_scale_f32 v7, vcc_lo, v3, v2, v3
	v_rcp_f32_e32 v5, v4
	s_waitcnt_depctr 0xfff
	v_fma_f32 v6, -v4, v5, 1.0
	s_delay_alu instid0(VALU_DEP_1) | instskip(NEXT) | instid1(VALU_DEP_1)
	v_fmac_f32_e32 v5, v6, v5
	v_mul_f32_e32 v6, v7, v5
	s_delay_alu instid0(VALU_DEP_1) | instskip(NEXT) | instid1(VALU_DEP_1)
	v_fma_f32 v8, -v4, v6, v7
	v_fmac_f32_e32 v6, v8, v5
	s_delay_alu instid0(VALU_DEP_1) | instskip(NEXT) | instid1(VALU_DEP_1)
	v_fma_f32 v4, -v4, v6, v7
	v_div_fmas_f32 v4, v4, v5, v6
	s_delay_alu instid0(VALU_DEP_1)
	v_div_fixup_f32 v3, v4, v2, v3
	global_store_b32 v[0:1], v3, off
	v_add_co_u32 v0, vcc_lo, v0, 4
	v_add_co_ci_u32_e32 v1, vcc_lo, 0, v1, vcc_lo
	s_cbranch_scc1 .LBB338_14
.LBB338_15:
	s_nop 0
	s_sendmsg sendmsg(MSG_DEALLOC_VGPRS)
	s_endpgm
	.section	.rodata,"a",@progbits
	.p2align	6, 0x0
	.amdhsa_kernel _ZN4vllm3moe10topkGatingILi8ELi8ELi4ELi16ELi32Ej14__hip_bfloat16LNS0_11ScoringFuncE1EEEvPKT5_PKbPfiPT4_PiiiibPKf
		.amdhsa_group_segment_fixed_size 0
		.amdhsa_private_segment_fixed_size 0
		.amdhsa_kernarg_size 72
		.amdhsa_user_sgpr_count 15
		.amdhsa_user_sgpr_dispatch_ptr 0
		.amdhsa_user_sgpr_queue_ptr 0
		.amdhsa_user_sgpr_kernarg_segment_ptr 1
		.amdhsa_user_sgpr_dispatch_id 0
		.amdhsa_user_sgpr_private_segment_size 0
		.amdhsa_wavefront_size32 1
		.amdhsa_uses_dynamic_stack 0
		.amdhsa_enable_private_segment 0
		.amdhsa_system_sgpr_workgroup_id_x 1
		.amdhsa_system_sgpr_workgroup_id_y 0
		.amdhsa_system_sgpr_workgroup_id_z 0
		.amdhsa_system_sgpr_workgroup_info 0
		.amdhsa_system_vgpr_workitem_id 1
		.amdhsa_next_free_vgpr 49
		.amdhsa_next_free_sgpr 17
		.amdhsa_reserve_vcc 1
		.amdhsa_float_round_mode_32 0
		.amdhsa_float_round_mode_16_64 0
		.amdhsa_float_denorm_mode_32 3
		.amdhsa_float_denorm_mode_16_64 3
		.amdhsa_dx10_clamp 1
		.amdhsa_ieee_mode 1
		.amdhsa_fp16_overflow 0
		.amdhsa_workgroup_processor_mode 1
		.amdhsa_memory_ordered 1
		.amdhsa_forward_progress 0
		.amdhsa_shared_vgpr_count 0
		.amdhsa_exception_fp_ieee_invalid_op 0
		.amdhsa_exception_fp_denorm_src 0
		.amdhsa_exception_fp_ieee_div_zero 0
		.amdhsa_exception_fp_ieee_overflow 0
		.amdhsa_exception_fp_ieee_underflow 0
		.amdhsa_exception_fp_ieee_inexact 0
		.amdhsa_exception_int_div_zero 0
	.end_amdhsa_kernel
	.section	.text._ZN4vllm3moe10topkGatingILi8ELi8ELi4ELi16ELi32Ej14__hip_bfloat16LNS0_11ScoringFuncE1EEEvPKT5_PKbPfiPT4_PiiiibPKf,"axG",@progbits,_ZN4vllm3moe10topkGatingILi8ELi8ELi4ELi16ELi32Ej14__hip_bfloat16LNS0_11ScoringFuncE1EEEvPKT5_PKbPfiPT4_PiiiibPKf,comdat
.Lfunc_end338:
	.size	_ZN4vllm3moe10topkGatingILi8ELi8ELi4ELi16ELi32Ej14__hip_bfloat16LNS0_11ScoringFuncE1EEEvPKT5_PKbPfiPT4_PiiiibPKf, .Lfunc_end338-_ZN4vllm3moe10topkGatingILi8ELi8ELi4ELi16ELi32Ej14__hip_bfloat16LNS0_11ScoringFuncE1EEEvPKT5_PKbPfiPT4_PiiiibPKf
                                        ; -- End function
	.section	.AMDGPU.csdata,"",@progbits
; Kernel info:
; codeLenInByte = 2240
; NumSgprs: 19
; NumVgprs: 49
; ScratchSize: 0
; MemoryBound: 0
; FloatMode: 240
; IeeeMode: 1
; LDSByteSize: 0 bytes/workgroup (compile time only)
; SGPRBlocks: 2
; VGPRBlocks: 6
; NumSGPRsForWavesPerEU: 19
; NumVGPRsForWavesPerEU: 49
; Occupancy: 16
; WaveLimiterHint : 0
; COMPUTE_PGM_RSRC2:SCRATCH_EN: 0
; COMPUTE_PGM_RSRC2:USER_SGPR: 15
; COMPUTE_PGM_RSRC2:TRAP_HANDLER: 0
; COMPUTE_PGM_RSRC2:TGID_X_EN: 1
; COMPUTE_PGM_RSRC2:TGID_Y_EN: 0
; COMPUTE_PGM_RSRC2:TGID_Z_EN: 0
; COMPUTE_PGM_RSRC2:TIDIG_COMP_CNT: 1
	.section	.text._ZN4vllm3moe10topkGatingILi8ELi16ELi4ELi16ELi64Ej14__hip_bfloat16LNS0_11ScoringFuncE1EEEvPKT5_PKbPfiPT4_PiiiibPKf,"axG",@progbits,_ZN4vllm3moe10topkGatingILi8ELi16ELi4ELi16ELi64Ej14__hip_bfloat16LNS0_11ScoringFuncE1EEEvPKT5_PKbPfiPT4_PiiiibPKf,comdat
	.protected	_ZN4vllm3moe10topkGatingILi8ELi16ELi4ELi16ELi64Ej14__hip_bfloat16LNS0_11ScoringFuncE1EEEvPKT5_PKbPfiPT4_PiiiibPKf ; -- Begin function _ZN4vllm3moe10topkGatingILi8ELi16ELi4ELi16ELi64Ej14__hip_bfloat16LNS0_11ScoringFuncE1EEEvPKT5_PKbPfiPT4_PiiiibPKf
	.globl	_ZN4vllm3moe10topkGatingILi8ELi16ELi4ELi16ELi64Ej14__hip_bfloat16LNS0_11ScoringFuncE1EEEvPKT5_PKbPfiPT4_PiiiibPKf
	.p2align	8
	.type	_ZN4vllm3moe10topkGatingILi8ELi16ELi4ELi16ELi64Ej14__hip_bfloat16LNS0_11ScoringFuncE1EEEvPKT5_PKbPfiPT4_PiiiibPKf,@function
_ZN4vllm3moe10topkGatingILi8ELi16ELi4ELi16ELi64Ej14__hip_bfloat16LNS0_11ScoringFuncE1EEEvPKT5_PKbPfiPT4_PiiiibPKf: ; @_ZN4vllm3moe10topkGatingILi8ELi16ELi4ELi16ELi64Ej14__hip_bfloat16LNS0_11ScoringFuncE1EEEvPKT5_PKbPfiPT4_PiiiibPKf
; %bb.0:
	s_load_b32 s18, s[0:1], 0x18
	v_bfe_u32 v1, v0, 10, 10
	v_and_b32_e32 v0, 0x3ff, v0
	s_lshl_b32 s2, s15, 7
	s_delay_alu instid0(VALU_DEP_2) | instskip(NEXT) | instid1(VALU_DEP_2)
	v_lshlrev_b32_e32 v1, 5, v1
	v_lshrrev_b32_e32 v2, 1, v0
	s_delay_alu instid0(VALU_DEP_1) | instskip(SKIP_2) | instid1(VALU_DEP_1)
	v_add3_u32 v16, s2, v1, v2
	s_mov_b32 s2, exec_lo
	s_waitcnt lgkmcnt(0)
	v_cmpx_gt_i32_e64 s18, v16
	s_cbranch_execz .LBB339_25
; %bb.1:
	s_clause 0x1
	s_load_b128 s[4:7], s[0:1], 0x0
	s_load_b64 s[16:17], s[0:1], 0x10
	s_mov_b32 s9, -1
	s_mov_b32 s19, -1
	s_waitcnt lgkmcnt(0)
	s_cmp_eq_u64 s[6:7], 0
	s_cbranch_scc1 .LBB339_3
; %bb.2:
	v_ashrrev_i32_e32 v2, 31, v16
	v_add_co_u32 v1, vcc_lo, s6, v16
	s_delay_alu instid0(VALU_DEP_2) | instskip(SKIP_3) | instid1(VALU_DEP_1)
	v_add_co_ci_u32_e32 v2, vcc_lo, s7, v2, vcc_lo
	global_load_u8 v1, v[1:2], off
	s_waitcnt vmcnt(0)
	v_and_b32_e32 v1, 1, v1
	v_cmp_eq_u32_e32 vcc_lo, 1, v1
	s_xor_b32 s2, vcc_lo, -1
	s_delay_alu instid0(SALU_CYCLE_1)
	s_or_not1_b32 s19, s2, exec_lo
.LBB339_3:
	v_lshlrev_b32_e32 v1, 4, v16
	v_and_b32_e32 v17, 1, v0
	s_load_b64 s[10:11], s[0:1], 0x40
	s_delay_alu instid0(VALU_DEP_2) | instskip(NEXT) | instid1(VALU_DEP_1)
	v_ashrrev_i32_e32 v2, 31, v1
	v_lshlrev_b64 v[0:1], 1, v[1:2]
	s_delay_alu instid0(VALU_DEP_3) | instskip(NEXT) | instid1(VALU_DEP_2)
	v_lshlrev_b32_e32 v2, 4, v17
	v_add_co_u32 v0, vcc_lo, s4, v0
	s_delay_alu instid0(VALU_DEP_3) | instskip(NEXT) | instid1(VALU_DEP_2)
	v_add_co_ci_u32_e32 v1, vcc_lo, s5, v1, vcc_lo
	v_add_co_u32 v0, vcc_lo, v0, v2
	s_delay_alu instid0(VALU_DEP_2)
	v_add_co_ci_u32_e32 v1, vcc_lo, 0, v1, vcc_lo
	s_waitcnt lgkmcnt(0)
	s_cmp_eq_u64 s[10:11], 0
	global_load_b128 v[0:3], v[0:1], off
	s_waitcnt vmcnt(0)
	v_lshlrev_b32_e32 v5, 16, v1
	s_delay_alu instid0(VALU_DEP_1) | instskip(NEXT) | instid1(VALU_DEP_1)
	v_dual_mul_f32 v5, 0xbfb8aa3b, v5 :: v_dual_lshlrev_b32 v4, 16, v0
	v_mul_f32_e32 v4, 0xbfb8aa3b, v4
	s_delay_alu instid0(VALU_DEP_2) | instskip(NEXT) | instid1(VALU_DEP_1)
	v_exp_f32_e32 v5, v5
	v_exp_f32_e32 v4, v4
	v_and_b32_e32 v1, 0xffff0000, v1
	s_waitcnt_depctr 0xfff
	v_dual_add_f32 v5, 1.0, v5 :: v_dual_and_b32 v0, 0xffff0000, v0
	v_add_f32_e32 v4, 1.0, v4
	v_dual_mul_f32 v1, 0xbfb8aa3b, v1 :: v_dual_lshlrev_b32 v6, 16, v2
	s_delay_alu instid0(VALU_DEP_3) | instskip(NEXT) | instid1(VALU_DEP_4)
	v_dual_mul_f32 v0, 0xbfb8aa3b, v0 :: v_dual_lshlrev_b32 v7, 16, v3
	v_div_scale_f32 v12, null, v5, v5, 1.0
	s_delay_alu instid0(VALU_DEP_3) | instskip(SKIP_1) | instid1(VALU_DEP_3)
	v_exp_f32_e32 v1, v1
	v_and_b32_e32 v2, 0xffff0000, v2
	v_exp_f32_e32 v0, v0
	v_and_b32_e32 v3, 0xffff0000, v3
	v_dual_mul_f32 v6, 0xbfb8aa3b, v6 :: v_dual_mul_f32 v7, 0xbfb8aa3b, v7
	v_rcp_f32_e32 v28, v12
	v_div_scale_f32 v13, s3, 1.0, v5, 1.0
	s_delay_alu instid0(VALU_DEP_2) | instskip(SKIP_1) | instid1(TRANS32_DEP_3)
	v_exp_f32_e32 v6, v6
	v_dual_add_f32 v1, 1.0, v1 :: v_dual_mul_f32 v2, 0xbfb8aa3b, v2
	v_dual_add_f32 v0, 1.0, v0 :: v_dual_mul_f32 v3, 0xbfb8aa3b, v3
	v_lshlrev_b32_e32 v18, 3, v17
	v_exp_f32_e32 v7, v7
	s_delay_alu instid0(VALU_DEP_3) | instskip(NEXT) | instid1(VALU_DEP_2)
	v_exp_f32_e32 v2, v2
	v_div_scale_f32 v10, null, v0, v0, 1.0
	v_exp_f32_e32 v3, v3
	v_add_f32_e32 v6, 1.0, v6
	v_div_scale_f32 v14, null, v1, v1, 1.0
	s_delay_alu instid0(VALU_DEP_3) | instskip(SKIP_1) | instid1(TRANS32_DEP_3)
	v_rcp_f32_e32 v27, v10
	v_fma_f32 v37, -v12, v28, 1.0
	v_dual_add_f32 v7, 1.0, v7 :: v_dual_add_f32 v8, 1.0, v2
	v_div_scale_f32 v2, null, v4, v4, 1.0
	s_delay_alu instid0(TRANS32_DEP_2) | instskip(SKIP_1) | instid1(VALU_DEP_4)
	v_add_f32_e32 v9, 1.0, v3
	v_div_scale_f32 v19, null, v6, v6, 1.0
	v_div_scale_f32 v21, null, v8, v8, 1.0
	s_delay_alu instid0(VALU_DEP_4) | instskip(NEXT) | instid1(VALU_DEP_2)
	v_rcp_f32_e32 v26, v2
	v_rcp_f32_e32 v30, v19
	;; [unrolled: 1-line block ×3, first 2 shown]
	s_delay_alu instid0(VALU_DEP_1)
	v_rcp_f32_e32 v31, v21
	v_div_scale_f32 v23, null, v7, v7, 1.0
	v_fma_f32 v36, -v10, v27, 1.0
	v_div_scale_f32 v3, vcc_lo, 1.0, v4, 1.0
	v_div_scale_f32 v11, s2, 1.0, v0, 1.0
	v_fma_f32 v35, -v2, v26, 1.0
	s_delay_alu instid0(TRANS32_DEP_3) | instskip(NEXT) | instid1(TRANS32_DEP_1)
	v_fma_f32 v39, -v19, v30, 1.0
	v_fma_f32 v40, -v21, v31, 1.0
	s_delay_alu instid0(TRANS32_DEP_2) | instskip(SKIP_3) | instid1(VALU_DEP_3)
	v_fma_f32 v38, -v14, v29, 1.0
	v_div_scale_f32 v25, null, v9, v9, 1.0
	v_dual_fmac_f32 v26, v35, v26 :: v_dual_fmac_f32 v27, v36, v27
	v_rcp_f32_e32 v32, v23
	v_dual_fmac_f32 v28, v37, v28 :: v_dual_fmac_f32 v29, v38, v29
	v_div_scale_f32 v22, s6, 1.0, v8, 1.0
	v_dual_fmac_f32 v30, v39, v30 :: v_dual_fmac_f32 v31, v40, v31
	v_mul_f32_e32 v35, v3, v26
	v_div_scale_f32 v15, s4, 1.0, v1, 1.0
	v_rcp_f32_e32 v33, v25
	s_delay_alu instid0(VALU_DEP_3)
	v_mul_f32_e32 v40, v22, v31
	v_dual_mul_f32 v36, v11, v27 :: v_dual_mul_f32 v37, v13, v28
	v_div_scale_f32 v20, s5, 1.0, v6, 1.0
	v_fma_f32 v43, -v2, v35, v3
	v_mul_f32_e32 v38, v15, v29
	v_fma_f32 v41, -v23, v32, 1.0
	s_delay_alu instid0(VALU_DEP_4)
	v_mul_f32_e32 v39, v20, v30
	v_fma_f32 v44, -v10, v36, v11
	v_fma_f32 v45, -v12, v37, v13
	v_fmac_f32_e32 v35, v43, v26
	v_fma_f32 v46, -v14, v38, v15
	v_div_scale_f32 v24, s7, 1.0, v7, 1.0
	v_fmac_f32_e32 v36, v44, v27
	v_fma_f32 v42, -v25, v33, 1.0
	v_fmac_f32_e32 v32, v41, v32
	v_fma_f32 v47, -v19, v39, v20
	v_dual_fmac_f32 v37, v45, v28 :: v_dual_fmac_f32 v38, v46, v29
	v_fma_f32 v48, -v21, v40, v22
	v_fma_f32 v2, -v2, v35, v3
	v_div_scale_f32 v34, s8, 1.0, v9, 1.0
	v_fmac_f32_e32 v33, v42, v33
	v_mul_f32_e32 v41, v24, v32
	v_fma_f32 v3, -v10, v36, v11
	v_dual_fmac_f32 v39, v47, v30 :: v_dual_fmac_f32 v40, v48, v31
	v_fma_f32 v10, -v12, v37, v13
	v_div_fmas_f32 v2, v2, v26, v35
	s_mov_b32 vcc_lo, s2
	v_fma_f32 v11, -v14, v38, v15
	v_mul_f32_e32 v42, v34, v33
	v_fma_f32 v49, -v23, v41, v24
	v_div_fmas_f32 v3, v3, v27, v36
	s_mov_b32 vcc_lo, s3
	v_fma_f32 v12, -v19, v39, v20
	v_div_fmas_f32 v10, v10, v28, v37
	s_mov_b32 vcc_lo, s4
	v_fma_f32 v13, -v21, v40, v22
	v_div_fixup_f32 v2, v2, v4, 1.0
	v_div_fmas_f32 v4, v11, v29, v38
	s_mov_b32 vcc_lo, s5
	v_fma_f32 v50, -v25, v42, v34
	v_fmac_f32_e32 v41, v49, v32
	v_div_fmas_f32 v11, v12, v30, v39
	s_mov_b32 vcc_lo, s6
	v_div_fixup_f32 v5, v10, v5, 1.0
	v_fmac_f32_e32 v42, v50, v33
	v_div_fmas_f32 v10, v13, v31, v40
	v_cmp_class_f32_e64 vcc_lo, v2, 0x1f8
	v_fma_f32 v14, -v23, v41, v24
	v_div_fixup_f32 v3, v3, v0, 1.0
	v_fma_f32 v15, -v25, v42, v34
	v_div_fixup_f32 v4, v4, v1, 1.0
	v_cndmask_b32_e32 v0, 0, v2, vcc_lo
	s_mov_b32 vcc_lo, s7
	v_div_fixup_f32 v6, v11, v6, 1.0
	v_div_fmas_f32 v12, v14, v32, v41
	v_cmp_class_f32_e64 vcc_lo, v3, 0x1f8
	s_delay_alu instid0(VALU_DEP_2)
	v_div_fixup_f32 v7, v12, v7, 1.0
	v_cndmask_b32_e32 v1, 0, v3, vcc_lo
	s_mov_b32 vcc_lo, s8
	v_div_fmas_f32 v11, v15, v33, v42
	v_cmp_class_f32_e64 vcc_lo, v5, 0x1f8
	v_cndmask_b32_e32 v2, 0, v5, vcc_lo
	v_cmp_class_f32_e64 vcc_lo, v4, 0x1f8
	v_div_fixup_f32 v5, v10, v8, 1.0
	v_div_fixup_f32 v8, v11, v9, 1.0
	v_cndmask_b32_e32 v3, 0, v4, vcc_lo
	v_cmp_class_f32_e64 vcc_lo, v6, 0x1f8
	v_cndmask_b32_e32 v4, 0, v6, vcc_lo
	v_cmp_class_f32_e64 vcc_lo, v5, 0x1f8
	;; [unrolled: 2-line block ×4, first 2 shown]
	v_cndmask_b32_e32 v7, 0, v8, vcc_lo
	s_cbranch_scc1 .LBB339_19
; %bb.4:
	v_lshlrev_b32_e32 v12, 2, v18
	s_clause 0x1
	global_load_b128 v[8:11], v12, s[10:11]
	global_load_b128 v[12:15], v12, s[10:11] offset:16
	s_waitcnt vmcnt(1)
	v_dual_add_f32 v9, v9, v1 :: v_dual_add_f32 v8, v8, v0
	v_dual_add_f32 v11, v11, v3 :: v_dual_add_f32 v10, v10, v2
	s_waitcnt vmcnt(0)
	v_dual_add_f32 v13, v13, v5 :: v_dual_add_f32 v12, v12, v4
	v_dual_add_f32 v15, v15, v7 :: v_dual_add_f32 v14, v14, v6
	s_cbranch_execnz .LBB339_6
.LBB339_5:
	v_dual_mov_b32 v15, v7 :: v_dual_mov_b32 v14, v6
	v_dual_mov_b32 v13, v5 :: v_dual_mov_b32 v12, v4
	;; [unrolled: 1-line block ×4, first 2 shown]
.LBB339_6:
	s_load_b128 s[8:11], s[0:1], 0x30
	v_cmp_eq_u32_e64 s2, 0, v17
	s_mov_b32 s6, 0
	s_waitcnt lgkmcnt(0)
	s_bitcmp1_b32 s11, 0
	s_cselect_b32 vcc_lo, -1, 0
	s_cmp_gt_i32 s8, 0
	s_cselect_b32 s5, -1, 0
	s_cmp_lt_i32 s8, 1
	s_cbranch_scc1 .LBB339_20
; %bb.7:
	v_mbcnt_lo_u32_b32 v19, -1, 0
	s_load_b128 s[12:15], s[0:1], 0x20
	v_mov_b32_e32 v22, v16
	s_delay_alu instid0(VALU_DEP_2) | instskip(SKIP_1) | instid1(VALU_DEP_2)
	v_and_b32_e32 v20, 30, v19
	v_xor_b32_e32 v21, 1, v19
	v_add_nc_u32_e32 v20, 2, v20
	s_delay_alu instid0(VALU_DEP_1) | instskip(SKIP_1) | instid1(VALU_DEP_2)
	v_cmp_lt_i32_e64 s0, v21, v20
	v_mul_lo_u32 v20, v16, s8
	v_cndmask_b32_e64 v21, v19, v21, s0
	v_mov_b32_e32 v19, 0
	s_delay_alu instid0(VALU_DEP_2)
	v_lshlrev_b32_e32 v21, 2, v21
	s_branch .LBB339_10
.LBB339_8:                              ;   in Loop: Header=BB339_10 Depth=1
	s_or_b32 exec_lo, exec_lo, s1
.LBB339_9:                              ;   in Loop: Header=BB339_10 Depth=1
	v_add_nc_u32_e32 v22, s18, v22
	s_cmp_eq_u32 s8, s6
	s_cbranch_scc1 .LBB339_21
.LBB339_10:                             ; =>This Inner Loop Header: Depth=1
	v_cmp_gt_f32_e64 s0, v9, v8
	s_delay_alu instid0(VALU_DEP_1) | instskip(SKIP_2) | instid1(VALU_DEP_3)
	v_cndmask_b32_e64 v24, v8, v9, s0
	v_cndmask_b32_e64 v23, 0, 1, s0
	;; [unrolled: 1-line block ×3, first 2 shown]
	v_cmp_gt_f32_e64 s1, v10, v24
	s_delay_alu instid0(VALU_DEP_1) | instskip(NEXT) | instid1(VALU_DEP_4)
	v_cndmask_b32_e64 v24, v24, v10, s1
	v_cndmask_b32_e64 v23, v23, 2, s1
	s_delay_alu instid0(VALU_DEP_4) | instskip(NEXT) | instid1(VALU_DEP_3)
	v_cndmask_b32_e64 v25, v25, v2, s1
	v_cmp_gt_f32_e64 s3, v11, v24
	s_delay_alu instid0(VALU_DEP_1) | instskip(NEXT) | instid1(VALU_DEP_4)
	v_cndmask_b32_e64 v24, v24, v11, s3
	v_cndmask_b32_e64 v23, v23, 3, s3
	s_delay_alu instid0(VALU_DEP_4) | instskip(NEXT) | instid1(VALU_DEP_3)
	v_cndmask_b32_e64 v25, v25, v3, s3
	v_cmp_gt_f32_e64 s4, v12, v24
	s_delay_alu instid0(VALU_DEP_1) | instskip(NEXT) | instid1(VALU_DEP_4)
	v_cndmask_b32_e64 v24, v24, v12, s4
	v_cndmask_b32_e64 v23, v23, 4, s4
	s_delay_alu instid0(VALU_DEP_4) | instskip(SKIP_1) | instid1(VALU_DEP_3)
	v_cndmask_b32_e64 v25, v25, v4, s4
	s_mov_b32 s4, exec_lo
	v_cmp_gt_f32_e64 s0, v13, v24
	s_delay_alu instid0(VALU_DEP_1) | instskip(SKIP_2) | instid1(VALU_DEP_3)
	v_cndmask_b32_e64 v24, v24, v13, s0
	v_cndmask_b32_e64 v23, v23, 5, s0
	;; [unrolled: 1-line block ×3, first 2 shown]
	v_cmp_gt_f32_e64 s1, v14, v24
	s_delay_alu instid0(VALU_DEP_1) | instskip(NEXT) | instid1(VALU_DEP_4)
	v_cndmask_b32_e64 v24, v24, v14, s1
	v_cndmask_b32_e64 v23, v23, 6, s1
	s_delay_alu instid0(VALU_DEP_4) | instskip(NEXT) | instid1(VALU_DEP_3)
	v_cndmask_b32_e64 v25, v25, v6, s1
	v_cmp_gt_f32_e64 s0, v15, v24
	s_delay_alu instid0(VALU_DEP_1) | instskip(SKIP_1) | instid1(VALU_DEP_4)
	v_cndmask_b32_e64 v23, v23, 7, s0
	v_cndmask_b32_e64 v27, v24, v15, s0
	;; [unrolled: 1-line block ×3, first 2 shown]
	s_delay_alu instid0(VALU_DEP_3)
	v_or_b32_e32 v23, v18, v23
	ds_bpermute_b32 v28, v21, v27
	ds_bpermute_b32 v25, v21, v24
	;; [unrolled: 1-line block ×3, first 2 shown]
	s_waitcnt lgkmcnt(0)
	v_cmp_lt_f32_e64 s3, v27, v28
	v_cmpx_nlt_f32_e32 v27, v28
	s_cbranch_execnz .LBB339_14
; %bb.11:                               ;   in Loop: Header=BB339_10 Depth=1
	s_or_b32 exec_lo, exec_lo, s4
	s_delay_alu instid0(VALU_DEP_2)
	s_and_saveexec_b32 s0, s3
	s_cbranch_execnz .LBB339_15
.LBB339_12:                             ;   in Loop: Header=BB339_10 Depth=1
	s_or_b32 exec_lo, exec_lo, s0
	s_and_saveexec_b32 s3, s2
	s_cbranch_execnz .LBB339_16
.LBB339_13:                             ;   in Loop: Header=BB339_10 Depth=1
	s_or_b32 exec_lo, exec_lo, s3
	s_add_i32 s6, s6, 1
	s_delay_alu instid0(SALU_CYCLE_1)
	s_cmp_ge_i32 s6, s8
	s_cbranch_scc1 .LBB339_9
	s_branch .LBB339_17
.LBB339_14:                             ;   in Loop: Header=BB339_10 Depth=1
	v_cmp_eq_f32_e64 s0, v27, v28
	v_cmp_lt_i32_e64 s1, v26, v23
	s_delay_alu instid0(VALU_DEP_1) | instskip(SKIP_2) | instid1(SALU_CYCLE_1)
	s_and_b32 s0, s0, s1
	s_and_not1_b32 s1, s3, exec_lo
	s_and_b32 s0, s0, exec_lo
	s_or_b32 s3, s1, s0
	s_or_b32 exec_lo, exec_lo, s4
	s_and_saveexec_b32 s0, s3
	s_cbranch_execz .LBB339_12
.LBB339_15:                             ;   in Loop: Header=BB339_10 Depth=1
	v_dual_mov_b32 v23, v26 :: v_dual_mov_b32 v24, v25
	s_or_b32 exec_lo, exec_lo, s0
	s_and_saveexec_b32 s3, s2
	s_cbranch_execz .LBB339_13
.LBB339_16:                             ;   in Loop: Header=BB339_10 Depth=1
	v_add_nc_u32_e32 v25, s6, v20
	v_cmp_le_i32_e64 s0, s9, v23
	v_cmp_gt_i32_e64 s1, s10, v23
	v_subrev_nc_u32_e32 v27, s9, v23
	v_add_f32_e32 v32, v19, v24
	v_ashrrev_i32_e32 v26, 31, v25
	s_delay_alu instid0(VALU_DEP_4) | instskip(NEXT) | instid1(SALU_CYCLE_1)
	s_and_b32 s0, s0, s1
	s_and_b32 s0, s19, s0
	s_delay_alu instid0(VALU_DEP_1) | instskip(SKIP_2) | instid1(VALU_DEP_3)
	v_lshlrev_b64 v[25:26], 2, v[25:26]
	v_cndmask_b32_e64 v31, 16, v27, s0
	v_cndmask_b32_e32 v19, v19, v32, vcc_lo
	v_add_co_u32 v27, s0, s16, v25
	s_delay_alu instid0(VALU_DEP_1) | instskip(SKIP_1) | instid1(VALU_DEP_1)
	v_add_co_ci_u32_e64 v28, s0, s17, v26, s0
	v_add_co_u32 v29, s0, s12, v25
	v_add_co_ci_u32_e64 v30, s0, s13, v26, s0
	v_add_co_u32 v25, s0, s14, v25
	s_delay_alu instid0(VALU_DEP_1)
	v_add_co_ci_u32_e64 v26, s0, s15, v26, s0
	global_store_b32 v[27:28], v24, off
	global_store_b32 v[29:30], v31, off
	global_store_b32 v[25:26], v22, off
	s_or_b32 exec_lo, exec_lo, s3
	s_add_i32 s6, s6, 1
	s_delay_alu instid0(SALU_CYCLE_1)
	s_cmp_ge_i32 s6, s8
	s_cbranch_scc1 .LBB339_9
.LBB339_17:                             ;   in Loop: Header=BB339_10 Depth=1
	v_ashrrev_i32_e32 v25, 31, v23
	s_mov_b32 s1, exec_lo
	s_delay_alu instid0(VALU_DEP_1) | instskip(NEXT) | instid1(VALU_DEP_1)
	v_lshrrev_b32_e32 v24, 29, v25
	v_add_nc_u32_e32 v26, v23, v24
	s_delay_alu instid0(VALU_DEP_1) | instskip(SKIP_1) | instid1(VALU_DEP_1)
	v_ashrrev_i32_e32 v24, 3, v26
	v_lshrrev_b32_e32 v26, 31, v26
	v_add_nc_u32_e32 v26, v24, v26
	s_delay_alu instid0(VALU_DEP_1) | instskip(NEXT) | instid1(VALU_DEP_1)
	v_and_b32_e32 v26, -2, v26
	v_sub_nc_u32_e32 v26, v24, v26
	s_delay_alu instid0(VALU_DEP_1)
	v_cmpx_eq_u32_e64 v17, v26
	s_cbranch_execz .LBB339_8
; %bb.18:                               ;   in Loop: Header=BB339_10 Depth=1
	v_lshrrev_b32_e32 v25, 28, v25
	v_lshlrev_b32_e32 v24, 3, v24
	s_delay_alu instid0(VALU_DEP_2) | instskip(NEXT) | instid1(VALU_DEP_2)
	v_add_nc_u32_e32 v25, v23, v25
	v_sub_nc_u32_e32 v23, v23, v24
	s_delay_alu instid0(VALU_DEP_2) | instskip(NEXT) | instid1(VALU_DEP_1)
	v_ashrrev_i32_e32 v24, 4, v25
	v_lshl_add_u32 v23, v24, 3, v23
	s_delay_alu instid0(VALU_DEP_1) | instskip(NEXT) | instid1(VALU_DEP_1)
	v_cmp_ne_u32_e64 s0, 7, v23
	v_cndmask_b32_e64 v15, 0xc61c4000, v15, s0
	v_cmp_ne_u32_e64 s0, 6, v23
	s_delay_alu instid0(VALU_DEP_1) | instskip(SKIP_1) | instid1(VALU_DEP_1)
	v_cndmask_b32_e64 v14, 0xc61c4000, v14, s0
	v_cmp_ne_u32_e64 s0, 5, v23
	v_cndmask_b32_e64 v13, 0xc61c4000, v13, s0
	v_cmp_ne_u32_e64 s0, 4, v23
	s_delay_alu instid0(VALU_DEP_1) | instskip(SKIP_1) | instid1(VALU_DEP_1)
	v_cndmask_b32_e64 v12, 0xc61c4000, v12, s0
	;; [unrolled: 5-line block ×3, first 2 shown]
	v_cmp_ne_u32_e64 s0, 1, v23
	v_cndmask_b32_e64 v9, 0xc61c4000, v9, s0
	v_cmp_ne_u32_e64 s0, 0, v23
	s_delay_alu instid0(VALU_DEP_1)
	v_cndmask_b32_e64 v8, 0xc61c4000, v8, s0
	s_branch .LBB339_8
.LBB339_19:
                                        ; implicit-def: $vgpr8_vgpr9_vgpr10_vgpr11_vgpr12_vgpr13_vgpr14_vgpr15
	s_and_not1_b32 vcc_lo, exec_lo, s9
	s_cbranch_vccz .LBB339_5
	s_branch .LBB339_6
.LBB339_20:
	v_mov_b32_e32 v19, 0
.LBB339_21:
	v_cmp_eq_u32_e64 s0, 0, v17
	s_delay_alu instid0(VALU_DEP_1) | instskip(NEXT) | instid1(SALU_CYCLE_1)
	s_and_b32 s0, s0, vcc_lo
	s_and_b32 exec_lo, exec_lo, s0
	s_cbranch_execz .LBB339_25
; %bb.22:
	s_and_not1_b32 vcc_lo, exec_lo, s5
	s_cbranch_vccnz .LBB339_25
; %bb.23:
	v_mul_lo_u32 v0, v16, s8
	v_cmp_lt_f32_e32 vcc_lo, 0, v19
	v_cndmask_b32_e32 v2, 1.0, v19, vcc_lo
	s_delay_alu instid0(VALU_DEP_3) | instskip(NEXT) | instid1(VALU_DEP_1)
	v_ashrrev_i32_e32 v1, 31, v0
	v_lshlrev_b64 v[0:1], 2, v[0:1]
	s_delay_alu instid0(VALU_DEP_1) | instskip(NEXT) | instid1(VALU_DEP_2)
	v_add_co_u32 v0, vcc_lo, s16, v0
	v_add_co_ci_u32_e32 v1, vcc_lo, s17, v1, vcc_lo
	.p2align	6
.LBB339_24:                             ; =>This Inner Loop Header: Depth=1
	global_load_b32 v3, v[0:1], off
	s_add_i32 s8, s8, -1
	s_delay_alu instid0(SALU_CYCLE_1) | instskip(SKIP_3) | instid1(VALU_DEP_2)
	s_cmp_lg_u32 s8, 0
	s_waitcnt vmcnt(0)
	v_div_scale_f32 v4, null, v2, v2, v3
	v_div_scale_f32 v7, vcc_lo, v3, v2, v3
	v_rcp_f32_e32 v5, v4
	s_waitcnt_depctr 0xfff
	v_fma_f32 v6, -v4, v5, 1.0
	s_delay_alu instid0(VALU_DEP_1) | instskip(NEXT) | instid1(VALU_DEP_1)
	v_fmac_f32_e32 v5, v6, v5
	v_mul_f32_e32 v6, v7, v5
	s_delay_alu instid0(VALU_DEP_1) | instskip(NEXT) | instid1(VALU_DEP_1)
	v_fma_f32 v8, -v4, v6, v7
	v_fmac_f32_e32 v6, v8, v5
	s_delay_alu instid0(VALU_DEP_1) | instskip(NEXT) | instid1(VALU_DEP_1)
	v_fma_f32 v4, -v4, v6, v7
	v_div_fmas_f32 v4, v4, v5, v6
	s_delay_alu instid0(VALU_DEP_1)
	v_div_fixup_f32 v3, v4, v2, v3
	global_store_b32 v[0:1], v3, off
	v_add_co_u32 v0, vcc_lo, v0, 4
	v_add_co_ci_u32_e32 v1, vcc_lo, 0, v1, vcc_lo
	s_cbranch_scc1 .LBB339_24
.LBB339_25:
	s_nop 0
	s_sendmsg sendmsg(MSG_DEALLOC_VGPRS)
	s_endpgm
	.section	.rodata,"a",@progbits
	.p2align	6, 0x0
	.amdhsa_kernel _ZN4vllm3moe10topkGatingILi8ELi16ELi4ELi16ELi64Ej14__hip_bfloat16LNS0_11ScoringFuncE1EEEvPKT5_PKbPfiPT4_PiiiibPKf
		.amdhsa_group_segment_fixed_size 0
		.amdhsa_private_segment_fixed_size 0
		.amdhsa_kernarg_size 72
		.amdhsa_user_sgpr_count 15
		.amdhsa_user_sgpr_dispatch_ptr 0
		.amdhsa_user_sgpr_queue_ptr 0
		.amdhsa_user_sgpr_kernarg_segment_ptr 1
		.amdhsa_user_sgpr_dispatch_id 0
		.amdhsa_user_sgpr_private_segment_size 0
		.amdhsa_wavefront_size32 1
		.amdhsa_uses_dynamic_stack 0
		.amdhsa_enable_private_segment 0
		.amdhsa_system_sgpr_workgroup_id_x 1
		.amdhsa_system_sgpr_workgroup_id_y 0
		.amdhsa_system_sgpr_workgroup_id_z 0
		.amdhsa_system_sgpr_workgroup_info 0
		.amdhsa_system_vgpr_workitem_id 1
		.amdhsa_next_free_vgpr 51
		.amdhsa_next_free_sgpr 20
		.amdhsa_reserve_vcc 1
		.amdhsa_float_round_mode_32 0
		.amdhsa_float_round_mode_16_64 0
		.amdhsa_float_denorm_mode_32 3
		.amdhsa_float_denorm_mode_16_64 3
		.amdhsa_dx10_clamp 1
		.amdhsa_ieee_mode 1
		.amdhsa_fp16_overflow 0
		.amdhsa_workgroup_processor_mode 1
		.amdhsa_memory_ordered 1
		.amdhsa_forward_progress 0
		.amdhsa_shared_vgpr_count 0
		.amdhsa_exception_fp_ieee_invalid_op 0
		.amdhsa_exception_fp_denorm_src 0
		.amdhsa_exception_fp_ieee_div_zero 0
		.amdhsa_exception_fp_ieee_overflow 0
		.amdhsa_exception_fp_ieee_underflow 0
		.amdhsa_exception_fp_ieee_inexact 0
		.amdhsa_exception_int_div_zero 0
	.end_amdhsa_kernel
	.section	.text._ZN4vllm3moe10topkGatingILi8ELi16ELi4ELi16ELi64Ej14__hip_bfloat16LNS0_11ScoringFuncE1EEEvPKT5_PKbPfiPT4_PiiiibPKf,"axG",@progbits,_ZN4vllm3moe10topkGatingILi8ELi16ELi4ELi16ELi64Ej14__hip_bfloat16LNS0_11ScoringFuncE1EEEvPKT5_PKbPfiPT4_PiiiibPKf,comdat
.Lfunc_end339:
	.size	_ZN4vllm3moe10topkGatingILi8ELi16ELi4ELi16ELi64Ej14__hip_bfloat16LNS0_11ScoringFuncE1EEEvPKT5_PKbPfiPT4_PiiiibPKf, .Lfunc_end339-_ZN4vllm3moe10topkGatingILi8ELi16ELi4ELi16ELi64Ej14__hip_bfloat16LNS0_11ScoringFuncE1EEEvPKT5_PKbPfiPT4_PiiiibPKf
                                        ; -- End function
	.section	.AMDGPU.csdata,"",@progbits
; Kernel info:
; codeLenInByte = 2620
; NumSgprs: 22
; NumVgprs: 51
; ScratchSize: 0
; MemoryBound: 0
; FloatMode: 240
; IeeeMode: 1
; LDSByteSize: 0 bytes/workgroup (compile time only)
; SGPRBlocks: 2
; VGPRBlocks: 6
; NumSGPRsForWavesPerEU: 22
; NumVGPRsForWavesPerEU: 51
; Occupancy: 16
; WaveLimiterHint : 0
; COMPUTE_PGM_RSRC2:SCRATCH_EN: 0
; COMPUTE_PGM_RSRC2:USER_SGPR: 15
; COMPUTE_PGM_RSRC2:TRAP_HANDLER: 0
; COMPUTE_PGM_RSRC2:TGID_X_EN: 1
; COMPUTE_PGM_RSRC2:TGID_Y_EN: 0
; COMPUTE_PGM_RSRC2:TGID_Z_EN: 0
; COMPUTE_PGM_RSRC2:TIDIG_COMP_CNT: 1
	.section	.text._ZN4vllm3moe10topkGatingILi8ELi16ELi4ELi16ELi32Ej14__hip_bfloat16LNS0_11ScoringFuncE1EEEvPKT5_PKbPfiPT4_PiiiibPKf,"axG",@progbits,_ZN4vllm3moe10topkGatingILi8ELi16ELi4ELi16ELi32Ej14__hip_bfloat16LNS0_11ScoringFuncE1EEEvPKT5_PKbPfiPT4_PiiiibPKf,comdat
	.protected	_ZN4vllm3moe10topkGatingILi8ELi16ELi4ELi16ELi32Ej14__hip_bfloat16LNS0_11ScoringFuncE1EEEvPKT5_PKbPfiPT4_PiiiibPKf ; -- Begin function _ZN4vllm3moe10topkGatingILi8ELi16ELi4ELi16ELi32Ej14__hip_bfloat16LNS0_11ScoringFuncE1EEEvPKT5_PKbPfiPT4_PiiiibPKf
	.globl	_ZN4vllm3moe10topkGatingILi8ELi16ELi4ELi16ELi32Ej14__hip_bfloat16LNS0_11ScoringFuncE1EEEvPKT5_PKbPfiPT4_PiiiibPKf
	.p2align	8
	.type	_ZN4vllm3moe10topkGatingILi8ELi16ELi4ELi16ELi32Ej14__hip_bfloat16LNS0_11ScoringFuncE1EEEvPKT5_PKbPfiPT4_PiiiibPKf,@function
_ZN4vllm3moe10topkGatingILi8ELi16ELi4ELi16ELi32Ej14__hip_bfloat16LNS0_11ScoringFuncE1EEEvPKT5_PKbPfiPT4_PiiiibPKf: ; @_ZN4vllm3moe10topkGatingILi8ELi16ELi4ELi16ELi32Ej14__hip_bfloat16LNS0_11ScoringFuncE1EEEvPKT5_PKbPfiPT4_PiiiibPKf
; %bb.0:
	s_load_b32 s18, s[0:1], 0x18
	v_bfe_u32 v1, v0, 10, 10
	v_and_b32_e32 v0, 0x3ff, v0
	s_lshl_b32 s2, s15, 6
	s_delay_alu instid0(VALU_DEP_2) | instskip(NEXT) | instid1(VALU_DEP_2)
	v_lshlrev_b32_e32 v1, 4, v1
	v_lshrrev_b32_e32 v2, 1, v0
	s_delay_alu instid0(VALU_DEP_1) | instskip(SKIP_2) | instid1(VALU_DEP_1)
	v_add3_u32 v16, s2, v1, v2
	s_mov_b32 s2, exec_lo
	s_waitcnt lgkmcnt(0)
	v_cmpx_gt_i32_e64 s18, v16
	s_cbranch_execz .LBB340_25
; %bb.1:
	s_clause 0x1
	s_load_b128 s[4:7], s[0:1], 0x0
	s_load_b64 s[16:17], s[0:1], 0x10
	s_mov_b32 s9, -1
	s_mov_b32 s19, -1
	s_waitcnt lgkmcnt(0)
	s_cmp_eq_u64 s[6:7], 0
	s_cbranch_scc1 .LBB340_3
; %bb.2:
	v_ashrrev_i32_e32 v2, 31, v16
	v_add_co_u32 v1, vcc_lo, s6, v16
	s_delay_alu instid0(VALU_DEP_2) | instskip(SKIP_3) | instid1(VALU_DEP_1)
	v_add_co_ci_u32_e32 v2, vcc_lo, s7, v2, vcc_lo
	global_load_u8 v1, v[1:2], off
	s_waitcnt vmcnt(0)
	v_and_b32_e32 v1, 1, v1
	v_cmp_eq_u32_e32 vcc_lo, 1, v1
	s_xor_b32 s2, vcc_lo, -1
	s_delay_alu instid0(SALU_CYCLE_1)
	s_or_not1_b32 s19, s2, exec_lo
.LBB340_3:
	v_lshlrev_b32_e32 v1, 4, v16
	v_and_b32_e32 v17, 1, v0
	s_load_b64 s[10:11], s[0:1], 0x40
	s_delay_alu instid0(VALU_DEP_2) | instskip(NEXT) | instid1(VALU_DEP_1)
	v_ashrrev_i32_e32 v2, 31, v1
	v_lshlrev_b64 v[0:1], 1, v[1:2]
	s_delay_alu instid0(VALU_DEP_3) | instskip(NEXT) | instid1(VALU_DEP_2)
	v_lshlrev_b32_e32 v2, 4, v17
	v_add_co_u32 v0, vcc_lo, s4, v0
	s_delay_alu instid0(VALU_DEP_3) | instskip(NEXT) | instid1(VALU_DEP_2)
	v_add_co_ci_u32_e32 v1, vcc_lo, s5, v1, vcc_lo
	v_add_co_u32 v0, vcc_lo, v0, v2
	s_delay_alu instid0(VALU_DEP_2)
	v_add_co_ci_u32_e32 v1, vcc_lo, 0, v1, vcc_lo
	s_waitcnt lgkmcnt(0)
	s_cmp_eq_u64 s[10:11], 0
	global_load_b128 v[0:3], v[0:1], off
	s_waitcnt vmcnt(0)
	v_lshlrev_b32_e32 v5, 16, v1
	s_delay_alu instid0(VALU_DEP_1) | instskip(NEXT) | instid1(VALU_DEP_1)
	v_dual_mul_f32 v5, 0xbfb8aa3b, v5 :: v_dual_lshlrev_b32 v4, 16, v0
	v_mul_f32_e32 v4, 0xbfb8aa3b, v4
	s_delay_alu instid0(VALU_DEP_2) | instskip(NEXT) | instid1(VALU_DEP_1)
	v_exp_f32_e32 v5, v5
	v_exp_f32_e32 v4, v4
	v_and_b32_e32 v1, 0xffff0000, v1
	s_waitcnt_depctr 0xfff
	v_dual_add_f32 v5, 1.0, v5 :: v_dual_and_b32 v0, 0xffff0000, v0
	v_add_f32_e32 v4, 1.0, v4
	v_dual_mul_f32 v1, 0xbfb8aa3b, v1 :: v_dual_lshlrev_b32 v6, 16, v2
	s_delay_alu instid0(VALU_DEP_3) | instskip(NEXT) | instid1(VALU_DEP_4)
	v_dual_mul_f32 v0, 0xbfb8aa3b, v0 :: v_dual_lshlrev_b32 v7, 16, v3
	v_div_scale_f32 v12, null, v5, v5, 1.0
	s_delay_alu instid0(VALU_DEP_3) | instskip(SKIP_1) | instid1(VALU_DEP_3)
	v_exp_f32_e32 v1, v1
	v_and_b32_e32 v2, 0xffff0000, v2
	v_exp_f32_e32 v0, v0
	v_and_b32_e32 v3, 0xffff0000, v3
	v_dual_mul_f32 v6, 0xbfb8aa3b, v6 :: v_dual_mul_f32 v7, 0xbfb8aa3b, v7
	v_rcp_f32_e32 v28, v12
	v_div_scale_f32 v13, s3, 1.0, v5, 1.0
	s_delay_alu instid0(VALU_DEP_2) | instskip(SKIP_1) | instid1(TRANS32_DEP_3)
	v_exp_f32_e32 v6, v6
	v_dual_add_f32 v1, 1.0, v1 :: v_dual_mul_f32 v2, 0xbfb8aa3b, v2
	v_dual_add_f32 v0, 1.0, v0 :: v_dual_mul_f32 v3, 0xbfb8aa3b, v3
	v_lshlrev_b32_e32 v18, 3, v17
	v_exp_f32_e32 v7, v7
	s_delay_alu instid0(VALU_DEP_3) | instskip(NEXT) | instid1(VALU_DEP_2)
	v_exp_f32_e32 v2, v2
	v_div_scale_f32 v10, null, v0, v0, 1.0
	v_exp_f32_e32 v3, v3
	v_add_f32_e32 v6, 1.0, v6
	v_div_scale_f32 v14, null, v1, v1, 1.0
	s_delay_alu instid0(VALU_DEP_3) | instskip(SKIP_1) | instid1(TRANS32_DEP_3)
	v_rcp_f32_e32 v27, v10
	v_fma_f32 v37, -v12, v28, 1.0
	v_dual_add_f32 v7, 1.0, v7 :: v_dual_add_f32 v8, 1.0, v2
	v_div_scale_f32 v2, null, v4, v4, 1.0
	s_delay_alu instid0(TRANS32_DEP_2) | instskip(SKIP_1) | instid1(VALU_DEP_4)
	v_add_f32_e32 v9, 1.0, v3
	v_div_scale_f32 v19, null, v6, v6, 1.0
	v_div_scale_f32 v21, null, v8, v8, 1.0
	s_delay_alu instid0(VALU_DEP_4) | instskip(NEXT) | instid1(VALU_DEP_2)
	v_rcp_f32_e32 v26, v2
	v_rcp_f32_e32 v30, v19
	;; [unrolled: 1-line block ×3, first 2 shown]
	s_delay_alu instid0(VALU_DEP_1)
	v_rcp_f32_e32 v31, v21
	v_div_scale_f32 v23, null, v7, v7, 1.0
	v_fma_f32 v36, -v10, v27, 1.0
	v_div_scale_f32 v3, vcc_lo, 1.0, v4, 1.0
	v_div_scale_f32 v11, s2, 1.0, v0, 1.0
	v_fma_f32 v35, -v2, v26, 1.0
	s_delay_alu instid0(TRANS32_DEP_3) | instskip(NEXT) | instid1(TRANS32_DEP_1)
	v_fma_f32 v39, -v19, v30, 1.0
	v_fma_f32 v40, -v21, v31, 1.0
	s_delay_alu instid0(TRANS32_DEP_2) | instskip(SKIP_3) | instid1(VALU_DEP_3)
	v_fma_f32 v38, -v14, v29, 1.0
	v_div_scale_f32 v25, null, v9, v9, 1.0
	v_dual_fmac_f32 v26, v35, v26 :: v_dual_fmac_f32 v27, v36, v27
	v_rcp_f32_e32 v32, v23
	v_dual_fmac_f32 v28, v37, v28 :: v_dual_fmac_f32 v29, v38, v29
	v_div_scale_f32 v22, s6, 1.0, v8, 1.0
	v_dual_fmac_f32 v30, v39, v30 :: v_dual_fmac_f32 v31, v40, v31
	v_mul_f32_e32 v35, v3, v26
	v_div_scale_f32 v15, s4, 1.0, v1, 1.0
	v_rcp_f32_e32 v33, v25
	s_delay_alu instid0(VALU_DEP_3)
	v_mul_f32_e32 v40, v22, v31
	v_dual_mul_f32 v36, v11, v27 :: v_dual_mul_f32 v37, v13, v28
	v_div_scale_f32 v20, s5, 1.0, v6, 1.0
	v_fma_f32 v43, -v2, v35, v3
	v_mul_f32_e32 v38, v15, v29
	v_fma_f32 v41, -v23, v32, 1.0
	s_delay_alu instid0(VALU_DEP_4)
	v_mul_f32_e32 v39, v20, v30
	v_fma_f32 v44, -v10, v36, v11
	v_fma_f32 v45, -v12, v37, v13
	v_fmac_f32_e32 v35, v43, v26
	v_fma_f32 v46, -v14, v38, v15
	v_div_scale_f32 v24, s7, 1.0, v7, 1.0
	v_fmac_f32_e32 v36, v44, v27
	v_fma_f32 v42, -v25, v33, 1.0
	v_fmac_f32_e32 v32, v41, v32
	v_fma_f32 v47, -v19, v39, v20
	v_dual_fmac_f32 v37, v45, v28 :: v_dual_fmac_f32 v38, v46, v29
	v_fma_f32 v48, -v21, v40, v22
	v_fma_f32 v2, -v2, v35, v3
	v_div_scale_f32 v34, s8, 1.0, v9, 1.0
	v_fmac_f32_e32 v33, v42, v33
	v_mul_f32_e32 v41, v24, v32
	v_fma_f32 v3, -v10, v36, v11
	v_dual_fmac_f32 v39, v47, v30 :: v_dual_fmac_f32 v40, v48, v31
	v_fma_f32 v10, -v12, v37, v13
	v_div_fmas_f32 v2, v2, v26, v35
	s_mov_b32 vcc_lo, s2
	v_fma_f32 v11, -v14, v38, v15
	v_mul_f32_e32 v42, v34, v33
	v_fma_f32 v49, -v23, v41, v24
	v_div_fmas_f32 v3, v3, v27, v36
	s_mov_b32 vcc_lo, s3
	v_fma_f32 v12, -v19, v39, v20
	v_div_fmas_f32 v10, v10, v28, v37
	s_mov_b32 vcc_lo, s4
	v_fma_f32 v13, -v21, v40, v22
	v_div_fixup_f32 v2, v2, v4, 1.0
	v_div_fmas_f32 v4, v11, v29, v38
	s_mov_b32 vcc_lo, s5
	v_fma_f32 v50, -v25, v42, v34
	v_fmac_f32_e32 v41, v49, v32
	v_div_fmas_f32 v11, v12, v30, v39
	s_mov_b32 vcc_lo, s6
	v_div_fixup_f32 v5, v10, v5, 1.0
	v_fmac_f32_e32 v42, v50, v33
	v_div_fmas_f32 v10, v13, v31, v40
	v_cmp_class_f32_e64 vcc_lo, v2, 0x1f8
	v_fma_f32 v14, -v23, v41, v24
	v_div_fixup_f32 v3, v3, v0, 1.0
	v_fma_f32 v15, -v25, v42, v34
	v_div_fixup_f32 v4, v4, v1, 1.0
	v_cndmask_b32_e32 v0, 0, v2, vcc_lo
	s_mov_b32 vcc_lo, s7
	v_div_fixup_f32 v6, v11, v6, 1.0
	v_div_fmas_f32 v12, v14, v32, v41
	v_cmp_class_f32_e64 vcc_lo, v3, 0x1f8
	s_delay_alu instid0(VALU_DEP_2)
	v_div_fixup_f32 v7, v12, v7, 1.0
	v_cndmask_b32_e32 v1, 0, v3, vcc_lo
	s_mov_b32 vcc_lo, s8
	v_div_fmas_f32 v11, v15, v33, v42
	v_cmp_class_f32_e64 vcc_lo, v5, 0x1f8
	v_cndmask_b32_e32 v2, 0, v5, vcc_lo
	v_cmp_class_f32_e64 vcc_lo, v4, 0x1f8
	v_div_fixup_f32 v5, v10, v8, 1.0
	v_div_fixup_f32 v8, v11, v9, 1.0
	v_cndmask_b32_e32 v3, 0, v4, vcc_lo
	v_cmp_class_f32_e64 vcc_lo, v6, 0x1f8
	v_cndmask_b32_e32 v4, 0, v6, vcc_lo
	v_cmp_class_f32_e64 vcc_lo, v5, 0x1f8
	;; [unrolled: 2-line block ×4, first 2 shown]
	v_cndmask_b32_e32 v7, 0, v8, vcc_lo
	s_cbranch_scc1 .LBB340_19
; %bb.4:
	v_lshlrev_b32_e32 v12, 2, v18
	s_clause 0x1
	global_load_b128 v[8:11], v12, s[10:11]
	global_load_b128 v[12:15], v12, s[10:11] offset:16
	s_waitcnt vmcnt(1)
	v_dual_add_f32 v9, v9, v1 :: v_dual_add_f32 v8, v8, v0
	v_dual_add_f32 v11, v11, v3 :: v_dual_add_f32 v10, v10, v2
	s_waitcnt vmcnt(0)
	v_dual_add_f32 v13, v13, v5 :: v_dual_add_f32 v12, v12, v4
	v_dual_add_f32 v15, v15, v7 :: v_dual_add_f32 v14, v14, v6
	s_cbranch_execnz .LBB340_6
.LBB340_5:
	v_dual_mov_b32 v15, v7 :: v_dual_mov_b32 v14, v6
	v_dual_mov_b32 v13, v5 :: v_dual_mov_b32 v12, v4
	;; [unrolled: 1-line block ×4, first 2 shown]
.LBB340_6:
	s_load_b128 s[8:11], s[0:1], 0x30
	v_cmp_eq_u32_e64 s2, 0, v17
	s_mov_b32 s6, 0
	s_waitcnt lgkmcnt(0)
	s_bitcmp1_b32 s11, 0
	s_cselect_b32 vcc_lo, -1, 0
	s_cmp_gt_i32 s8, 0
	s_cselect_b32 s5, -1, 0
	s_cmp_lt_i32 s8, 1
	s_cbranch_scc1 .LBB340_20
; %bb.7:
	v_mbcnt_lo_u32_b32 v19, -1, 0
	s_load_b128 s[12:15], s[0:1], 0x20
	v_mov_b32_e32 v22, v16
	s_delay_alu instid0(VALU_DEP_2) | instskip(SKIP_1) | instid1(VALU_DEP_2)
	v_and_b32_e32 v20, 30, v19
	v_xor_b32_e32 v21, 1, v19
	v_add_nc_u32_e32 v20, 2, v20
	s_delay_alu instid0(VALU_DEP_1) | instskip(SKIP_1) | instid1(VALU_DEP_2)
	v_cmp_lt_i32_e64 s0, v21, v20
	v_mul_lo_u32 v20, v16, s8
	v_cndmask_b32_e64 v21, v19, v21, s0
	v_mov_b32_e32 v19, 0
	s_delay_alu instid0(VALU_DEP_2)
	v_lshlrev_b32_e32 v21, 2, v21
	s_branch .LBB340_10
.LBB340_8:                              ;   in Loop: Header=BB340_10 Depth=1
	s_or_b32 exec_lo, exec_lo, s1
.LBB340_9:                              ;   in Loop: Header=BB340_10 Depth=1
	v_add_nc_u32_e32 v22, s18, v22
	s_cmp_eq_u32 s8, s6
	s_cbranch_scc1 .LBB340_21
.LBB340_10:                             ; =>This Inner Loop Header: Depth=1
	v_cmp_gt_f32_e64 s0, v9, v8
	s_delay_alu instid0(VALU_DEP_1) | instskip(SKIP_2) | instid1(VALU_DEP_3)
	v_cndmask_b32_e64 v24, v8, v9, s0
	v_cndmask_b32_e64 v23, 0, 1, s0
	;; [unrolled: 1-line block ×3, first 2 shown]
	v_cmp_gt_f32_e64 s1, v10, v24
	s_delay_alu instid0(VALU_DEP_1) | instskip(NEXT) | instid1(VALU_DEP_4)
	v_cndmask_b32_e64 v24, v24, v10, s1
	v_cndmask_b32_e64 v23, v23, 2, s1
	s_delay_alu instid0(VALU_DEP_4) | instskip(NEXT) | instid1(VALU_DEP_3)
	v_cndmask_b32_e64 v25, v25, v2, s1
	v_cmp_gt_f32_e64 s3, v11, v24
	s_delay_alu instid0(VALU_DEP_1) | instskip(NEXT) | instid1(VALU_DEP_4)
	v_cndmask_b32_e64 v24, v24, v11, s3
	v_cndmask_b32_e64 v23, v23, 3, s3
	s_delay_alu instid0(VALU_DEP_4) | instskip(NEXT) | instid1(VALU_DEP_3)
	v_cndmask_b32_e64 v25, v25, v3, s3
	v_cmp_gt_f32_e64 s4, v12, v24
	s_delay_alu instid0(VALU_DEP_1) | instskip(NEXT) | instid1(VALU_DEP_4)
	v_cndmask_b32_e64 v24, v24, v12, s4
	v_cndmask_b32_e64 v23, v23, 4, s4
	s_delay_alu instid0(VALU_DEP_4) | instskip(SKIP_1) | instid1(VALU_DEP_3)
	v_cndmask_b32_e64 v25, v25, v4, s4
	s_mov_b32 s4, exec_lo
	v_cmp_gt_f32_e64 s0, v13, v24
	s_delay_alu instid0(VALU_DEP_1) | instskip(SKIP_2) | instid1(VALU_DEP_3)
	v_cndmask_b32_e64 v24, v24, v13, s0
	v_cndmask_b32_e64 v23, v23, 5, s0
	;; [unrolled: 1-line block ×3, first 2 shown]
	v_cmp_gt_f32_e64 s1, v14, v24
	s_delay_alu instid0(VALU_DEP_1) | instskip(NEXT) | instid1(VALU_DEP_4)
	v_cndmask_b32_e64 v24, v24, v14, s1
	v_cndmask_b32_e64 v23, v23, 6, s1
	s_delay_alu instid0(VALU_DEP_4) | instskip(NEXT) | instid1(VALU_DEP_3)
	v_cndmask_b32_e64 v25, v25, v6, s1
	v_cmp_gt_f32_e64 s0, v15, v24
	s_delay_alu instid0(VALU_DEP_1) | instskip(SKIP_1) | instid1(VALU_DEP_4)
	v_cndmask_b32_e64 v23, v23, 7, s0
	v_cndmask_b32_e64 v27, v24, v15, s0
	;; [unrolled: 1-line block ×3, first 2 shown]
	s_delay_alu instid0(VALU_DEP_3)
	v_or_b32_e32 v23, v18, v23
	ds_bpermute_b32 v28, v21, v27
	ds_bpermute_b32 v25, v21, v24
	;; [unrolled: 1-line block ×3, first 2 shown]
	s_waitcnt lgkmcnt(0)
	v_cmp_lt_f32_e64 s3, v27, v28
	v_cmpx_nlt_f32_e32 v27, v28
	s_cbranch_execnz .LBB340_14
; %bb.11:                               ;   in Loop: Header=BB340_10 Depth=1
	s_or_b32 exec_lo, exec_lo, s4
	s_delay_alu instid0(VALU_DEP_2)
	s_and_saveexec_b32 s0, s3
	s_cbranch_execnz .LBB340_15
.LBB340_12:                             ;   in Loop: Header=BB340_10 Depth=1
	s_or_b32 exec_lo, exec_lo, s0
	s_and_saveexec_b32 s3, s2
	s_cbranch_execnz .LBB340_16
.LBB340_13:                             ;   in Loop: Header=BB340_10 Depth=1
	s_or_b32 exec_lo, exec_lo, s3
	s_add_i32 s6, s6, 1
	s_delay_alu instid0(SALU_CYCLE_1)
	s_cmp_ge_i32 s6, s8
	s_cbranch_scc1 .LBB340_9
	s_branch .LBB340_17
.LBB340_14:                             ;   in Loop: Header=BB340_10 Depth=1
	v_cmp_eq_f32_e64 s0, v27, v28
	v_cmp_lt_i32_e64 s1, v26, v23
	s_delay_alu instid0(VALU_DEP_1) | instskip(SKIP_2) | instid1(SALU_CYCLE_1)
	s_and_b32 s0, s0, s1
	s_and_not1_b32 s1, s3, exec_lo
	s_and_b32 s0, s0, exec_lo
	s_or_b32 s3, s1, s0
	s_or_b32 exec_lo, exec_lo, s4
	s_and_saveexec_b32 s0, s3
	s_cbranch_execz .LBB340_12
.LBB340_15:                             ;   in Loop: Header=BB340_10 Depth=1
	v_dual_mov_b32 v23, v26 :: v_dual_mov_b32 v24, v25
	s_or_b32 exec_lo, exec_lo, s0
	s_and_saveexec_b32 s3, s2
	s_cbranch_execz .LBB340_13
.LBB340_16:                             ;   in Loop: Header=BB340_10 Depth=1
	v_add_nc_u32_e32 v25, s6, v20
	v_cmp_le_i32_e64 s0, s9, v23
	v_cmp_gt_i32_e64 s1, s10, v23
	v_subrev_nc_u32_e32 v27, s9, v23
	v_add_f32_e32 v32, v19, v24
	v_ashrrev_i32_e32 v26, 31, v25
	s_delay_alu instid0(VALU_DEP_4) | instskip(NEXT) | instid1(SALU_CYCLE_1)
	s_and_b32 s0, s0, s1
	s_and_b32 s0, s19, s0
	s_delay_alu instid0(VALU_DEP_1) | instskip(SKIP_2) | instid1(VALU_DEP_3)
	v_lshlrev_b64 v[25:26], 2, v[25:26]
	v_cndmask_b32_e64 v31, 16, v27, s0
	v_cndmask_b32_e32 v19, v19, v32, vcc_lo
	v_add_co_u32 v27, s0, s16, v25
	s_delay_alu instid0(VALU_DEP_1) | instskip(SKIP_1) | instid1(VALU_DEP_1)
	v_add_co_ci_u32_e64 v28, s0, s17, v26, s0
	v_add_co_u32 v29, s0, s12, v25
	v_add_co_ci_u32_e64 v30, s0, s13, v26, s0
	v_add_co_u32 v25, s0, s14, v25
	s_delay_alu instid0(VALU_DEP_1)
	v_add_co_ci_u32_e64 v26, s0, s15, v26, s0
	global_store_b32 v[27:28], v24, off
	global_store_b32 v[29:30], v31, off
	global_store_b32 v[25:26], v22, off
	s_or_b32 exec_lo, exec_lo, s3
	s_add_i32 s6, s6, 1
	s_delay_alu instid0(SALU_CYCLE_1)
	s_cmp_ge_i32 s6, s8
	s_cbranch_scc1 .LBB340_9
.LBB340_17:                             ;   in Loop: Header=BB340_10 Depth=1
	v_ashrrev_i32_e32 v25, 31, v23
	s_mov_b32 s1, exec_lo
	s_delay_alu instid0(VALU_DEP_1) | instskip(NEXT) | instid1(VALU_DEP_1)
	v_lshrrev_b32_e32 v24, 29, v25
	v_add_nc_u32_e32 v26, v23, v24
	s_delay_alu instid0(VALU_DEP_1) | instskip(SKIP_1) | instid1(VALU_DEP_1)
	v_ashrrev_i32_e32 v24, 3, v26
	v_lshrrev_b32_e32 v26, 31, v26
	v_add_nc_u32_e32 v26, v24, v26
	s_delay_alu instid0(VALU_DEP_1) | instskip(NEXT) | instid1(VALU_DEP_1)
	v_and_b32_e32 v26, -2, v26
	v_sub_nc_u32_e32 v26, v24, v26
	s_delay_alu instid0(VALU_DEP_1)
	v_cmpx_eq_u32_e64 v17, v26
	s_cbranch_execz .LBB340_8
; %bb.18:                               ;   in Loop: Header=BB340_10 Depth=1
	v_lshrrev_b32_e32 v25, 28, v25
	v_lshlrev_b32_e32 v24, 3, v24
	s_delay_alu instid0(VALU_DEP_2) | instskip(NEXT) | instid1(VALU_DEP_2)
	v_add_nc_u32_e32 v25, v23, v25
	v_sub_nc_u32_e32 v23, v23, v24
	s_delay_alu instid0(VALU_DEP_2) | instskip(NEXT) | instid1(VALU_DEP_1)
	v_ashrrev_i32_e32 v24, 4, v25
	v_lshl_add_u32 v23, v24, 3, v23
	s_delay_alu instid0(VALU_DEP_1) | instskip(NEXT) | instid1(VALU_DEP_1)
	v_cmp_ne_u32_e64 s0, 7, v23
	v_cndmask_b32_e64 v15, 0xc61c4000, v15, s0
	v_cmp_ne_u32_e64 s0, 6, v23
	s_delay_alu instid0(VALU_DEP_1) | instskip(SKIP_1) | instid1(VALU_DEP_1)
	v_cndmask_b32_e64 v14, 0xc61c4000, v14, s0
	v_cmp_ne_u32_e64 s0, 5, v23
	v_cndmask_b32_e64 v13, 0xc61c4000, v13, s0
	v_cmp_ne_u32_e64 s0, 4, v23
	s_delay_alu instid0(VALU_DEP_1) | instskip(SKIP_1) | instid1(VALU_DEP_1)
	v_cndmask_b32_e64 v12, 0xc61c4000, v12, s0
	;; [unrolled: 5-line block ×3, first 2 shown]
	v_cmp_ne_u32_e64 s0, 1, v23
	v_cndmask_b32_e64 v9, 0xc61c4000, v9, s0
	v_cmp_ne_u32_e64 s0, 0, v23
	s_delay_alu instid0(VALU_DEP_1)
	v_cndmask_b32_e64 v8, 0xc61c4000, v8, s0
	s_branch .LBB340_8
.LBB340_19:
                                        ; implicit-def: $vgpr8_vgpr9_vgpr10_vgpr11_vgpr12_vgpr13_vgpr14_vgpr15
	s_and_not1_b32 vcc_lo, exec_lo, s9
	s_cbranch_vccz .LBB340_5
	s_branch .LBB340_6
.LBB340_20:
	v_mov_b32_e32 v19, 0
.LBB340_21:
	v_cmp_eq_u32_e64 s0, 0, v17
	s_delay_alu instid0(VALU_DEP_1) | instskip(NEXT) | instid1(SALU_CYCLE_1)
	s_and_b32 s0, s0, vcc_lo
	s_and_b32 exec_lo, exec_lo, s0
	s_cbranch_execz .LBB340_25
; %bb.22:
	s_and_not1_b32 vcc_lo, exec_lo, s5
	s_cbranch_vccnz .LBB340_25
; %bb.23:
	v_mul_lo_u32 v0, v16, s8
	v_cmp_lt_f32_e32 vcc_lo, 0, v19
	v_cndmask_b32_e32 v2, 1.0, v19, vcc_lo
	s_delay_alu instid0(VALU_DEP_3) | instskip(NEXT) | instid1(VALU_DEP_1)
	v_ashrrev_i32_e32 v1, 31, v0
	v_lshlrev_b64 v[0:1], 2, v[0:1]
	s_delay_alu instid0(VALU_DEP_1) | instskip(NEXT) | instid1(VALU_DEP_2)
	v_add_co_u32 v0, vcc_lo, s16, v0
	v_add_co_ci_u32_e32 v1, vcc_lo, s17, v1, vcc_lo
	.p2align	6
.LBB340_24:                             ; =>This Inner Loop Header: Depth=1
	global_load_b32 v3, v[0:1], off
	s_add_i32 s8, s8, -1
	s_delay_alu instid0(SALU_CYCLE_1) | instskip(SKIP_3) | instid1(VALU_DEP_2)
	s_cmp_lg_u32 s8, 0
	s_waitcnt vmcnt(0)
	v_div_scale_f32 v4, null, v2, v2, v3
	v_div_scale_f32 v7, vcc_lo, v3, v2, v3
	v_rcp_f32_e32 v5, v4
	s_waitcnt_depctr 0xfff
	v_fma_f32 v6, -v4, v5, 1.0
	s_delay_alu instid0(VALU_DEP_1) | instskip(NEXT) | instid1(VALU_DEP_1)
	v_fmac_f32_e32 v5, v6, v5
	v_mul_f32_e32 v6, v7, v5
	s_delay_alu instid0(VALU_DEP_1) | instskip(NEXT) | instid1(VALU_DEP_1)
	v_fma_f32 v8, -v4, v6, v7
	v_fmac_f32_e32 v6, v8, v5
	s_delay_alu instid0(VALU_DEP_1) | instskip(NEXT) | instid1(VALU_DEP_1)
	v_fma_f32 v4, -v4, v6, v7
	v_div_fmas_f32 v4, v4, v5, v6
	s_delay_alu instid0(VALU_DEP_1)
	v_div_fixup_f32 v3, v4, v2, v3
	global_store_b32 v[0:1], v3, off
	v_add_co_u32 v0, vcc_lo, v0, 4
	v_add_co_ci_u32_e32 v1, vcc_lo, 0, v1, vcc_lo
	s_cbranch_scc1 .LBB340_24
.LBB340_25:
	s_nop 0
	s_sendmsg sendmsg(MSG_DEALLOC_VGPRS)
	s_endpgm
	.section	.rodata,"a",@progbits
	.p2align	6, 0x0
	.amdhsa_kernel _ZN4vllm3moe10topkGatingILi8ELi16ELi4ELi16ELi32Ej14__hip_bfloat16LNS0_11ScoringFuncE1EEEvPKT5_PKbPfiPT4_PiiiibPKf
		.amdhsa_group_segment_fixed_size 0
		.amdhsa_private_segment_fixed_size 0
		.amdhsa_kernarg_size 72
		.amdhsa_user_sgpr_count 15
		.amdhsa_user_sgpr_dispatch_ptr 0
		.amdhsa_user_sgpr_queue_ptr 0
		.amdhsa_user_sgpr_kernarg_segment_ptr 1
		.amdhsa_user_sgpr_dispatch_id 0
		.amdhsa_user_sgpr_private_segment_size 0
		.amdhsa_wavefront_size32 1
		.amdhsa_uses_dynamic_stack 0
		.amdhsa_enable_private_segment 0
		.amdhsa_system_sgpr_workgroup_id_x 1
		.amdhsa_system_sgpr_workgroup_id_y 0
		.amdhsa_system_sgpr_workgroup_id_z 0
		.amdhsa_system_sgpr_workgroup_info 0
		.amdhsa_system_vgpr_workitem_id 1
		.amdhsa_next_free_vgpr 51
		.amdhsa_next_free_sgpr 20
		.amdhsa_reserve_vcc 1
		.amdhsa_float_round_mode_32 0
		.amdhsa_float_round_mode_16_64 0
		.amdhsa_float_denorm_mode_32 3
		.amdhsa_float_denorm_mode_16_64 3
		.amdhsa_dx10_clamp 1
		.amdhsa_ieee_mode 1
		.amdhsa_fp16_overflow 0
		.amdhsa_workgroup_processor_mode 1
		.amdhsa_memory_ordered 1
		.amdhsa_forward_progress 0
		.amdhsa_shared_vgpr_count 0
		.amdhsa_exception_fp_ieee_invalid_op 0
		.amdhsa_exception_fp_denorm_src 0
		.amdhsa_exception_fp_ieee_div_zero 0
		.amdhsa_exception_fp_ieee_overflow 0
		.amdhsa_exception_fp_ieee_underflow 0
		.amdhsa_exception_fp_ieee_inexact 0
		.amdhsa_exception_int_div_zero 0
	.end_amdhsa_kernel
	.section	.text._ZN4vllm3moe10topkGatingILi8ELi16ELi4ELi16ELi32Ej14__hip_bfloat16LNS0_11ScoringFuncE1EEEvPKT5_PKbPfiPT4_PiiiibPKf,"axG",@progbits,_ZN4vllm3moe10topkGatingILi8ELi16ELi4ELi16ELi32Ej14__hip_bfloat16LNS0_11ScoringFuncE1EEEvPKT5_PKbPfiPT4_PiiiibPKf,comdat
.Lfunc_end340:
	.size	_ZN4vllm3moe10topkGatingILi8ELi16ELi4ELi16ELi32Ej14__hip_bfloat16LNS0_11ScoringFuncE1EEEvPKT5_PKbPfiPT4_PiiiibPKf, .Lfunc_end340-_ZN4vllm3moe10topkGatingILi8ELi16ELi4ELi16ELi32Ej14__hip_bfloat16LNS0_11ScoringFuncE1EEEvPKT5_PKbPfiPT4_PiiiibPKf
                                        ; -- End function
	.section	.AMDGPU.csdata,"",@progbits
; Kernel info:
; codeLenInByte = 2620
; NumSgprs: 22
; NumVgprs: 51
; ScratchSize: 0
; MemoryBound: 0
; FloatMode: 240
; IeeeMode: 1
; LDSByteSize: 0 bytes/workgroup (compile time only)
; SGPRBlocks: 2
; VGPRBlocks: 6
; NumSGPRsForWavesPerEU: 22
; NumVGPRsForWavesPerEU: 51
; Occupancy: 16
; WaveLimiterHint : 0
; COMPUTE_PGM_RSRC2:SCRATCH_EN: 0
; COMPUTE_PGM_RSRC2:USER_SGPR: 15
; COMPUTE_PGM_RSRC2:TRAP_HANDLER: 0
; COMPUTE_PGM_RSRC2:TGID_X_EN: 1
; COMPUTE_PGM_RSRC2:TGID_Y_EN: 0
; COMPUTE_PGM_RSRC2:TGID_Z_EN: 0
; COMPUTE_PGM_RSRC2:TIDIG_COMP_CNT: 1
	.section	.text._ZN4vllm3moe10topkGatingILi8ELi32ELi4ELi16ELi64Ej14__hip_bfloat16LNS0_11ScoringFuncE1EEEvPKT5_PKbPfiPT4_PiiiibPKf,"axG",@progbits,_ZN4vllm3moe10topkGatingILi8ELi32ELi4ELi16ELi64Ej14__hip_bfloat16LNS0_11ScoringFuncE1EEEvPKT5_PKbPfiPT4_PiiiibPKf,comdat
	.protected	_ZN4vllm3moe10topkGatingILi8ELi32ELi4ELi16ELi64Ej14__hip_bfloat16LNS0_11ScoringFuncE1EEEvPKT5_PKbPfiPT4_PiiiibPKf ; -- Begin function _ZN4vllm3moe10topkGatingILi8ELi32ELi4ELi16ELi64Ej14__hip_bfloat16LNS0_11ScoringFuncE1EEEvPKT5_PKbPfiPT4_PiiiibPKf
	.globl	_ZN4vllm3moe10topkGatingILi8ELi32ELi4ELi16ELi64Ej14__hip_bfloat16LNS0_11ScoringFuncE1EEEvPKT5_PKbPfiPT4_PiiiibPKf
	.p2align	8
	.type	_ZN4vllm3moe10topkGatingILi8ELi32ELi4ELi16ELi64Ej14__hip_bfloat16LNS0_11ScoringFuncE1EEEvPKT5_PKbPfiPT4_PiiiibPKf,@function
_ZN4vllm3moe10topkGatingILi8ELi32ELi4ELi16ELi64Ej14__hip_bfloat16LNS0_11ScoringFuncE1EEEvPKT5_PKbPfiPT4_PiiiibPKf: ; @_ZN4vllm3moe10topkGatingILi8ELi32ELi4ELi16ELi64Ej14__hip_bfloat16LNS0_11ScoringFuncE1EEEvPKT5_PKbPfiPT4_PiiiibPKf
; %bb.0:
	s_load_b32 s18, s[0:1], 0x18
	v_bfe_u32 v1, v0, 10, 10
	v_and_b32_e32 v0, 0x3ff, v0
	s_lshl_b32 s2, s15, 6
	s_delay_alu instid0(VALU_DEP_2) | instskip(NEXT) | instid1(VALU_DEP_2)
	v_lshlrev_b32_e32 v1, 4, v1
	v_lshrrev_b32_e32 v2, 2, v0
	s_delay_alu instid0(VALU_DEP_1) | instskip(SKIP_2) | instid1(VALU_DEP_1)
	v_add3_u32 v16, s2, v1, v2
	s_mov_b32 s2, exec_lo
	s_waitcnt lgkmcnt(0)
	v_cmpx_gt_i32_e64 s18, v16
	s_cbranch_execz .LBB341_29
; %bb.1:
	s_clause 0x1
	s_load_b128 s[4:7], s[0:1], 0x0
	s_load_b64 s[16:17], s[0:1], 0x10
	s_mov_b32 s9, -1
	s_mov_b32 s19, -1
	s_waitcnt lgkmcnt(0)
	s_cmp_eq_u64 s[6:7], 0
	s_cbranch_scc1 .LBB341_3
; %bb.2:
	v_ashrrev_i32_e32 v2, 31, v16
	v_add_co_u32 v1, vcc_lo, s6, v16
	s_delay_alu instid0(VALU_DEP_2) | instskip(SKIP_3) | instid1(VALU_DEP_1)
	v_add_co_ci_u32_e32 v2, vcc_lo, s7, v2, vcc_lo
	global_load_u8 v1, v[1:2], off
	s_waitcnt vmcnt(0)
	v_and_b32_e32 v1, 1, v1
	v_cmp_eq_u32_e32 vcc_lo, 1, v1
	s_xor_b32 s2, vcc_lo, -1
	s_delay_alu instid0(SALU_CYCLE_1)
	s_or_not1_b32 s19, s2, exec_lo
.LBB341_3:
	v_lshlrev_b32_e32 v1, 5, v16
	v_and_b32_e32 v17, 3, v0
	s_load_b64 s[10:11], s[0:1], 0x40
	s_delay_alu instid0(VALU_DEP_2) | instskip(NEXT) | instid1(VALU_DEP_1)
	v_ashrrev_i32_e32 v2, 31, v1
	v_lshlrev_b64 v[0:1], 1, v[1:2]
	s_delay_alu instid0(VALU_DEP_3) | instskip(NEXT) | instid1(VALU_DEP_2)
	v_lshlrev_b32_e32 v2, 4, v17
	v_add_co_u32 v0, vcc_lo, s4, v0
	s_delay_alu instid0(VALU_DEP_3) | instskip(NEXT) | instid1(VALU_DEP_2)
	v_add_co_ci_u32_e32 v1, vcc_lo, s5, v1, vcc_lo
	v_add_co_u32 v0, vcc_lo, v0, v2
	s_delay_alu instid0(VALU_DEP_2)
	v_add_co_ci_u32_e32 v1, vcc_lo, 0, v1, vcc_lo
	s_waitcnt lgkmcnt(0)
	s_cmp_eq_u64 s[10:11], 0
	global_load_b128 v[0:3], v[0:1], off
	s_waitcnt vmcnt(0)
	v_lshlrev_b32_e32 v5, 16, v1
	s_delay_alu instid0(VALU_DEP_1) | instskip(NEXT) | instid1(VALU_DEP_1)
	v_dual_mul_f32 v5, 0xbfb8aa3b, v5 :: v_dual_lshlrev_b32 v4, 16, v0
	v_mul_f32_e32 v4, 0xbfb8aa3b, v4
	s_delay_alu instid0(VALU_DEP_2) | instskip(NEXT) | instid1(VALU_DEP_1)
	v_exp_f32_e32 v5, v5
	v_exp_f32_e32 v4, v4
	v_and_b32_e32 v1, 0xffff0000, v1
	s_waitcnt_depctr 0xfff
	v_dual_add_f32 v5, 1.0, v5 :: v_dual_and_b32 v0, 0xffff0000, v0
	v_add_f32_e32 v4, 1.0, v4
	v_dual_mul_f32 v1, 0xbfb8aa3b, v1 :: v_dual_lshlrev_b32 v6, 16, v2
	s_delay_alu instid0(VALU_DEP_3) | instskip(NEXT) | instid1(VALU_DEP_4)
	v_dual_mul_f32 v0, 0xbfb8aa3b, v0 :: v_dual_lshlrev_b32 v7, 16, v3
	v_div_scale_f32 v12, null, v5, v5, 1.0
	s_delay_alu instid0(VALU_DEP_3) | instskip(SKIP_1) | instid1(VALU_DEP_3)
	v_exp_f32_e32 v1, v1
	v_and_b32_e32 v2, 0xffff0000, v2
	v_exp_f32_e32 v0, v0
	v_and_b32_e32 v3, 0xffff0000, v3
	v_dual_mul_f32 v6, 0xbfb8aa3b, v6 :: v_dual_mul_f32 v7, 0xbfb8aa3b, v7
	v_rcp_f32_e32 v28, v12
	v_div_scale_f32 v13, s3, 1.0, v5, 1.0
	s_delay_alu instid0(VALU_DEP_2) | instskip(SKIP_1) | instid1(TRANS32_DEP_3)
	v_exp_f32_e32 v6, v6
	v_dual_add_f32 v1, 1.0, v1 :: v_dual_mul_f32 v2, 0xbfb8aa3b, v2
	v_dual_add_f32 v0, 1.0, v0 :: v_dual_mul_f32 v3, 0xbfb8aa3b, v3
	v_lshlrev_b32_e32 v18, 3, v17
	v_exp_f32_e32 v7, v7
	s_delay_alu instid0(VALU_DEP_3) | instskip(NEXT) | instid1(VALU_DEP_2)
	v_exp_f32_e32 v2, v2
	v_div_scale_f32 v10, null, v0, v0, 1.0
	v_exp_f32_e32 v3, v3
	v_add_f32_e32 v6, 1.0, v6
	v_div_scale_f32 v14, null, v1, v1, 1.0
	s_delay_alu instid0(VALU_DEP_3) | instskip(SKIP_1) | instid1(TRANS32_DEP_3)
	v_rcp_f32_e32 v27, v10
	v_fma_f32 v37, -v12, v28, 1.0
	v_dual_add_f32 v7, 1.0, v7 :: v_dual_add_f32 v8, 1.0, v2
	v_div_scale_f32 v2, null, v4, v4, 1.0
	s_delay_alu instid0(TRANS32_DEP_2) | instskip(SKIP_1) | instid1(VALU_DEP_4)
	v_add_f32_e32 v9, 1.0, v3
	v_div_scale_f32 v19, null, v6, v6, 1.0
	v_div_scale_f32 v21, null, v8, v8, 1.0
	s_delay_alu instid0(VALU_DEP_4) | instskip(NEXT) | instid1(VALU_DEP_2)
	v_rcp_f32_e32 v26, v2
	v_rcp_f32_e32 v30, v19
	;; [unrolled: 1-line block ×3, first 2 shown]
	s_delay_alu instid0(VALU_DEP_1)
	v_rcp_f32_e32 v31, v21
	v_div_scale_f32 v23, null, v7, v7, 1.0
	v_fma_f32 v36, -v10, v27, 1.0
	v_div_scale_f32 v3, vcc_lo, 1.0, v4, 1.0
	v_div_scale_f32 v11, s2, 1.0, v0, 1.0
	v_fma_f32 v35, -v2, v26, 1.0
	s_delay_alu instid0(TRANS32_DEP_3) | instskip(NEXT) | instid1(TRANS32_DEP_1)
	v_fma_f32 v39, -v19, v30, 1.0
	v_fma_f32 v40, -v21, v31, 1.0
	s_delay_alu instid0(TRANS32_DEP_2) | instskip(SKIP_3) | instid1(VALU_DEP_3)
	v_fma_f32 v38, -v14, v29, 1.0
	v_div_scale_f32 v25, null, v9, v9, 1.0
	v_dual_fmac_f32 v26, v35, v26 :: v_dual_fmac_f32 v27, v36, v27
	v_rcp_f32_e32 v32, v23
	v_dual_fmac_f32 v28, v37, v28 :: v_dual_fmac_f32 v29, v38, v29
	v_div_scale_f32 v22, s6, 1.0, v8, 1.0
	v_dual_fmac_f32 v30, v39, v30 :: v_dual_fmac_f32 v31, v40, v31
	v_mul_f32_e32 v35, v3, v26
	v_div_scale_f32 v15, s4, 1.0, v1, 1.0
	v_rcp_f32_e32 v33, v25
	s_delay_alu instid0(VALU_DEP_3)
	v_mul_f32_e32 v40, v22, v31
	v_dual_mul_f32 v36, v11, v27 :: v_dual_mul_f32 v37, v13, v28
	v_div_scale_f32 v20, s5, 1.0, v6, 1.0
	v_fma_f32 v43, -v2, v35, v3
	v_mul_f32_e32 v38, v15, v29
	v_fma_f32 v41, -v23, v32, 1.0
	s_delay_alu instid0(VALU_DEP_4)
	v_mul_f32_e32 v39, v20, v30
	v_fma_f32 v44, -v10, v36, v11
	v_fma_f32 v45, -v12, v37, v13
	v_fmac_f32_e32 v35, v43, v26
	v_fma_f32 v46, -v14, v38, v15
	v_div_scale_f32 v24, s7, 1.0, v7, 1.0
	v_fmac_f32_e32 v36, v44, v27
	v_fma_f32 v42, -v25, v33, 1.0
	v_fmac_f32_e32 v32, v41, v32
	v_fma_f32 v47, -v19, v39, v20
	v_dual_fmac_f32 v37, v45, v28 :: v_dual_fmac_f32 v38, v46, v29
	v_fma_f32 v48, -v21, v40, v22
	v_fma_f32 v2, -v2, v35, v3
	v_div_scale_f32 v34, s8, 1.0, v9, 1.0
	v_fmac_f32_e32 v33, v42, v33
	v_mul_f32_e32 v41, v24, v32
	v_fma_f32 v3, -v10, v36, v11
	v_dual_fmac_f32 v39, v47, v30 :: v_dual_fmac_f32 v40, v48, v31
	v_fma_f32 v10, -v12, v37, v13
	v_div_fmas_f32 v2, v2, v26, v35
	s_mov_b32 vcc_lo, s2
	v_fma_f32 v11, -v14, v38, v15
	v_mul_f32_e32 v42, v34, v33
	v_fma_f32 v49, -v23, v41, v24
	v_div_fmas_f32 v3, v3, v27, v36
	s_mov_b32 vcc_lo, s3
	v_fma_f32 v12, -v19, v39, v20
	v_div_fmas_f32 v10, v10, v28, v37
	s_mov_b32 vcc_lo, s4
	v_fma_f32 v13, -v21, v40, v22
	v_div_fixup_f32 v2, v2, v4, 1.0
	v_div_fmas_f32 v4, v11, v29, v38
	s_mov_b32 vcc_lo, s5
	v_fma_f32 v50, -v25, v42, v34
	v_fmac_f32_e32 v41, v49, v32
	v_div_fmas_f32 v11, v12, v30, v39
	s_mov_b32 vcc_lo, s6
	v_div_fixup_f32 v5, v10, v5, 1.0
	v_fmac_f32_e32 v42, v50, v33
	v_div_fmas_f32 v10, v13, v31, v40
	v_cmp_class_f32_e64 vcc_lo, v2, 0x1f8
	v_fma_f32 v14, -v23, v41, v24
	v_div_fixup_f32 v3, v3, v0, 1.0
	v_fma_f32 v15, -v25, v42, v34
	v_div_fixup_f32 v4, v4, v1, 1.0
	v_cndmask_b32_e32 v0, 0, v2, vcc_lo
	s_mov_b32 vcc_lo, s7
	v_div_fixup_f32 v6, v11, v6, 1.0
	v_div_fmas_f32 v12, v14, v32, v41
	v_cmp_class_f32_e64 vcc_lo, v3, 0x1f8
	s_delay_alu instid0(VALU_DEP_2)
	v_div_fixup_f32 v7, v12, v7, 1.0
	v_cndmask_b32_e32 v1, 0, v3, vcc_lo
	s_mov_b32 vcc_lo, s8
	v_div_fmas_f32 v11, v15, v33, v42
	v_cmp_class_f32_e64 vcc_lo, v5, 0x1f8
	v_cndmask_b32_e32 v2, 0, v5, vcc_lo
	v_cmp_class_f32_e64 vcc_lo, v4, 0x1f8
	v_div_fixup_f32 v5, v10, v8, 1.0
	v_div_fixup_f32 v8, v11, v9, 1.0
	v_cndmask_b32_e32 v3, 0, v4, vcc_lo
	v_cmp_class_f32_e64 vcc_lo, v6, 0x1f8
	v_cndmask_b32_e32 v4, 0, v6, vcc_lo
	v_cmp_class_f32_e64 vcc_lo, v5, 0x1f8
	;; [unrolled: 2-line block ×4, first 2 shown]
	v_cndmask_b32_e32 v7, 0, v8, vcc_lo
	s_cbranch_scc1 .LBB341_23
; %bb.4:
	v_lshlrev_b32_e32 v12, 2, v18
	s_clause 0x1
	global_load_b128 v[8:11], v12, s[10:11]
	global_load_b128 v[12:15], v12, s[10:11] offset:16
	s_waitcnt vmcnt(1)
	v_dual_add_f32 v9, v9, v1 :: v_dual_add_f32 v8, v8, v0
	v_dual_add_f32 v11, v11, v3 :: v_dual_add_f32 v10, v10, v2
	s_waitcnt vmcnt(0)
	v_dual_add_f32 v13, v13, v5 :: v_dual_add_f32 v12, v12, v4
	v_dual_add_f32 v15, v15, v7 :: v_dual_add_f32 v14, v14, v6
	s_cbranch_execnz .LBB341_6
.LBB341_5:
	v_dual_mov_b32 v15, v7 :: v_dual_mov_b32 v14, v6
	v_dual_mov_b32 v13, v5 :: v_dual_mov_b32 v12, v4
	;; [unrolled: 1-line block ×4, first 2 shown]
.LBB341_6:
	s_load_b128 s[8:11], s[0:1], 0x30
	v_cmp_eq_u32_e64 s2, 0, v17
	s_mov_b32 s6, 0
	s_waitcnt lgkmcnt(0)
	s_bitcmp1_b32 s11, 0
	s_cselect_b32 vcc_lo, -1, 0
	s_cmp_gt_i32 s8, 0
	s_cselect_b32 s5, -1, 0
	s_cmp_lt_i32 s8, 1
	s_cbranch_scc1 .LBB341_24
; %bb.7:
	v_mbcnt_lo_u32_b32 v19, -1, 0
	s_load_b128 s[12:15], s[0:1], 0x20
	s_delay_alu instid0(VALU_DEP_1) | instskip(SKIP_2) | instid1(VALU_DEP_3)
	v_dual_mov_b32 v23, v16 :: v_dual_and_b32 v20, 28, v19
	v_xor_b32_e32 v21, 2, v19
	v_xor_b32_e32 v22, 1, v19
	v_add_nc_u32_e32 v20, 4, v20
	s_delay_alu instid0(VALU_DEP_1) | instskip(NEXT) | instid1(VALU_DEP_1)
	v_cmp_lt_i32_e64 s0, v21, v20
	v_cndmask_b32_e64 v21, v19, v21, s0
	s_delay_alu instid0(VALU_DEP_4) | instskip(SKIP_1) | instid1(VALU_DEP_3)
	v_cmp_lt_i32_e64 s0, v22, v20
	v_mul_lo_u32 v20, v16, s8
	v_lshlrev_b32_e32 v21, 2, v21
	s_delay_alu instid0(VALU_DEP_3) | instskip(NEXT) | instid1(VALU_DEP_1)
	v_cndmask_b32_e64 v22, v19, v22, s0
	v_dual_mov_b32 v19, 0 :: v_dual_lshlrev_b32 v22, 2, v22
	s_branch .LBB341_10
.LBB341_8:                              ;   in Loop: Header=BB341_10 Depth=1
	s_or_b32 exec_lo, exec_lo, s1
.LBB341_9:                              ;   in Loop: Header=BB341_10 Depth=1
	v_add_nc_u32_e32 v23, s18, v23
	s_cmp_eq_u32 s8, s6
	s_cbranch_scc1 .LBB341_25
.LBB341_10:                             ; =>This Inner Loop Header: Depth=1
	v_cmp_gt_f32_e64 s0, v9, v8
	s_delay_alu instid0(VALU_DEP_1) | instskip(SKIP_2) | instid1(VALU_DEP_3)
	v_cndmask_b32_e64 v25, v8, v9, s0
	v_cndmask_b32_e64 v24, 0, 1, s0
	;; [unrolled: 1-line block ×3, first 2 shown]
	v_cmp_gt_f32_e64 s1, v10, v25
	s_delay_alu instid0(VALU_DEP_1) | instskip(NEXT) | instid1(VALU_DEP_4)
	v_cndmask_b32_e64 v25, v25, v10, s1
	v_cndmask_b32_e64 v24, v24, 2, s1
	s_delay_alu instid0(VALU_DEP_4) | instskip(NEXT) | instid1(VALU_DEP_3)
	v_cndmask_b32_e64 v26, v26, v2, s1
	v_cmp_gt_f32_e64 s3, v11, v25
	s_delay_alu instid0(VALU_DEP_1) | instskip(NEXT) | instid1(VALU_DEP_4)
	v_cndmask_b32_e64 v25, v25, v11, s3
	v_cndmask_b32_e64 v24, v24, 3, s3
	s_delay_alu instid0(VALU_DEP_4) | instskip(NEXT) | instid1(VALU_DEP_3)
	v_cndmask_b32_e64 v26, v26, v3, s3
	v_cmp_gt_f32_e64 s4, v12, v25
	s_delay_alu instid0(VALU_DEP_1) | instskip(NEXT) | instid1(VALU_DEP_4)
	v_cndmask_b32_e64 v25, v25, v12, s4
	v_cndmask_b32_e64 v24, v24, 4, s4
	s_delay_alu instid0(VALU_DEP_4) | instskip(SKIP_1) | instid1(VALU_DEP_3)
	v_cndmask_b32_e64 v26, v26, v4, s4
	s_mov_b32 s4, exec_lo
	v_cmp_gt_f32_e64 s0, v13, v25
	s_delay_alu instid0(VALU_DEP_1) | instskip(SKIP_2) | instid1(VALU_DEP_3)
	v_cndmask_b32_e64 v25, v25, v13, s0
	v_cndmask_b32_e64 v24, v24, 5, s0
	v_cndmask_b32_e64 v26, v26, v5, s0
	v_cmp_gt_f32_e64 s1, v14, v25
	s_delay_alu instid0(VALU_DEP_1) | instskip(NEXT) | instid1(VALU_DEP_4)
	v_cndmask_b32_e64 v25, v25, v14, s1
	v_cndmask_b32_e64 v24, v24, 6, s1
	s_waitcnt lgkmcnt(0)
	v_cndmask_b32_e64 v27, v26, v6, s1
	s_delay_alu instid0(VALU_DEP_3) | instskip(NEXT) | instid1(VALU_DEP_1)
	v_cmp_gt_f32_e64 s0, v15, v25
	v_cndmask_b32_e64 v24, v24, 7, s0
	v_cndmask_b32_e64 v26, v25, v15, s0
	s_delay_alu instid0(VALU_DEP_4) | instskip(NEXT) | instid1(VALU_DEP_3)
	v_cndmask_b32_e64 v25, v27, v7, s0
	v_or_b32_e32 v24, v18, v24
	ds_bpermute_b32 v27, v21, v26
	ds_bpermute_b32 v29, v21, v25
	;; [unrolled: 1-line block ×3, first 2 shown]
	s_waitcnt lgkmcnt(0)
	v_cmp_lt_f32_e64 s3, v26, v27
	v_cmpx_nlt_f32_e32 v26, v27
; %bb.11:                               ;   in Loop: Header=BB341_10 Depth=1
	v_cmp_eq_f32_e64 s0, v26, v27
	v_cmp_lt_i32_e64 s1, v28, v24
	s_delay_alu instid0(VALU_DEP_1) | instskip(SKIP_2) | instid1(SALU_CYCLE_1)
	s_and_b32 s0, s0, s1
	s_and_not1_b32 s1, s3, exec_lo
	s_and_b32 s0, s0, exec_lo
	s_or_b32 s3, s1, s0
; %bb.12:                               ;   in Loop: Header=BB341_10 Depth=1
	s_or_b32 exec_lo, exec_lo, s4
	s_and_saveexec_b32 s0, s3
; %bb.13:                               ;   in Loop: Header=BB341_10 Depth=1
	v_dual_mov_b32 v25, v29 :: v_dual_mov_b32 v26, v27
	v_mov_b32_e32 v24, v28
; %bb.14:                               ;   in Loop: Header=BB341_10 Depth=1
	s_or_b32 exec_lo, exec_lo, s0
	ds_bpermute_b32 v29, v22, v26
	ds_bpermute_b32 v27, v22, v25
	;; [unrolled: 1-line block ×3, first 2 shown]
	s_mov_b32 s4, exec_lo
	s_waitcnt lgkmcnt(2)
	v_cmp_lt_f32_e64 s3, v26, v29
	v_cmpx_nlt_f32_e32 v26, v29
	s_cbranch_execnz .LBB341_18
; %bb.15:                               ;   in Loop: Header=BB341_10 Depth=1
	s_or_b32 exec_lo, exec_lo, s4
	s_delay_alu instid0(VALU_DEP_2)
	s_and_saveexec_b32 s0, s3
	s_cbranch_execnz .LBB341_19
.LBB341_16:                             ;   in Loop: Header=BB341_10 Depth=1
	s_or_b32 exec_lo, exec_lo, s0
	s_and_saveexec_b32 s3, s2
	s_cbranch_execnz .LBB341_20
.LBB341_17:                             ;   in Loop: Header=BB341_10 Depth=1
	s_or_b32 exec_lo, exec_lo, s3
	s_add_i32 s6, s6, 1
	s_delay_alu instid0(SALU_CYCLE_1)
	s_cmp_ge_i32 s6, s8
	s_cbranch_scc1 .LBB341_9
	s_branch .LBB341_21
.LBB341_18:                             ;   in Loop: Header=BB341_10 Depth=1
	v_cmp_eq_f32_e64 s0, v26, v29
	s_waitcnt lgkmcnt(0)
	v_cmp_lt_i32_e64 s1, v28, v24
	s_delay_alu instid0(VALU_DEP_1) | instskip(SKIP_2) | instid1(SALU_CYCLE_1)
	s_and_b32 s0, s0, s1
	s_and_not1_b32 s1, s3, exec_lo
	s_and_b32 s0, s0, exec_lo
	s_or_b32 s3, s1, s0
	s_or_b32 exec_lo, exec_lo, s4
	s_and_saveexec_b32 s0, s3
	s_cbranch_execz .LBB341_16
.LBB341_19:                             ;   in Loop: Header=BB341_10 Depth=1
	s_waitcnt lgkmcnt(0)
	v_dual_mov_b32 v24, v28 :: v_dual_mov_b32 v25, v27
	s_or_b32 exec_lo, exec_lo, s0
	s_and_saveexec_b32 s3, s2
	s_cbranch_execz .LBB341_17
.LBB341_20:                             ;   in Loop: Header=BB341_10 Depth=1
	s_delay_alu instid0(VALU_DEP_1)
	v_dual_add_f32 v33, v19, v25 :: v_dual_add_nc_u32 v26, s6, v20
	v_cmp_le_i32_e64 s0, s9, v24
	v_cmp_gt_i32_e64 s1, s10, v24
	s_waitcnt lgkmcnt(0)
	v_subrev_nc_u32_e32 v28, s9, v24
	v_ashrrev_i32_e32 v27, 31, v26
	v_cndmask_b32_e32 v19, v19, v33, vcc_lo
	s_and_b32 s0, s0, s1
	s_delay_alu instid0(SALU_CYCLE_1) | instskip(NEXT) | instid1(VALU_DEP_2)
	s_and_b32 s0, s19, s0
	v_lshlrev_b64 v[26:27], 2, v[26:27]
	v_cndmask_b32_e64 v32, 32, v28, s0
	s_delay_alu instid0(VALU_DEP_2) | instskip(NEXT) | instid1(VALU_DEP_1)
	v_add_co_u32 v28, s0, s16, v26
	v_add_co_ci_u32_e64 v29, s0, s17, v27, s0
	v_add_co_u32 v30, s0, s12, v26
	s_delay_alu instid0(VALU_DEP_1) | instskip(SKIP_1) | instid1(VALU_DEP_1)
	v_add_co_ci_u32_e64 v31, s0, s13, v27, s0
	v_add_co_u32 v26, s0, s14, v26
	v_add_co_ci_u32_e64 v27, s0, s15, v27, s0
	global_store_b32 v[28:29], v25, off
	global_store_b32 v[30:31], v32, off
	;; [unrolled: 1-line block ×3, first 2 shown]
	s_or_b32 exec_lo, exec_lo, s3
	s_add_i32 s6, s6, 1
	s_delay_alu instid0(SALU_CYCLE_1)
	s_cmp_ge_i32 s6, s8
	s_cbranch_scc1 .LBB341_9
.LBB341_21:                             ;   in Loop: Header=BB341_10 Depth=1
	v_ashrrev_i32_e32 v26, 31, v24
	s_mov_b32 s1, exec_lo
	s_delay_alu instid0(VALU_DEP_1) | instskip(NEXT) | instid1(VALU_DEP_1)
	v_lshrrev_b32_e32 v25, 29, v26
	v_add_nc_u32_e32 v25, v24, v25
	s_delay_alu instid0(VALU_DEP_1) | instskip(SKIP_1) | instid1(VALU_DEP_1)
	v_ashrrev_i32_e32 v25, 3, v25
	s_waitcnt lgkmcnt(1)
	v_lshrrev_b32_e32 v27, 30, v25
	s_delay_alu instid0(VALU_DEP_1) | instskip(NEXT) | instid1(VALU_DEP_1)
	v_add_nc_u32_e32 v27, v25, v27
	v_and_b32_e32 v27, -4, v27
	s_delay_alu instid0(VALU_DEP_1) | instskip(NEXT) | instid1(VALU_DEP_1)
	v_sub_nc_u32_e32 v27, v25, v27
	v_cmpx_eq_u32_e64 v17, v27
	s_cbranch_execz .LBB341_8
; %bb.22:                               ;   in Loop: Header=BB341_10 Depth=1
	v_lshrrev_b32_e32 v26, 27, v26
	v_lshlrev_b32_e32 v25, 3, v25
	s_delay_alu instid0(VALU_DEP_2) | instskip(NEXT) | instid1(VALU_DEP_2)
	v_add_nc_u32_e32 v26, v24, v26
	v_sub_nc_u32_e32 v24, v24, v25
	s_delay_alu instid0(VALU_DEP_2) | instskip(NEXT) | instid1(VALU_DEP_1)
	v_ashrrev_i32_e32 v25, 5, v26
	v_lshl_add_u32 v24, v25, 3, v24
	s_delay_alu instid0(VALU_DEP_1) | instskip(NEXT) | instid1(VALU_DEP_1)
	v_cmp_ne_u32_e64 s0, 7, v24
	v_cndmask_b32_e64 v15, 0xc61c4000, v15, s0
	v_cmp_ne_u32_e64 s0, 6, v24
	s_delay_alu instid0(VALU_DEP_1) | instskip(SKIP_1) | instid1(VALU_DEP_1)
	v_cndmask_b32_e64 v14, 0xc61c4000, v14, s0
	v_cmp_ne_u32_e64 s0, 5, v24
	v_cndmask_b32_e64 v13, 0xc61c4000, v13, s0
	v_cmp_ne_u32_e64 s0, 4, v24
	s_delay_alu instid0(VALU_DEP_1) | instskip(SKIP_1) | instid1(VALU_DEP_1)
	v_cndmask_b32_e64 v12, 0xc61c4000, v12, s0
	;; [unrolled: 5-line block ×3, first 2 shown]
	v_cmp_ne_u32_e64 s0, 1, v24
	v_cndmask_b32_e64 v9, 0xc61c4000, v9, s0
	v_cmp_ne_u32_e64 s0, 0, v24
	s_delay_alu instid0(VALU_DEP_1)
	v_cndmask_b32_e64 v8, 0xc61c4000, v8, s0
	s_branch .LBB341_8
.LBB341_23:
                                        ; implicit-def: $vgpr8_vgpr9_vgpr10_vgpr11_vgpr12_vgpr13_vgpr14_vgpr15
	s_and_not1_b32 vcc_lo, exec_lo, s9
	s_cbranch_vccz .LBB341_5
	s_branch .LBB341_6
.LBB341_24:
	v_mov_b32_e32 v19, 0
.LBB341_25:
	v_cmp_eq_u32_e64 s0, 0, v17
	s_delay_alu instid0(VALU_DEP_1) | instskip(NEXT) | instid1(SALU_CYCLE_1)
	s_and_b32 s0, s0, vcc_lo
	s_and_b32 exec_lo, exec_lo, s0
	s_cbranch_execz .LBB341_29
; %bb.26:
	s_and_not1_b32 vcc_lo, exec_lo, s5
	s_cbranch_vccnz .LBB341_29
; %bb.27:
	v_mul_lo_u32 v0, v16, s8
	v_cmp_lt_f32_e32 vcc_lo, 0, v19
	v_cndmask_b32_e32 v2, 1.0, v19, vcc_lo
	s_delay_alu instid0(VALU_DEP_3) | instskip(NEXT) | instid1(VALU_DEP_1)
	v_ashrrev_i32_e32 v1, 31, v0
	v_lshlrev_b64 v[0:1], 2, v[0:1]
	s_delay_alu instid0(VALU_DEP_1) | instskip(NEXT) | instid1(VALU_DEP_2)
	v_add_co_u32 v0, vcc_lo, s16, v0
	v_add_co_ci_u32_e32 v1, vcc_lo, s17, v1, vcc_lo
	.p2align	6
.LBB341_28:                             ; =>This Inner Loop Header: Depth=1
	global_load_b32 v3, v[0:1], off
	s_add_i32 s8, s8, -1
	s_delay_alu instid0(SALU_CYCLE_1) | instskip(SKIP_3) | instid1(VALU_DEP_2)
	s_cmp_lg_u32 s8, 0
	s_waitcnt vmcnt(0)
	v_div_scale_f32 v4, null, v2, v2, v3
	v_div_scale_f32 v7, vcc_lo, v3, v2, v3
	v_rcp_f32_e32 v5, v4
	s_waitcnt_depctr 0xfff
	v_fma_f32 v6, -v4, v5, 1.0
	s_delay_alu instid0(VALU_DEP_1) | instskip(NEXT) | instid1(VALU_DEP_1)
	v_fmac_f32_e32 v5, v6, v5
	v_mul_f32_e32 v6, v7, v5
	s_delay_alu instid0(VALU_DEP_1) | instskip(NEXT) | instid1(VALU_DEP_1)
	v_fma_f32 v8, -v4, v6, v7
	v_fmac_f32_e32 v6, v8, v5
	s_delay_alu instid0(VALU_DEP_1) | instskip(NEXT) | instid1(VALU_DEP_1)
	v_fma_f32 v4, -v4, v6, v7
	v_div_fmas_f32 v4, v4, v5, v6
	s_delay_alu instid0(VALU_DEP_1)
	v_div_fixup_f32 v3, v4, v2, v3
	global_store_b32 v[0:1], v3, off
	v_add_co_u32 v0, vcc_lo, v0, 4
	v_add_co_ci_u32_e32 v1, vcc_lo, 0, v1, vcc_lo
	s_cbranch_scc1 .LBB341_28
.LBB341_29:
	s_nop 0
	s_sendmsg sendmsg(MSG_DEALLOC_VGPRS)
	s_endpgm
	.section	.rodata,"a",@progbits
	.p2align	6, 0x0
	.amdhsa_kernel _ZN4vllm3moe10topkGatingILi8ELi32ELi4ELi16ELi64Ej14__hip_bfloat16LNS0_11ScoringFuncE1EEEvPKT5_PKbPfiPT4_PiiiibPKf
		.amdhsa_group_segment_fixed_size 0
		.amdhsa_private_segment_fixed_size 0
		.amdhsa_kernarg_size 72
		.amdhsa_user_sgpr_count 15
		.amdhsa_user_sgpr_dispatch_ptr 0
		.amdhsa_user_sgpr_queue_ptr 0
		.amdhsa_user_sgpr_kernarg_segment_ptr 1
		.amdhsa_user_sgpr_dispatch_id 0
		.amdhsa_user_sgpr_private_segment_size 0
		.amdhsa_wavefront_size32 1
		.amdhsa_uses_dynamic_stack 0
		.amdhsa_enable_private_segment 0
		.amdhsa_system_sgpr_workgroup_id_x 1
		.amdhsa_system_sgpr_workgroup_id_y 0
		.amdhsa_system_sgpr_workgroup_id_z 0
		.amdhsa_system_sgpr_workgroup_info 0
		.amdhsa_system_vgpr_workitem_id 1
		.amdhsa_next_free_vgpr 51
		.amdhsa_next_free_sgpr 20
		.amdhsa_reserve_vcc 1
		.amdhsa_float_round_mode_32 0
		.amdhsa_float_round_mode_16_64 0
		.amdhsa_float_denorm_mode_32 3
		.amdhsa_float_denorm_mode_16_64 3
		.amdhsa_dx10_clamp 1
		.amdhsa_ieee_mode 1
		.amdhsa_fp16_overflow 0
		.amdhsa_workgroup_processor_mode 1
		.amdhsa_memory_ordered 1
		.amdhsa_forward_progress 0
		.amdhsa_shared_vgpr_count 0
		.amdhsa_exception_fp_ieee_invalid_op 0
		.amdhsa_exception_fp_denorm_src 0
		.amdhsa_exception_fp_ieee_div_zero 0
		.amdhsa_exception_fp_ieee_overflow 0
		.amdhsa_exception_fp_ieee_underflow 0
		.amdhsa_exception_fp_ieee_inexact 0
		.amdhsa_exception_int_div_zero 0
	.end_amdhsa_kernel
	.section	.text._ZN4vllm3moe10topkGatingILi8ELi32ELi4ELi16ELi64Ej14__hip_bfloat16LNS0_11ScoringFuncE1EEEvPKT5_PKbPfiPT4_PiiiibPKf,"axG",@progbits,_ZN4vllm3moe10topkGatingILi8ELi32ELi4ELi16ELi64Ej14__hip_bfloat16LNS0_11ScoringFuncE1EEEvPKT5_PKbPfiPT4_PiiiibPKf,comdat
.Lfunc_end341:
	.size	_ZN4vllm3moe10topkGatingILi8ELi32ELi4ELi16ELi64Ej14__hip_bfloat16LNS0_11ScoringFuncE1EEEvPKT5_PKbPfiPT4_PiiiibPKf, .Lfunc_end341-_ZN4vllm3moe10topkGatingILi8ELi32ELi4ELi16ELi64Ej14__hip_bfloat16LNS0_11ScoringFuncE1EEEvPKT5_PKbPfiPT4_PiiiibPKf
                                        ; -- End function
	.section	.AMDGPU.csdata,"",@progbits
; Kernel info:
; codeLenInByte = 2768
; NumSgprs: 22
; NumVgprs: 51
; ScratchSize: 0
; MemoryBound: 0
; FloatMode: 240
; IeeeMode: 1
; LDSByteSize: 0 bytes/workgroup (compile time only)
; SGPRBlocks: 2
; VGPRBlocks: 6
; NumSGPRsForWavesPerEU: 22
; NumVGPRsForWavesPerEU: 51
; Occupancy: 16
; WaveLimiterHint : 0
; COMPUTE_PGM_RSRC2:SCRATCH_EN: 0
; COMPUTE_PGM_RSRC2:USER_SGPR: 15
; COMPUTE_PGM_RSRC2:TRAP_HANDLER: 0
; COMPUTE_PGM_RSRC2:TGID_X_EN: 1
; COMPUTE_PGM_RSRC2:TGID_Y_EN: 0
; COMPUTE_PGM_RSRC2:TGID_Z_EN: 0
; COMPUTE_PGM_RSRC2:TIDIG_COMP_CNT: 1
	.section	.text._ZN4vllm3moe10topkGatingILi8ELi32ELi4ELi16ELi32Ej14__hip_bfloat16LNS0_11ScoringFuncE1EEEvPKT5_PKbPfiPT4_PiiiibPKf,"axG",@progbits,_ZN4vllm3moe10topkGatingILi8ELi32ELi4ELi16ELi32Ej14__hip_bfloat16LNS0_11ScoringFuncE1EEEvPKT5_PKbPfiPT4_PiiiibPKf,comdat
	.protected	_ZN4vllm3moe10topkGatingILi8ELi32ELi4ELi16ELi32Ej14__hip_bfloat16LNS0_11ScoringFuncE1EEEvPKT5_PKbPfiPT4_PiiiibPKf ; -- Begin function _ZN4vllm3moe10topkGatingILi8ELi32ELi4ELi16ELi32Ej14__hip_bfloat16LNS0_11ScoringFuncE1EEEvPKT5_PKbPfiPT4_PiiiibPKf
	.globl	_ZN4vllm3moe10topkGatingILi8ELi32ELi4ELi16ELi32Ej14__hip_bfloat16LNS0_11ScoringFuncE1EEEvPKT5_PKbPfiPT4_PiiiibPKf
	.p2align	8
	.type	_ZN4vllm3moe10topkGatingILi8ELi32ELi4ELi16ELi32Ej14__hip_bfloat16LNS0_11ScoringFuncE1EEEvPKT5_PKbPfiPT4_PiiiibPKf,@function
_ZN4vllm3moe10topkGatingILi8ELi32ELi4ELi16ELi32Ej14__hip_bfloat16LNS0_11ScoringFuncE1EEEvPKT5_PKbPfiPT4_PiiiibPKf: ; @_ZN4vllm3moe10topkGatingILi8ELi32ELi4ELi16ELi32Ej14__hip_bfloat16LNS0_11ScoringFuncE1EEEvPKT5_PKbPfiPT4_PiiiibPKf
; %bb.0:
	s_load_b32 s18, s[0:1], 0x18
	v_bfe_u32 v1, v0, 10, 10
	v_and_b32_e32 v0, 0x3ff, v0
	s_lshl_b32 s2, s15, 5
	s_delay_alu instid0(VALU_DEP_2) | instskip(NEXT) | instid1(VALU_DEP_2)
	v_lshlrev_b32_e32 v1, 3, v1
	v_lshrrev_b32_e32 v2, 2, v0
	s_delay_alu instid0(VALU_DEP_1) | instskip(SKIP_2) | instid1(VALU_DEP_1)
	v_add3_u32 v16, s2, v1, v2
	s_mov_b32 s2, exec_lo
	s_waitcnt lgkmcnt(0)
	v_cmpx_gt_i32_e64 s18, v16
	s_cbranch_execz .LBB342_29
; %bb.1:
	s_clause 0x1
	s_load_b128 s[4:7], s[0:1], 0x0
	s_load_b64 s[16:17], s[0:1], 0x10
	s_mov_b32 s9, -1
	s_mov_b32 s19, -1
	s_waitcnt lgkmcnt(0)
	s_cmp_eq_u64 s[6:7], 0
	s_cbranch_scc1 .LBB342_3
; %bb.2:
	v_ashrrev_i32_e32 v2, 31, v16
	v_add_co_u32 v1, vcc_lo, s6, v16
	s_delay_alu instid0(VALU_DEP_2) | instskip(SKIP_3) | instid1(VALU_DEP_1)
	v_add_co_ci_u32_e32 v2, vcc_lo, s7, v2, vcc_lo
	global_load_u8 v1, v[1:2], off
	s_waitcnt vmcnt(0)
	v_and_b32_e32 v1, 1, v1
	v_cmp_eq_u32_e32 vcc_lo, 1, v1
	s_xor_b32 s2, vcc_lo, -1
	s_delay_alu instid0(SALU_CYCLE_1)
	s_or_not1_b32 s19, s2, exec_lo
.LBB342_3:
	v_lshlrev_b32_e32 v1, 5, v16
	v_and_b32_e32 v17, 3, v0
	s_load_b64 s[10:11], s[0:1], 0x40
	s_delay_alu instid0(VALU_DEP_2) | instskip(NEXT) | instid1(VALU_DEP_1)
	v_ashrrev_i32_e32 v2, 31, v1
	v_lshlrev_b64 v[0:1], 1, v[1:2]
	s_delay_alu instid0(VALU_DEP_3) | instskip(NEXT) | instid1(VALU_DEP_2)
	v_lshlrev_b32_e32 v2, 4, v17
	v_add_co_u32 v0, vcc_lo, s4, v0
	s_delay_alu instid0(VALU_DEP_3) | instskip(NEXT) | instid1(VALU_DEP_2)
	v_add_co_ci_u32_e32 v1, vcc_lo, s5, v1, vcc_lo
	v_add_co_u32 v0, vcc_lo, v0, v2
	s_delay_alu instid0(VALU_DEP_2)
	v_add_co_ci_u32_e32 v1, vcc_lo, 0, v1, vcc_lo
	s_waitcnt lgkmcnt(0)
	s_cmp_eq_u64 s[10:11], 0
	global_load_b128 v[0:3], v[0:1], off
	s_waitcnt vmcnt(0)
	v_lshlrev_b32_e32 v5, 16, v1
	s_delay_alu instid0(VALU_DEP_1) | instskip(NEXT) | instid1(VALU_DEP_1)
	v_dual_mul_f32 v5, 0xbfb8aa3b, v5 :: v_dual_lshlrev_b32 v4, 16, v0
	v_mul_f32_e32 v4, 0xbfb8aa3b, v4
	s_delay_alu instid0(VALU_DEP_2) | instskip(NEXT) | instid1(VALU_DEP_1)
	v_exp_f32_e32 v5, v5
	v_exp_f32_e32 v4, v4
	v_and_b32_e32 v1, 0xffff0000, v1
	s_waitcnt_depctr 0xfff
	v_dual_add_f32 v5, 1.0, v5 :: v_dual_and_b32 v0, 0xffff0000, v0
	v_add_f32_e32 v4, 1.0, v4
	v_dual_mul_f32 v1, 0xbfb8aa3b, v1 :: v_dual_lshlrev_b32 v6, 16, v2
	s_delay_alu instid0(VALU_DEP_3) | instskip(NEXT) | instid1(VALU_DEP_4)
	v_dual_mul_f32 v0, 0xbfb8aa3b, v0 :: v_dual_lshlrev_b32 v7, 16, v3
	v_div_scale_f32 v12, null, v5, v5, 1.0
	s_delay_alu instid0(VALU_DEP_3) | instskip(SKIP_1) | instid1(VALU_DEP_3)
	v_exp_f32_e32 v1, v1
	v_and_b32_e32 v2, 0xffff0000, v2
	v_exp_f32_e32 v0, v0
	v_and_b32_e32 v3, 0xffff0000, v3
	v_dual_mul_f32 v6, 0xbfb8aa3b, v6 :: v_dual_mul_f32 v7, 0xbfb8aa3b, v7
	v_rcp_f32_e32 v28, v12
	v_div_scale_f32 v13, s3, 1.0, v5, 1.0
	s_delay_alu instid0(VALU_DEP_2) | instskip(SKIP_1) | instid1(TRANS32_DEP_3)
	v_exp_f32_e32 v6, v6
	v_dual_add_f32 v1, 1.0, v1 :: v_dual_mul_f32 v2, 0xbfb8aa3b, v2
	v_dual_add_f32 v0, 1.0, v0 :: v_dual_mul_f32 v3, 0xbfb8aa3b, v3
	v_lshlrev_b32_e32 v18, 3, v17
	v_exp_f32_e32 v7, v7
	s_delay_alu instid0(VALU_DEP_3) | instskip(NEXT) | instid1(VALU_DEP_2)
	v_exp_f32_e32 v2, v2
	v_div_scale_f32 v10, null, v0, v0, 1.0
	v_exp_f32_e32 v3, v3
	v_add_f32_e32 v6, 1.0, v6
	v_div_scale_f32 v14, null, v1, v1, 1.0
	s_delay_alu instid0(VALU_DEP_3) | instskip(SKIP_1) | instid1(TRANS32_DEP_3)
	v_rcp_f32_e32 v27, v10
	v_fma_f32 v37, -v12, v28, 1.0
	v_dual_add_f32 v7, 1.0, v7 :: v_dual_add_f32 v8, 1.0, v2
	v_div_scale_f32 v2, null, v4, v4, 1.0
	s_delay_alu instid0(TRANS32_DEP_2) | instskip(SKIP_1) | instid1(VALU_DEP_4)
	v_add_f32_e32 v9, 1.0, v3
	v_div_scale_f32 v19, null, v6, v6, 1.0
	v_div_scale_f32 v21, null, v8, v8, 1.0
	s_delay_alu instid0(VALU_DEP_4) | instskip(NEXT) | instid1(VALU_DEP_2)
	v_rcp_f32_e32 v26, v2
	v_rcp_f32_e32 v30, v19
	v_rcp_f32_e32 v29, v14
	s_delay_alu instid0(VALU_DEP_1)
	v_rcp_f32_e32 v31, v21
	v_div_scale_f32 v23, null, v7, v7, 1.0
	v_fma_f32 v36, -v10, v27, 1.0
	v_div_scale_f32 v3, vcc_lo, 1.0, v4, 1.0
	v_div_scale_f32 v11, s2, 1.0, v0, 1.0
	v_fma_f32 v35, -v2, v26, 1.0
	s_delay_alu instid0(TRANS32_DEP_3) | instskip(NEXT) | instid1(TRANS32_DEP_1)
	v_fma_f32 v39, -v19, v30, 1.0
	v_fma_f32 v40, -v21, v31, 1.0
	s_delay_alu instid0(TRANS32_DEP_2) | instskip(SKIP_3) | instid1(VALU_DEP_3)
	v_fma_f32 v38, -v14, v29, 1.0
	v_div_scale_f32 v25, null, v9, v9, 1.0
	v_dual_fmac_f32 v26, v35, v26 :: v_dual_fmac_f32 v27, v36, v27
	v_rcp_f32_e32 v32, v23
	v_dual_fmac_f32 v28, v37, v28 :: v_dual_fmac_f32 v29, v38, v29
	v_div_scale_f32 v22, s6, 1.0, v8, 1.0
	v_dual_fmac_f32 v30, v39, v30 :: v_dual_fmac_f32 v31, v40, v31
	v_mul_f32_e32 v35, v3, v26
	v_div_scale_f32 v15, s4, 1.0, v1, 1.0
	v_rcp_f32_e32 v33, v25
	s_delay_alu instid0(VALU_DEP_3)
	v_mul_f32_e32 v40, v22, v31
	v_dual_mul_f32 v36, v11, v27 :: v_dual_mul_f32 v37, v13, v28
	v_div_scale_f32 v20, s5, 1.0, v6, 1.0
	v_fma_f32 v43, -v2, v35, v3
	v_mul_f32_e32 v38, v15, v29
	v_fma_f32 v41, -v23, v32, 1.0
	s_delay_alu instid0(VALU_DEP_4)
	v_mul_f32_e32 v39, v20, v30
	v_fma_f32 v44, -v10, v36, v11
	v_fma_f32 v45, -v12, v37, v13
	v_fmac_f32_e32 v35, v43, v26
	v_fma_f32 v46, -v14, v38, v15
	v_div_scale_f32 v24, s7, 1.0, v7, 1.0
	v_fmac_f32_e32 v36, v44, v27
	v_fma_f32 v42, -v25, v33, 1.0
	v_fmac_f32_e32 v32, v41, v32
	v_fma_f32 v47, -v19, v39, v20
	v_dual_fmac_f32 v37, v45, v28 :: v_dual_fmac_f32 v38, v46, v29
	v_fma_f32 v48, -v21, v40, v22
	v_fma_f32 v2, -v2, v35, v3
	v_div_scale_f32 v34, s8, 1.0, v9, 1.0
	v_fmac_f32_e32 v33, v42, v33
	v_mul_f32_e32 v41, v24, v32
	v_fma_f32 v3, -v10, v36, v11
	v_dual_fmac_f32 v39, v47, v30 :: v_dual_fmac_f32 v40, v48, v31
	v_fma_f32 v10, -v12, v37, v13
	v_div_fmas_f32 v2, v2, v26, v35
	s_mov_b32 vcc_lo, s2
	v_fma_f32 v11, -v14, v38, v15
	v_mul_f32_e32 v42, v34, v33
	v_fma_f32 v49, -v23, v41, v24
	v_div_fmas_f32 v3, v3, v27, v36
	s_mov_b32 vcc_lo, s3
	v_fma_f32 v12, -v19, v39, v20
	v_div_fmas_f32 v10, v10, v28, v37
	s_mov_b32 vcc_lo, s4
	v_fma_f32 v13, -v21, v40, v22
	v_div_fixup_f32 v2, v2, v4, 1.0
	v_div_fmas_f32 v4, v11, v29, v38
	s_mov_b32 vcc_lo, s5
	v_fma_f32 v50, -v25, v42, v34
	v_fmac_f32_e32 v41, v49, v32
	v_div_fmas_f32 v11, v12, v30, v39
	s_mov_b32 vcc_lo, s6
	v_div_fixup_f32 v5, v10, v5, 1.0
	v_fmac_f32_e32 v42, v50, v33
	v_div_fmas_f32 v10, v13, v31, v40
	v_cmp_class_f32_e64 vcc_lo, v2, 0x1f8
	v_fma_f32 v14, -v23, v41, v24
	v_div_fixup_f32 v3, v3, v0, 1.0
	v_fma_f32 v15, -v25, v42, v34
	v_div_fixup_f32 v4, v4, v1, 1.0
	v_cndmask_b32_e32 v0, 0, v2, vcc_lo
	s_mov_b32 vcc_lo, s7
	v_div_fixup_f32 v6, v11, v6, 1.0
	v_div_fmas_f32 v12, v14, v32, v41
	v_cmp_class_f32_e64 vcc_lo, v3, 0x1f8
	s_delay_alu instid0(VALU_DEP_2)
	v_div_fixup_f32 v7, v12, v7, 1.0
	v_cndmask_b32_e32 v1, 0, v3, vcc_lo
	s_mov_b32 vcc_lo, s8
	v_div_fmas_f32 v11, v15, v33, v42
	v_cmp_class_f32_e64 vcc_lo, v5, 0x1f8
	v_cndmask_b32_e32 v2, 0, v5, vcc_lo
	v_cmp_class_f32_e64 vcc_lo, v4, 0x1f8
	v_div_fixup_f32 v5, v10, v8, 1.0
	v_div_fixup_f32 v8, v11, v9, 1.0
	v_cndmask_b32_e32 v3, 0, v4, vcc_lo
	v_cmp_class_f32_e64 vcc_lo, v6, 0x1f8
	v_cndmask_b32_e32 v4, 0, v6, vcc_lo
	v_cmp_class_f32_e64 vcc_lo, v5, 0x1f8
	v_cndmask_b32_e32 v5, 0, v5, vcc_lo
	v_cmp_class_f32_e64 vcc_lo, v7, 0x1f8
	v_cndmask_b32_e32 v6, 0, v7, vcc_lo
	v_cmp_class_f32_e64 vcc_lo, v8, 0x1f8
	v_cndmask_b32_e32 v7, 0, v8, vcc_lo
	s_cbranch_scc1 .LBB342_23
; %bb.4:
	v_lshlrev_b32_e32 v12, 2, v18
	s_clause 0x1
	global_load_b128 v[8:11], v12, s[10:11]
	global_load_b128 v[12:15], v12, s[10:11] offset:16
	s_waitcnt vmcnt(1)
	v_dual_add_f32 v9, v9, v1 :: v_dual_add_f32 v8, v8, v0
	v_dual_add_f32 v11, v11, v3 :: v_dual_add_f32 v10, v10, v2
	s_waitcnt vmcnt(0)
	v_dual_add_f32 v13, v13, v5 :: v_dual_add_f32 v12, v12, v4
	v_dual_add_f32 v15, v15, v7 :: v_dual_add_f32 v14, v14, v6
	s_cbranch_execnz .LBB342_6
.LBB342_5:
	v_dual_mov_b32 v15, v7 :: v_dual_mov_b32 v14, v6
	v_dual_mov_b32 v13, v5 :: v_dual_mov_b32 v12, v4
	;; [unrolled: 1-line block ×4, first 2 shown]
.LBB342_6:
	s_load_b128 s[8:11], s[0:1], 0x30
	v_cmp_eq_u32_e64 s2, 0, v17
	s_mov_b32 s6, 0
	s_waitcnt lgkmcnt(0)
	s_bitcmp1_b32 s11, 0
	s_cselect_b32 vcc_lo, -1, 0
	s_cmp_gt_i32 s8, 0
	s_cselect_b32 s5, -1, 0
	s_cmp_lt_i32 s8, 1
	s_cbranch_scc1 .LBB342_24
; %bb.7:
	v_mbcnt_lo_u32_b32 v19, -1, 0
	s_load_b128 s[12:15], s[0:1], 0x20
	s_delay_alu instid0(VALU_DEP_1) | instskip(SKIP_2) | instid1(VALU_DEP_3)
	v_dual_mov_b32 v23, v16 :: v_dual_and_b32 v20, 28, v19
	v_xor_b32_e32 v21, 2, v19
	v_xor_b32_e32 v22, 1, v19
	v_add_nc_u32_e32 v20, 4, v20
	s_delay_alu instid0(VALU_DEP_1) | instskip(NEXT) | instid1(VALU_DEP_1)
	v_cmp_lt_i32_e64 s0, v21, v20
	v_cndmask_b32_e64 v21, v19, v21, s0
	s_delay_alu instid0(VALU_DEP_4) | instskip(SKIP_1) | instid1(VALU_DEP_3)
	v_cmp_lt_i32_e64 s0, v22, v20
	v_mul_lo_u32 v20, v16, s8
	v_lshlrev_b32_e32 v21, 2, v21
	s_delay_alu instid0(VALU_DEP_3) | instskip(NEXT) | instid1(VALU_DEP_1)
	v_cndmask_b32_e64 v22, v19, v22, s0
	v_dual_mov_b32 v19, 0 :: v_dual_lshlrev_b32 v22, 2, v22
	s_branch .LBB342_10
.LBB342_8:                              ;   in Loop: Header=BB342_10 Depth=1
	s_or_b32 exec_lo, exec_lo, s1
.LBB342_9:                              ;   in Loop: Header=BB342_10 Depth=1
	v_add_nc_u32_e32 v23, s18, v23
	s_cmp_eq_u32 s8, s6
	s_cbranch_scc1 .LBB342_25
.LBB342_10:                             ; =>This Inner Loop Header: Depth=1
	v_cmp_gt_f32_e64 s0, v9, v8
	s_delay_alu instid0(VALU_DEP_1) | instskip(SKIP_2) | instid1(VALU_DEP_3)
	v_cndmask_b32_e64 v25, v8, v9, s0
	v_cndmask_b32_e64 v24, 0, 1, s0
	;; [unrolled: 1-line block ×3, first 2 shown]
	v_cmp_gt_f32_e64 s1, v10, v25
	s_delay_alu instid0(VALU_DEP_1) | instskip(NEXT) | instid1(VALU_DEP_4)
	v_cndmask_b32_e64 v25, v25, v10, s1
	v_cndmask_b32_e64 v24, v24, 2, s1
	s_delay_alu instid0(VALU_DEP_4) | instskip(NEXT) | instid1(VALU_DEP_3)
	v_cndmask_b32_e64 v26, v26, v2, s1
	v_cmp_gt_f32_e64 s3, v11, v25
	s_delay_alu instid0(VALU_DEP_1) | instskip(NEXT) | instid1(VALU_DEP_4)
	v_cndmask_b32_e64 v25, v25, v11, s3
	v_cndmask_b32_e64 v24, v24, 3, s3
	s_delay_alu instid0(VALU_DEP_4) | instskip(NEXT) | instid1(VALU_DEP_3)
	v_cndmask_b32_e64 v26, v26, v3, s3
	v_cmp_gt_f32_e64 s4, v12, v25
	s_delay_alu instid0(VALU_DEP_1) | instskip(NEXT) | instid1(VALU_DEP_4)
	v_cndmask_b32_e64 v25, v25, v12, s4
	v_cndmask_b32_e64 v24, v24, 4, s4
	s_delay_alu instid0(VALU_DEP_4) | instskip(SKIP_1) | instid1(VALU_DEP_3)
	v_cndmask_b32_e64 v26, v26, v4, s4
	s_mov_b32 s4, exec_lo
	v_cmp_gt_f32_e64 s0, v13, v25
	s_delay_alu instid0(VALU_DEP_1) | instskip(SKIP_2) | instid1(VALU_DEP_3)
	v_cndmask_b32_e64 v25, v25, v13, s0
	v_cndmask_b32_e64 v24, v24, 5, s0
	;; [unrolled: 1-line block ×3, first 2 shown]
	v_cmp_gt_f32_e64 s1, v14, v25
	s_delay_alu instid0(VALU_DEP_1) | instskip(NEXT) | instid1(VALU_DEP_4)
	v_cndmask_b32_e64 v25, v25, v14, s1
	v_cndmask_b32_e64 v24, v24, 6, s1
	s_waitcnt lgkmcnt(0)
	v_cndmask_b32_e64 v27, v26, v6, s1
	s_delay_alu instid0(VALU_DEP_3) | instskip(NEXT) | instid1(VALU_DEP_1)
	v_cmp_gt_f32_e64 s0, v15, v25
	v_cndmask_b32_e64 v24, v24, 7, s0
	v_cndmask_b32_e64 v26, v25, v15, s0
	s_delay_alu instid0(VALU_DEP_4) | instskip(NEXT) | instid1(VALU_DEP_3)
	v_cndmask_b32_e64 v25, v27, v7, s0
	v_or_b32_e32 v24, v18, v24
	ds_bpermute_b32 v27, v21, v26
	ds_bpermute_b32 v29, v21, v25
	;; [unrolled: 1-line block ×3, first 2 shown]
	s_waitcnt lgkmcnt(0)
	v_cmp_lt_f32_e64 s3, v26, v27
	v_cmpx_nlt_f32_e32 v26, v27
; %bb.11:                               ;   in Loop: Header=BB342_10 Depth=1
	v_cmp_eq_f32_e64 s0, v26, v27
	v_cmp_lt_i32_e64 s1, v28, v24
	s_delay_alu instid0(VALU_DEP_1) | instskip(SKIP_2) | instid1(SALU_CYCLE_1)
	s_and_b32 s0, s0, s1
	s_and_not1_b32 s1, s3, exec_lo
	s_and_b32 s0, s0, exec_lo
	s_or_b32 s3, s1, s0
; %bb.12:                               ;   in Loop: Header=BB342_10 Depth=1
	s_or_b32 exec_lo, exec_lo, s4
	s_and_saveexec_b32 s0, s3
; %bb.13:                               ;   in Loop: Header=BB342_10 Depth=1
	v_dual_mov_b32 v25, v29 :: v_dual_mov_b32 v26, v27
	v_mov_b32_e32 v24, v28
; %bb.14:                               ;   in Loop: Header=BB342_10 Depth=1
	s_or_b32 exec_lo, exec_lo, s0
	ds_bpermute_b32 v29, v22, v26
	ds_bpermute_b32 v27, v22, v25
	;; [unrolled: 1-line block ×3, first 2 shown]
	s_mov_b32 s4, exec_lo
	s_waitcnt lgkmcnt(2)
	v_cmp_lt_f32_e64 s3, v26, v29
	v_cmpx_nlt_f32_e32 v26, v29
	s_cbranch_execnz .LBB342_18
; %bb.15:                               ;   in Loop: Header=BB342_10 Depth=1
	s_or_b32 exec_lo, exec_lo, s4
	s_delay_alu instid0(VALU_DEP_2)
	s_and_saveexec_b32 s0, s3
	s_cbranch_execnz .LBB342_19
.LBB342_16:                             ;   in Loop: Header=BB342_10 Depth=1
	s_or_b32 exec_lo, exec_lo, s0
	s_and_saveexec_b32 s3, s2
	s_cbranch_execnz .LBB342_20
.LBB342_17:                             ;   in Loop: Header=BB342_10 Depth=1
	s_or_b32 exec_lo, exec_lo, s3
	s_add_i32 s6, s6, 1
	s_delay_alu instid0(SALU_CYCLE_1)
	s_cmp_ge_i32 s6, s8
	s_cbranch_scc1 .LBB342_9
	s_branch .LBB342_21
.LBB342_18:                             ;   in Loop: Header=BB342_10 Depth=1
	v_cmp_eq_f32_e64 s0, v26, v29
	s_waitcnt lgkmcnt(0)
	v_cmp_lt_i32_e64 s1, v28, v24
	s_delay_alu instid0(VALU_DEP_1) | instskip(SKIP_2) | instid1(SALU_CYCLE_1)
	s_and_b32 s0, s0, s1
	s_and_not1_b32 s1, s3, exec_lo
	s_and_b32 s0, s0, exec_lo
	s_or_b32 s3, s1, s0
	s_or_b32 exec_lo, exec_lo, s4
	s_and_saveexec_b32 s0, s3
	s_cbranch_execz .LBB342_16
.LBB342_19:                             ;   in Loop: Header=BB342_10 Depth=1
	s_waitcnt lgkmcnt(0)
	v_dual_mov_b32 v24, v28 :: v_dual_mov_b32 v25, v27
	s_or_b32 exec_lo, exec_lo, s0
	s_and_saveexec_b32 s3, s2
	s_cbranch_execz .LBB342_17
.LBB342_20:                             ;   in Loop: Header=BB342_10 Depth=1
	s_delay_alu instid0(VALU_DEP_1)
	v_dual_add_f32 v33, v19, v25 :: v_dual_add_nc_u32 v26, s6, v20
	v_cmp_le_i32_e64 s0, s9, v24
	v_cmp_gt_i32_e64 s1, s10, v24
	s_waitcnt lgkmcnt(0)
	v_subrev_nc_u32_e32 v28, s9, v24
	v_ashrrev_i32_e32 v27, 31, v26
	v_cndmask_b32_e32 v19, v19, v33, vcc_lo
	s_and_b32 s0, s0, s1
	s_delay_alu instid0(SALU_CYCLE_1) | instskip(NEXT) | instid1(VALU_DEP_2)
	s_and_b32 s0, s19, s0
	v_lshlrev_b64 v[26:27], 2, v[26:27]
	v_cndmask_b32_e64 v32, 32, v28, s0
	s_delay_alu instid0(VALU_DEP_2) | instskip(NEXT) | instid1(VALU_DEP_1)
	v_add_co_u32 v28, s0, s16, v26
	v_add_co_ci_u32_e64 v29, s0, s17, v27, s0
	v_add_co_u32 v30, s0, s12, v26
	s_delay_alu instid0(VALU_DEP_1) | instskip(SKIP_1) | instid1(VALU_DEP_1)
	v_add_co_ci_u32_e64 v31, s0, s13, v27, s0
	v_add_co_u32 v26, s0, s14, v26
	v_add_co_ci_u32_e64 v27, s0, s15, v27, s0
	global_store_b32 v[28:29], v25, off
	global_store_b32 v[30:31], v32, off
	;; [unrolled: 1-line block ×3, first 2 shown]
	s_or_b32 exec_lo, exec_lo, s3
	s_add_i32 s6, s6, 1
	s_delay_alu instid0(SALU_CYCLE_1)
	s_cmp_ge_i32 s6, s8
	s_cbranch_scc1 .LBB342_9
.LBB342_21:                             ;   in Loop: Header=BB342_10 Depth=1
	v_ashrrev_i32_e32 v26, 31, v24
	s_mov_b32 s1, exec_lo
	s_delay_alu instid0(VALU_DEP_1) | instskip(NEXT) | instid1(VALU_DEP_1)
	v_lshrrev_b32_e32 v25, 29, v26
	v_add_nc_u32_e32 v25, v24, v25
	s_delay_alu instid0(VALU_DEP_1) | instskip(SKIP_1) | instid1(VALU_DEP_1)
	v_ashrrev_i32_e32 v25, 3, v25
	s_waitcnt lgkmcnt(1)
	v_lshrrev_b32_e32 v27, 30, v25
	s_delay_alu instid0(VALU_DEP_1) | instskip(NEXT) | instid1(VALU_DEP_1)
	v_add_nc_u32_e32 v27, v25, v27
	v_and_b32_e32 v27, -4, v27
	s_delay_alu instid0(VALU_DEP_1) | instskip(NEXT) | instid1(VALU_DEP_1)
	v_sub_nc_u32_e32 v27, v25, v27
	v_cmpx_eq_u32_e64 v17, v27
	s_cbranch_execz .LBB342_8
; %bb.22:                               ;   in Loop: Header=BB342_10 Depth=1
	v_lshrrev_b32_e32 v26, 27, v26
	v_lshlrev_b32_e32 v25, 3, v25
	s_delay_alu instid0(VALU_DEP_2) | instskip(NEXT) | instid1(VALU_DEP_2)
	v_add_nc_u32_e32 v26, v24, v26
	v_sub_nc_u32_e32 v24, v24, v25
	s_delay_alu instid0(VALU_DEP_2) | instskip(NEXT) | instid1(VALU_DEP_1)
	v_ashrrev_i32_e32 v25, 5, v26
	v_lshl_add_u32 v24, v25, 3, v24
	s_delay_alu instid0(VALU_DEP_1) | instskip(NEXT) | instid1(VALU_DEP_1)
	v_cmp_ne_u32_e64 s0, 7, v24
	v_cndmask_b32_e64 v15, 0xc61c4000, v15, s0
	v_cmp_ne_u32_e64 s0, 6, v24
	s_delay_alu instid0(VALU_DEP_1) | instskip(SKIP_1) | instid1(VALU_DEP_1)
	v_cndmask_b32_e64 v14, 0xc61c4000, v14, s0
	v_cmp_ne_u32_e64 s0, 5, v24
	v_cndmask_b32_e64 v13, 0xc61c4000, v13, s0
	v_cmp_ne_u32_e64 s0, 4, v24
	s_delay_alu instid0(VALU_DEP_1) | instskip(SKIP_1) | instid1(VALU_DEP_1)
	v_cndmask_b32_e64 v12, 0xc61c4000, v12, s0
	;; [unrolled: 5-line block ×3, first 2 shown]
	v_cmp_ne_u32_e64 s0, 1, v24
	v_cndmask_b32_e64 v9, 0xc61c4000, v9, s0
	v_cmp_ne_u32_e64 s0, 0, v24
	s_delay_alu instid0(VALU_DEP_1)
	v_cndmask_b32_e64 v8, 0xc61c4000, v8, s0
	s_branch .LBB342_8
.LBB342_23:
                                        ; implicit-def: $vgpr8_vgpr9_vgpr10_vgpr11_vgpr12_vgpr13_vgpr14_vgpr15
	s_and_not1_b32 vcc_lo, exec_lo, s9
	s_cbranch_vccz .LBB342_5
	s_branch .LBB342_6
.LBB342_24:
	v_mov_b32_e32 v19, 0
.LBB342_25:
	v_cmp_eq_u32_e64 s0, 0, v17
	s_delay_alu instid0(VALU_DEP_1) | instskip(NEXT) | instid1(SALU_CYCLE_1)
	s_and_b32 s0, s0, vcc_lo
	s_and_b32 exec_lo, exec_lo, s0
	s_cbranch_execz .LBB342_29
; %bb.26:
	s_and_not1_b32 vcc_lo, exec_lo, s5
	s_cbranch_vccnz .LBB342_29
; %bb.27:
	v_mul_lo_u32 v0, v16, s8
	v_cmp_lt_f32_e32 vcc_lo, 0, v19
	v_cndmask_b32_e32 v2, 1.0, v19, vcc_lo
	s_delay_alu instid0(VALU_DEP_3) | instskip(NEXT) | instid1(VALU_DEP_1)
	v_ashrrev_i32_e32 v1, 31, v0
	v_lshlrev_b64 v[0:1], 2, v[0:1]
	s_delay_alu instid0(VALU_DEP_1) | instskip(NEXT) | instid1(VALU_DEP_2)
	v_add_co_u32 v0, vcc_lo, s16, v0
	v_add_co_ci_u32_e32 v1, vcc_lo, s17, v1, vcc_lo
	.p2align	6
.LBB342_28:                             ; =>This Inner Loop Header: Depth=1
	global_load_b32 v3, v[0:1], off
	s_add_i32 s8, s8, -1
	s_delay_alu instid0(SALU_CYCLE_1) | instskip(SKIP_3) | instid1(VALU_DEP_2)
	s_cmp_lg_u32 s8, 0
	s_waitcnt vmcnt(0)
	v_div_scale_f32 v4, null, v2, v2, v3
	v_div_scale_f32 v7, vcc_lo, v3, v2, v3
	v_rcp_f32_e32 v5, v4
	s_waitcnt_depctr 0xfff
	v_fma_f32 v6, -v4, v5, 1.0
	s_delay_alu instid0(VALU_DEP_1) | instskip(NEXT) | instid1(VALU_DEP_1)
	v_fmac_f32_e32 v5, v6, v5
	v_mul_f32_e32 v6, v7, v5
	s_delay_alu instid0(VALU_DEP_1) | instskip(NEXT) | instid1(VALU_DEP_1)
	v_fma_f32 v8, -v4, v6, v7
	v_fmac_f32_e32 v6, v8, v5
	s_delay_alu instid0(VALU_DEP_1) | instskip(NEXT) | instid1(VALU_DEP_1)
	v_fma_f32 v4, -v4, v6, v7
	v_div_fmas_f32 v4, v4, v5, v6
	s_delay_alu instid0(VALU_DEP_1)
	v_div_fixup_f32 v3, v4, v2, v3
	global_store_b32 v[0:1], v3, off
	v_add_co_u32 v0, vcc_lo, v0, 4
	v_add_co_ci_u32_e32 v1, vcc_lo, 0, v1, vcc_lo
	s_cbranch_scc1 .LBB342_28
.LBB342_29:
	s_nop 0
	s_sendmsg sendmsg(MSG_DEALLOC_VGPRS)
	s_endpgm
	.section	.rodata,"a",@progbits
	.p2align	6, 0x0
	.amdhsa_kernel _ZN4vllm3moe10topkGatingILi8ELi32ELi4ELi16ELi32Ej14__hip_bfloat16LNS0_11ScoringFuncE1EEEvPKT5_PKbPfiPT4_PiiiibPKf
		.amdhsa_group_segment_fixed_size 0
		.amdhsa_private_segment_fixed_size 0
		.amdhsa_kernarg_size 72
		.amdhsa_user_sgpr_count 15
		.amdhsa_user_sgpr_dispatch_ptr 0
		.amdhsa_user_sgpr_queue_ptr 0
		.amdhsa_user_sgpr_kernarg_segment_ptr 1
		.amdhsa_user_sgpr_dispatch_id 0
		.amdhsa_user_sgpr_private_segment_size 0
		.amdhsa_wavefront_size32 1
		.amdhsa_uses_dynamic_stack 0
		.amdhsa_enable_private_segment 0
		.amdhsa_system_sgpr_workgroup_id_x 1
		.amdhsa_system_sgpr_workgroup_id_y 0
		.amdhsa_system_sgpr_workgroup_id_z 0
		.amdhsa_system_sgpr_workgroup_info 0
		.amdhsa_system_vgpr_workitem_id 1
		.amdhsa_next_free_vgpr 51
		.amdhsa_next_free_sgpr 20
		.amdhsa_reserve_vcc 1
		.amdhsa_float_round_mode_32 0
		.amdhsa_float_round_mode_16_64 0
		.amdhsa_float_denorm_mode_32 3
		.amdhsa_float_denorm_mode_16_64 3
		.amdhsa_dx10_clamp 1
		.amdhsa_ieee_mode 1
		.amdhsa_fp16_overflow 0
		.amdhsa_workgroup_processor_mode 1
		.amdhsa_memory_ordered 1
		.amdhsa_forward_progress 0
		.amdhsa_shared_vgpr_count 0
		.amdhsa_exception_fp_ieee_invalid_op 0
		.amdhsa_exception_fp_denorm_src 0
		.amdhsa_exception_fp_ieee_div_zero 0
		.amdhsa_exception_fp_ieee_overflow 0
		.amdhsa_exception_fp_ieee_underflow 0
		.amdhsa_exception_fp_ieee_inexact 0
		.amdhsa_exception_int_div_zero 0
	.end_amdhsa_kernel
	.section	.text._ZN4vllm3moe10topkGatingILi8ELi32ELi4ELi16ELi32Ej14__hip_bfloat16LNS0_11ScoringFuncE1EEEvPKT5_PKbPfiPT4_PiiiibPKf,"axG",@progbits,_ZN4vllm3moe10topkGatingILi8ELi32ELi4ELi16ELi32Ej14__hip_bfloat16LNS0_11ScoringFuncE1EEEvPKT5_PKbPfiPT4_PiiiibPKf,comdat
.Lfunc_end342:
	.size	_ZN4vllm3moe10topkGatingILi8ELi32ELi4ELi16ELi32Ej14__hip_bfloat16LNS0_11ScoringFuncE1EEEvPKT5_PKbPfiPT4_PiiiibPKf, .Lfunc_end342-_ZN4vllm3moe10topkGatingILi8ELi32ELi4ELi16ELi32Ej14__hip_bfloat16LNS0_11ScoringFuncE1EEEvPKT5_PKbPfiPT4_PiiiibPKf
                                        ; -- End function
	.section	.AMDGPU.csdata,"",@progbits
; Kernel info:
; codeLenInByte = 2768
; NumSgprs: 22
; NumVgprs: 51
; ScratchSize: 0
; MemoryBound: 0
; FloatMode: 240
; IeeeMode: 1
; LDSByteSize: 0 bytes/workgroup (compile time only)
; SGPRBlocks: 2
; VGPRBlocks: 6
; NumSGPRsForWavesPerEU: 22
; NumVGPRsForWavesPerEU: 51
; Occupancy: 16
; WaveLimiterHint : 0
; COMPUTE_PGM_RSRC2:SCRATCH_EN: 0
; COMPUTE_PGM_RSRC2:USER_SGPR: 15
; COMPUTE_PGM_RSRC2:TRAP_HANDLER: 0
; COMPUTE_PGM_RSRC2:TGID_X_EN: 1
; COMPUTE_PGM_RSRC2:TGID_Y_EN: 0
; COMPUTE_PGM_RSRC2:TGID_Z_EN: 0
; COMPUTE_PGM_RSRC2:TIDIG_COMP_CNT: 1
	.section	.text._ZN4vllm3moe10topkGatingILi8ELi64ELi4ELi16ELi64Ej14__hip_bfloat16LNS0_11ScoringFuncE1EEEvPKT5_PKbPfiPT4_PiiiibPKf,"axG",@progbits,_ZN4vllm3moe10topkGatingILi8ELi64ELi4ELi16ELi64Ej14__hip_bfloat16LNS0_11ScoringFuncE1EEEvPKT5_PKbPfiPT4_PiiiibPKf,comdat
	.protected	_ZN4vllm3moe10topkGatingILi8ELi64ELi4ELi16ELi64Ej14__hip_bfloat16LNS0_11ScoringFuncE1EEEvPKT5_PKbPfiPT4_PiiiibPKf ; -- Begin function _ZN4vllm3moe10topkGatingILi8ELi64ELi4ELi16ELi64Ej14__hip_bfloat16LNS0_11ScoringFuncE1EEEvPKT5_PKbPfiPT4_PiiiibPKf
	.globl	_ZN4vllm3moe10topkGatingILi8ELi64ELi4ELi16ELi64Ej14__hip_bfloat16LNS0_11ScoringFuncE1EEEvPKT5_PKbPfiPT4_PiiiibPKf
	.p2align	8
	.type	_ZN4vllm3moe10topkGatingILi8ELi64ELi4ELi16ELi64Ej14__hip_bfloat16LNS0_11ScoringFuncE1EEEvPKT5_PKbPfiPT4_PiiiibPKf,@function
_ZN4vllm3moe10topkGatingILi8ELi64ELi4ELi16ELi64Ej14__hip_bfloat16LNS0_11ScoringFuncE1EEEvPKT5_PKbPfiPT4_PiiiibPKf: ; @_ZN4vllm3moe10topkGatingILi8ELi64ELi4ELi16ELi64Ej14__hip_bfloat16LNS0_11ScoringFuncE1EEEvPKT5_PKbPfiPT4_PiiiibPKf
; %bb.0:
	s_load_b32 s18, s[0:1], 0x18
	v_bfe_u32 v1, v0, 10, 10
	v_and_b32_e32 v0, 0x3ff, v0
	s_lshl_b32 s2, s15, 5
	s_delay_alu instid0(VALU_DEP_2) | instskip(NEXT) | instid1(VALU_DEP_2)
	v_lshlrev_b32_e32 v1, 3, v1
	v_lshrrev_b32_e32 v2, 3, v0
	s_delay_alu instid0(VALU_DEP_1) | instskip(SKIP_2) | instid1(VALU_DEP_1)
	v_add3_u32 v16, s2, v1, v2
	s_mov_b32 s2, exec_lo
	s_waitcnt lgkmcnt(0)
	v_cmpx_gt_i32_e64 s18, v16
	s_cbranch_execz .LBB343_33
; %bb.1:
	s_clause 0x1
	s_load_b128 s[4:7], s[0:1], 0x0
	s_load_b64 s[16:17], s[0:1], 0x10
	s_mov_b32 s9, -1
	s_mov_b32 s19, -1
	s_waitcnt lgkmcnt(0)
	s_cmp_eq_u64 s[6:7], 0
	s_cbranch_scc1 .LBB343_3
; %bb.2:
	v_ashrrev_i32_e32 v2, 31, v16
	v_add_co_u32 v1, vcc_lo, s6, v16
	s_delay_alu instid0(VALU_DEP_2) | instskip(SKIP_3) | instid1(VALU_DEP_1)
	v_add_co_ci_u32_e32 v2, vcc_lo, s7, v2, vcc_lo
	global_load_u8 v1, v[1:2], off
	s_waitcnt vmcnt(0)
	v_and_b32_e32 v1, 1, v1
	v_cmp_eq_u32_e32 vcc_lo, 1, v1
	s_xor_b32 s2, vcc_lo, -1
	s_delay_alu instid0(SALU_CYCLE_1)
	s_or_not1_b32 s19, s2, exec_lo
.LBB343_3:
	v_lshlrev_b32_e32 v1, 6, v16
	v_and_b32_e32 v17, 7, v0
	s_load_b64 s[10:11], s[0:1], 0x40
	s_delay_alu instid0(VALU_DEP_2) | instskip(NEXT) | instid1(VALU_DEP_1)
	v_ashrrev_i32_e32 v2, 31, v1
	v_lshlrev_b64 v[0:1], 1, v[1:2]
	s_delay_alu instid0(VALU_DEP_3) | instskip(NEXT) | instid1(VALU_DEP_2)
	v_lshlrev_b32_e32 v2, 4, v17
	v_add_co_u32 v0, vcc_lo, s4, v0
	s_delay_alu instid0(VALU_DEP_3) | instskip(NEXT) | instid1(VALU_DEP_2)
	v_add_co_ci_u32_e32 v1, vcc_lo, s5, v1, vcc_lo
	v_add_co_u32 v0, vcc_lo, v0, v2
	s_delay_alu instid0(VALU_DEP_2)
	v_add_co_ci_u32_e32 v1, vcc_lo, 0, v1, vcc_lo
	s_waitcnt lgkmcnt(0)
	s_cmp_eq_u64 s[10:11], 0
	global_load_b128 v[0:3], v[0:1], off
	s_waitcnt vmcnt(0)
	v_lshlrev_b32_e32 v5, 16, v1
	s_delay_alu instid0(VALU_DEP_1) | instskip(NEXT) | instid1(VALU_DEP_1)
	v_dual_mul_f32 v5, 0xbfb8aa3b, v5 :: v_dual_lshlrev_b32 v4, 16, v0
	v_mul_f32_e32 v4, 0xbfb8aa3b, v4
	s_delay_alu instid0(VALU_DEP_2) | instskip(NEXT) | instid1(VALU_DEP_1)
	v_exp_f32_e32 v5, v5
	v_exp_f32_e32 v4, v4
	v_and_b32_e32 v1, 0xffff0000, v1
	s_waitcnt_depctr 0xfff
	v_dual_add_f32 v5, 1.0, v5 :: v_dual_and_b32 v0, 0xffff0000, v0
	v_add_f32_e32 v4, 1.0, v4
	v_dual_mul_f32 v1, 0xbfb8aa3b, v1 :: v_dual_lshlrev_b32 v6, 16, v2
	s_delay_alu instid0(VALU_DEP_3) | instskip(NEXT) | instid1(VALU_DEP_4)
	v_dual_mul_f32 v0, 0xbfb8aa3b, v0 :: v_dual_lshlrev_b32 v7, 16, v3
	v_div_scale_f32 v12, null, v5, v5, 1.0
	s_delay_alu instid0(VALU_DEP_3) | instskip(SKIP_1) | instid1(VALU_DEP_3)
	v_exp_f32_e32 v1, v1
	v_and_b32_e32 v2, 0xffff0000, v2
	v_exp_f32_e32 v0, v0
	v_and_b32_e32 v3, 0xffff0000, v3
	v_dual_mul_f32 v6, 0xbfb8aa3b, v6 :: v_dual_mul_f32 v7, 0xbfb8aa3b, v7
	v_rcp_f32_e32 v28, v12
	v_div_scale_f32 v13, s3, 1.0, v5, 1.0
	s_delay_alu instid0(VALU_DEP_2) | instskip(SKIP_1) | instid1(TRANS32_DEP_3)
	v_exp_f32_e32 v6, v6
	v_dual_add_f32 v1, 1.0, v1 :: v_dual_mul_f32 v2, 0xbfb8aa3b, v2
	v_dual_add_f32 v0, 1.0, v0 :: v_dual_mul_f32 v3, 0xbfb8aa3b, v3
	v_lshlrev_b32_e32 v18, 3, v17
	v_exp_f32_e32 v7, v7
	s_delay_alu instid0(VALU_DEP_3) | instskip(NEXT) | instid1(VALU_DEP_2)
	v_exp_f32_e32 v2, v2
	v_div_scale_f32 v10, null, v0, v0, 1.0
	v_exp_f32_e32 v3, v3
	v_add_f32_e32 v6, 1.0, v6
	v_div_scale_f32 v14, null, v1, v1, 1.0
	s_delay_alu instid0(VALU_DEP_3) | instskip(SKIP_1) | instid1(TRANS32_DEP_3)
	v_rcp_f32_e32 v27, v10
	v_fma_f32 v37, -v12, v28, 1.0
	v_dual_add_f32 v7, 1.0, v7 :: v_dual_add_f32 v8, 1.0, v2
	v_div_scale_f32 v2, null, v4, v4, 1.0
	s_delay_alu instid0(TRANS32_DEP_2) | instskip(SKIP_1) | instid1(VALU_DEP_4)
	v_add_f32_e32 v9, 1.0, v3
	v_div_scale_f32 v19, null, v6, v6, 1.0
	v_div_scale_f32 v21, null, v8, v8, 1.0
	s_delay_alu instid0(VALU_DEP_4) | instskip(NEXT) | instid1(VALU_DEP_2)
	v_rcp_f32_e32 v26, v2
	v_rcp_f32_e32 v30, v19
	v_rcp_f32_e32 v29, v14
	s_delay_alu instid0(VALU_DEP_1)
	v_rcp_f32_e32 v31, v21
	v_div_scale_f32 v23, null, v7, v7, 1.0
	v_fma_f32 v36, -v10, v27, 1.0
	v_div_scale_f32 v3, vcc_lo, 1.0, v4, 1.0
	v_div_scale_f32 v11, s2, 1.0, v0, 1.0
	v_fma_f32 v35, -v2, v26, 1.0
	s_delay_alu instid0(TRANS32_DEP_3) | instskip(NEXT) | instid1(TRANS32_DEP_1)
	v_fma_f32 v39, -v19, v30, 1.0
	v_fma_f32 v40, -v21, v31, 1.0
	s_delay_alu instid0(TRANS32_DEP_2) | instskip(SKIP_3) | instid1(VALU_DEP_3)
	v_fma_f32 v38, -v14, v29, 1.0
	v_div_scale_f32 v25, null, v9, v9, 1.0
	v_dual_fmac_f32 v26, v35, v26 :: v_dual_fmac_f32 v27, v36, v27
	v_rcp_f32_e32 v32, v23
	v_dual_fmac_f32 v28, v37, v28 :: v_dual_fmac_f32 v29, v38, v29
	v_div_scale_f32 v22, s6, 1.0, v8, 1.0
	v_dual_fmac_f32 v30, v39, v30 :: v_dual_fmac_f32 v31, v40, v31
	v_mul_f32_e32 v35, v3, v26
	v_div_scale_f32 v15, s4, 1.0, v1, 1.0
	v_rcp_f32_e32 v33, v25
	s_delay_alu instid0(VALU_DEP_3)
	v_mul_f32_e32 v40, v22, v31
	v_dual_mul_f32 v36, v11, v27 :: v_dual_mul_f32 v37, v13, v28
	v_div_scale_f32 v20, s5, 1.0, v6, 1.0
	v_fma_f32 v43, -v2, v35, v3
	v_mul_f32_e32 v38, v15, v29
	v_fma_f32 v41, -v23, v32, 1.0
	s_delay_alu instid0(VALU_DEP_4)
	v_mul_f32_e32 v39, v20, v30
	v_fma_f32 v44, -v10, v36, v11
	v_fma_f32 v45, -v12, v37, v13
	v_fmac_f32_e32 v35, v43, v26
	v_fma_f32 v46, -v14, v38, v15
	v_div_scale_f32 v24, s7, 1.0, v7, 1.0
	v_fmac_f32_e32 v36, v44, v27
	v_fma_f32 v42, -v25, v33, 1.0
	v_fmac_f32_e32 v32, v41, v32
	v_fma_f32 v47, -v19, v39, v20
	v_dual_fmac_f32 v37, v45, v28 :: v_dual_fmac_f32 v38, v46, v29
	v_fma_f32 v48, -v21, v40, v22
	v_fma_f32 v2, -v2, v35, v3
	v_div_scale_f32 v34, s8, 1.0, v9, 1.0
	v_fmac_f32_e32 v33, v42, v33
	v_mul_f32_e32 v41, v24, v32
	v_fma_f32 v3, -v10, v36, v11
	v_dual_fmac_f32 v39, v47, v30 :: v_dual_fmac_f32 v40, v48, v31
	v_fma_f32 v10, -v12, v37, v13
	v_div_fmas_f32 v2, v2, v26, v35
	s_mov_b32 vcc_lo, s2
	v_fma_f32 v11, -v14, v38, v15
	v_mul_f32_e32 v42, v34, v33
	v_fma_f32 v49, -v23, v41, v24
	v_div_fmas_f32 v3, v3, v27, v36
	s_mov_b32 vcc_lo, s3
	v_fma_f32 v12, -v19, v39, v20
	v_div_fmas_f32 v10, v10, v28, v37
	s_mov_b32 vcc_lo, s4
	v_fma_f32 v13, -v21, v40, v22
	v_div_fixup_f32 v2, v2, v4, 1.0
	v_div_fmas_f32 v4, v11, v29, v38
	s_mov_b32 vcc_lo, s5
	v_fma_f32 v50, -v25, v42, v34
	v_fmac_f32_e32 v41, v49, v32
	v_div_fmas_f32 v11, v12, v30, v39
	s_mov_b32 vcc_lo, s6
	v_div_fixup_f32 v5, v10, v5, 1.0
	v_fmac_f32_e32 v42, v50, v33
	v_div_fmas_f32 v10, v13, v31, v40
	v_cmp_class_f32_e64 vcc_lo, v2, 0x1f8
	v_fma_f32 v14, -v23, v41, v24
	v_div_fixup_f32 v3, v3, v0, 1.0
	v_fma_f32 v15, -v25, v42, v34
	v_div_fixup_f32 v4, v4, v1, 1.0
	v_cndmask_b32_e32 v0, 0, v2, vcc_lo
	s_mov_b32 vcc_lo, s7
	v_div_fixup_f32 v6, v11, v6, 1.0
	v_div_fmas_f32 v12, v14, v32, v41
	v_cmp_class_f32_e64 vcc_lo, v3, 0x1f8
	s_delay_alu instid0(VALU_DEP_2)
	v_div_fixup_f32 v7, v12, v7, 1.0
	v_cndmask_b32_e32 v1, 0, v3, vcc_lo
	s_mov_b32 vcc_lo, s8
	v_div_fmas_f32 v11, v15, v33, v42
	v_cmp_class_f32_e64 vcc_lo, v5, 0x1f8
	v_cndmask_b32_e32 v2, 0, v5, vcc_lo
	v_cmp_class_f32_e64 vcc_lo, v4, 0x1f8
	v_div_fixup_f32 v5, v10, v8, 1.0
	v_div_fixup_f32 v8, v11, v9, 1.0
	v_cndmask_b32_e32 v3, 0, v4, vcc_lo
	v_cmp_class_f32_e64 vcc_lo, v6, 0x1f8
	v_cndmask_b32_e32 v4, 0, v6, vcc_lo
	v_cmp_class_f32_e64 vcc_lo, v5, 0x1f8
	;; [unrolled: 2-line block ×4, first 2 shown]
	v_cndmask_b32_e32 v7, 0, v8, vcc_lo
	s_cbranch_scc1 .LBB343_27
; %bb.4:
	v_lshlrev_b32_e32 v12, 2, v18
	s_clause 0x1
	global_load_b128 v[8:11], v12, s[10:11]
	global_load_b128 v[12:15], v12, s[10:11] offset:16
	s_waitcnt vmcnt(1)
	v_dual_add_f32 v9, v9, v1 :: v_dual_add_f32 v8, v8, v0
	v_dual_add_f32 v11, v11, v3 :: v_dual_add_f32 v10, v10, v2
	s_waitcnt vmcnt(0)
	v_dual_add_f32 v13, v13, v5 :: v_dual_add_f32 v12, v12, v4
	v_dual_add_f32 v15, v15, v7 :: v_dual_add_f32 v14, v14, v6
	s_cbranch_execnz .LBB343_6
.LBB343_5:
	v_dual_mov_b32 v15, v7 :: v_dual_mov_b32 v14, v6
	v_dual_mov_b32 v13, v5 :: v_dual_mov_b32 v12, v4
	;; [unrolled: 1-line block ×4, first 2 shown]
.LBB343_6:
	s_load_b128 s[8:11], s[0:1], 0x30
	v_cmp_eq_u32_e64 s2, 0, v17
	s_mov_b32 s6, 0
	s_waitcnt lgkmcnt(0)
	s_bitcmp1_b32 s11, 0
	s_cselect_b32 vcc_lo, -1, 0
	s_cmp_gt_i32 s8, 0
	s_cselect_b32 s5, -1, 0
	s_cmp_lt_i32 s8, 1
	s_cbranch_scc1 .LBB343_28
; %bb.7:
	v_mbcnt_lo_u32_b32 v19, -1, 0
	s_load_b128 s[12:15], s[0:1], 0x20
	v_mov_b32_e32 v24, v16
	s_delay_alu instid0(VALU_DEP_2) | instskip(SKIP_3) | instid1(VALU_DEP_4)
	v_and_b32_e32 v20, 24, v19
	v_xor_b32_e32 v21, 4, v19
	v_xor_b32_e32 v22, 2, v19
	;; [unrolled: 1-line block ×3, first 2 shown]
	v_add_nc_u32_e32 v20, 8, v20
	s_delay_alu instid0(VALU_DEP_1) | instskip(NEXT) | instid1(VALU_DEP_1)
	v_cmp_lt_i32_e64 s0, v21, v20
	v_cndmask_b32_e64 v21, v19, v21, s0
	v_cmp_lt_i32_e64 s0, v22, v20
	s_delay_alu instid0(VALU_DEP_2) | instskip(NEXT) | instid1(VALU_DEP_2)
	v_lshlrev_b32_e32 v21, 2, v21
	v_cndmask_b32_e64 v22, v19, v22, s0
	v_cmp_lt_i32_e64 s0, v23, v20
	v_mul_lo_u32 v20, v16, s8
	s_delay_alu instid0(VALU_DEP_3) | instskip(NEXT) | instid1(VALU_DEP_3)
	v_lshlrev_b32_e32 v22, 2, v22
	v_cndmask_b32_e64 v23, v19, v23, s0
	v_mov_b32_e32 v19, 0
	s_delay_alu instid0(VALU_DEP_2)
	v_lshlrev_b32_e32 v23, 2, v23
	s_branch .LBB343_10
.LBB343_8:                              ;   in Loop: Header=BB343_10 Depth=1
	s_or_b32 exec_lo, exec_lo, s1
.LBB343_9:                              ;   in Loop: Header=BB343_10 Depth=1
	v_add_nc_u32_e32 v24, s18, v24
	s_cmp_eq_u32 s8, s6
	s_cbranch_scc1 .LBB343_29
.LBB343_10:                             ; =>This Inner Loop Header: Depth=1
	v_cmp_gt_f32_e64 s0, v9, v8
	s_delay_alu instid0(VALU_DEP_1) | instskip(SKIP_2) | instid1(VALU_DEP_3)
	v_cndmask_b32_e64 v26, v8, v9, s0
	v_cndmask_b32_e64 v25, 0, 1, s0
	;; [unrolled: 1-line block ×3, first 2 shown]
	v_cmp_gt_f32_e64 s1, v10, v26
	s_delay_alu instid0(VALU_DEP_1) | instskip(NEXT) | instid1(VALU_DEP_4)
	v_cndmask_b32_e64 v26, v26, v10, s1
	v_cndmask_b32_e64 v25, v25, 2, s1
	s_delay_alu instid0(VALU_DEP_4) | instskip(NEXT) | instid1(VALU_DEP_3)
	v_cndmask_b32_e64 v27, v27, v2, s1
	v_cmp_gt_f32_e64 s3, v11, v26
	s_delay_alu instid0(VALU_DEP_1) | instskip(NEXT) | instid1(VALU_DEP_4)
	v_cndmask_b32_e64 v26, v26, v11, s3
	v_cndmask_b32_e64 v25, v25, 3, s3
	s_delay_alu instid0(VALU_DEP_4) | instskip(NEXT) | instid1(VALU_DEP_3)
	v_cndmask_b32_e64 v27, v27, v3, s3
	v_cmp_gt_f32_e64 s4, v12, v26
	s_delay_alu instid0(VALU_DEP_1) | instskip(NEXT) | instid1(VALU_DEP_4)
	v_cndmask_b32_e64 v26, v26, v12, s4
	v_cndmask_b32_e64 v25, v25, 4, s4
	s_delay_alu instid0(VALU_DEP_4) | instskip(SKIP_1) | instid1(VALU_DEP_3)
	v_cndmask_b32_e64 v27, v27, v4, s4
	s_mov_b32 s4, exec_lo
	v_cmp_gt_f32_e64 s0, v13, v26
	s_delay_alu instid0(VALU_DEP_1) | instskip(SKIP_2) | instid1(VALU_DEP_3)
	v_cndmask_b32_e64 v26, v26, v13, s0
	v_cndmask_b32_e64 v25, v25, 5, s0
	;; [unrolled: 1-line block ×3, first 2 shown]
	v_cmp_gt_f32_e64 s1, v14, v26
	s_delay_alu instid0(VALU_DEP_1) | instskip(NEXT) | instid1(VALU_DEP_4)
	v_cndmask_b32_e64 v26, v26, v14, s1
	v_cndmask_b32_e64 v25, v25, 6, s1
	s_waitcnt lgkmcnt(0)
	v_cndmask_b32_e64 v28, v27, v6, s1
	s_delay_alu instid0(VALU_DEP_3) | instskip(NEXT) | instid1(VALU_DEP_1)
	v_cmp_gt_f32_e64 s0, v15, v26
	v_cndmask_b32_e64 v25, v25, 7, s0
	v_cndmask_b32_e64 v27, v26, v15, s0
	s_delay_alu instid0(VALU_DEP_4) | instskip(NEXT) | instid1(VALU_DEP_3)
	v_cndmask_b32_e64 v26, v28, v7, s0
	v_or_b32_e32 v25, v18, v25
	ds_bpermute_b32 v28, v21, v27
	ds_bpermute_b32 v30, v21, v26
	;; [unrolled: 1-line block ×3, first 2 shown]
	s_waitcnt lgkmcnt(0)
	v_cmp_lt_f32_e64 s3, v27, v28
	v_cmpx_nlt_f32_e32 v27, v28
; %bb.11:                               ;   in Loop: Header=BB343_10 Depth=1
	v_cmp_eq_f32_e64 s0, v27, v28
	v_cmp_lt_i32_e64 s1, v29, v25
	s_delay_alu instid0(VALU_DEP_1) | instskip(SKIP_2) | instid1(SALU_CYCLE_1)
	s_and_b32 s0, s0, s1
	s_and_not1_b32 s1, s3, exec_lo
	s_and_b32 s0, s0, exec_lo
	s_or_b32 s3, s1, s0
; %bb.12:                               ;   in Loop: Header=BB343_10 Depth=1
	s_or_b32 exec_lo, exec_lo, s4
	s_and_saveexec_b32 s0, s3
; %bb.13:                               ;   in Loop: Header=BB343_10 Depth=1
	v_dual_mov_b32 v26, v30 :: v_dual_mov_b32 v27, v28
	v_mov_b32_e32 v25, v29
; %bb.14:                               ;   in Loop: Header=BB343_10 Depth=1
	s_or_b32 exec_lo, exec_lo, s0
	ds_bpermute_b32 v28, v22, v27
	ds_bpermute_b32 v30, v22, v26
	;; [unrolled: 1-line block ×3, first 2 shown]
	s_mov_b32 s4, exec_lo
	s_waitcnt lgkmcnt(2)
	v_cmp_lt_f32_e64 s3, v27, v28
	v_cmpx_nlt_f32_e32 v27, v28
	s_cbranch_execz .LBB343_16
; %bb.15:                               ;   in Loop: Header=BB343_10 Depth=1
	v_cmp_eq_f32_e64 s0, v27, v28
	s_waitcnt lgkmcnt(0)
	v_cmp_lt_i32_e64 s1, v29, v25
	s_delay_alu instid0(VALU_DEP_1) | instskip(SKIP_2) | instid1(SALU_CYCLE_1)
	s_and_b32 s0, s0, s1
	s_and_not1_b32 s1, s3, exec_lo
	s_and_b32 s0, s0, exec_lo
	s_or_b32 s3, s1, s0
.LBB343_16:                             ;   in Loop: Header=BB343_10 Depth=1
	s_or_b32 exec_lo, exec_lo, s4
	s_delay_alu instid0(VALU_DEP_2)
	s_and_saveexec_b32 s0, s3
	s_cbranch_execz .LBB343_18
; %bb.17:                               ;   in Loop: Header=BB343_10 Depth=1
	s_waitcnt lgkmcnt(1)
	v_dual_mov_b32 v26, v30 :: v_dual_mov_b32 v27, v28
	s_waitcnt lgkmcnt(0)
	v_mov_b32_e32 v25, v29
.LBB343_18:                             ;   in Loop: Header=BB343_10 Depth=1
	s_or_b32 exec_lo, exec_lo, s0
	s_waitcnt lgkmcnt(1)
	ds_bpermute_b32 v30, v23, v27
	ds_bpermute_b32 v28, v23, v26
	s_waitcnt lgkmcnt(2)
	ds_bpermute_b32 v29, v23, v25
	s_mov_b32 s4, exec_lo
	s_waitcnt lgkmcnt(2)
	v_cmp_lt_f32_e64 s3, v27, v30
	v_cmpx_nlt_f32_e32 v27, v30
	s_cbranch_execnz .LBB343_22
; %bb.19:                               ;   in Loop: Header=BB343_10 Depth=1
	s_or_b32 exec_lo, exec_lo, s4
	s_delay_alu instid0(VALU_DEP_2)
	s_and_saveexec_b32 s0, s3
	s_cbranch_execnz .LBB343_23
.LBB343_20:                             ;   in Loop: Header=BB343_10 Depth=1
	s_or_b32 exec_lo, exec_lo, s0
	s_and_saveexec_b32 s3, s2
	s_cbranch_execnz .LBB343_24
.LBB343_21:                             ;   in Loop: Header=BB343_10 Depth=1
	s_or_b32 exec_lo, exec_lo, s3
	s_add_i32 s6, s6, 1
	s_delay_alu instid0(SALU_CYCLE_1)
	s_cmp_ge_i32 s6, s8
	s_cbranch_scc1 .LBB343_9
	s_branch .LBB343_25
.LBB343_22:                             ;   in Loop: Header=BB343_10 Depth=1
	v_cmp_eq_f32_e64 s0, v27, v30
	s_waitcnt lgkmcnt(0)
	v_cmp_lt_i32_e64 s1, v29, v25
	s_delay_alu instid0(VALU_DEP_1) | instskip(SKIP_2) | instid1(SALU_CYCLE_1)
	s_and_b32 s0, s0, s1
	s_and_not1_b32 s1, s3, exec_lo
	s_and_b32 s0, s0, exec_lo
	s_or_b32 s3, s1, s0
	s_or_b32 exec_lo, exec_lo, s4
	s_and_saveexec_b32 s0, s3
	s_cbranch_execz .LBB343_20
.LBB343_23:                             ;   in Loop: Header=BB343_10 Depth=1
	s_waitcnt lgkmcnt(0)
	v_dual_mov_b32 v25, v29 :: v_dual_mov_b32 v26, v28
	s_or_b32 exec_lo, exec_lo, s0
	s_and_saveexec_b32 s3, s2
	s_cbranch_execz .LBB343_21
.LBB343_24:                             ;   in Loop: Header=BB343_10 Depth=1
	s_delay_alu instid0(VALU_DEP_1)
	v_dual_add_f32 v34, v19, v26 :: v_dual_add_nc_u32 v27, s6, v20
	v_cmp_le_i32_e64 s0, s9, v25
	v_cmp_gt_i32_e64 s1, s10, v25
	s_waitcnt lgkmcnt(0)
	v_subrev_nc_u32_e32 v29, s9, v25
	v_ashrrev_i32_e32 v28, 31, v27
	v_cndmask_b32_e32 v19, v19, v34, vcc_lo
	s_and_b32 s0, s0, s1
	s_delay_alu instid0(SALU_CYCLE_1) | instskip(NEXT) | instid1(VALU_DEP_2)
	s_and_b32 s0, s19, s0
	v_lshlrev_b64 v[27:28], 2, v[27:28]
	v_cndmask_b32_e64 v33, 64, v29, s0
	s_delay_alu instid0(VALU_DEP_2) | instskip(NEXT) | instid1(VALU_DEP_1)
	v_add_co_u32 v29, s0, s16, v27
	v_add_co_ci_u32_e64 v30, s0, s17, v28, s0
	v_add_co_u32 v31, s0, s12, v27
	s_delay_alu instid0(VALU_DEP_1) | instskip(SKIP_1) | instid1(VALU_DEP_1)
	v_add_co_ci_u32_e64 v32, s0, s13, v28, s0
	v_add_co_u32 v27, s0, s14, v27
	v_add_co_ci_u32_e64 v28, s0, s15, v28, s0
	global_store_b32 v[29:30], v26, off
	global_store_b32 v[31:32], v33, off
	;; [unrolled: 1-line block ×3, first 2 shown]
	s_or_b32 exec_lo, exec_lo, s3
	s_add_i32 s6, s6, 1
	s_delay_alu instid0(SALU_CYCLE_1)
	s_cmp_ge_i32 s6, s8
	s_cbranch_scc1 .LBB343_9
.LBB343_25:                             ;   in Loop: Header=BB343_10 Depth=1
	v_ashrrev_i32_e32 v27, 31, v25
	s_mov_b32 s1, exec_lo
	s_delay_alu instid0(VALU_DEP_1) | instskip(NEXT) | instid1(VALU_DEP_1)
	v_lshrrev_b32_e32 v26, 29, v27
	v_add_nc_u32_e32 v26, v25, v26
	s_delay_alu instid0(VALU_DEP_1) | instskip(SKIP_1) | instid1(VALU_DEP_1)
	v_ashrrev_i32_e32 v26, 3, v26
	s_waitcnt lgkmcnt(1)
	v_lshrrev_b32_e32 v28, 29, v26
	s_delay_alu instid0(VALU_DEP_1) | instskip(NEXT) | instid1(VALU_DEP_1)
	v_add_nc_u32_e32 v28, v26, v28
	v_and_b32_e32 v28, -8, v28
	s_delay_alu instid0(VALU_DEP_1) | instskip(NEXT) | instid1(VALU_DEP_1)
	v_sub_nc_u32_e32 v28, v26, v28
	v_cmpx_eq_u32_e64 v17, v28
	s_cbranch_execz .LBB343_8
; %bb.26:                               ;   in Loop: Header=BB343_10 Depth=1
	v_lshrrev_b32_e32 v27, 26, v27
	v_lshlrev_b32_e32 v26, 3, v26
	s_delay_alu instid0(VALU_DEP_2) | instskip(NEXT) | instid1(VALU_DEP_2)
	v_add_nc_u32_e32 v27, v25, v27
	v_sub_nc_u32_e32 v25, v25, v26
	s_delay_alu instid0(VALU_DEP_2) | instskip(NEXT) | instid1(VALU_DEP_1)
	v_ashrrev_i32_e32 v26, 6, v27
	v_lshl_add_u32 v25, v26, 3, v25
	s_delay_alu instid0(VALU_DEP_1) | instskip(NEXT) | instid1(VALU_DEP_1)
	v_cmp_ne_u32_e64 s0, 7, v25
	v_cndmask_b32_e64 v15, 0xc61c4000, v15, s0
	v_cmp_ne_u32_e64 s0, 6, v25
	s_delay_alu instid0(VALU_DEP_1) | instskip(SKIP_1) | instid1(VALU_DEP_1)
	v_cndmask_b32_e64 v14, 0xc61c4000, v14, s0
	v_cmp_ne_u32_e64 s0, 5, v25
	v_cndmask_b32_e64 v13, 0xc61c4000, v13, s0
	v_cmp_ne_u32_e64 s0, 4, v25
	s_delay_alu instid0(VALU_DEP_1) | instskip(SKIP_1) | instid1(VALU_DEP_1)
	v_cndmask_b32_e64 v12, 0xc61c4000, v12, s0
	;; [unrolled: 5-line block ×3, first 2 shown]
	v_cmp_ne_u32_e64 s0, 1, v25
	v_cndmask_b32_e64 v9, 0xc61c4000, v9, s0
	v_cmp_ne_u32_e64 s0, 0, v25
	s_delay_alu instid0(VALU_DEP_1)
	v_cndmask_b32_e64 v8, 0xc61c4000, v8, s0
	s_branch .LBB343_8
.LBB343_27:
                                        ; implicit-def: $vgpr8_vgpr9_vgpr10_vgpr11_vgpr12_vgpr13_vgpr14_vgpr15
	s_and_not1_b32 vcc_lo, exec_lo, s9
	s_cbranch_vccz .LBB343_5
	s_branch .LBB343_6
.LBB343_28:
	v_mov_b32_e32 v19, 0
.LBB343_29:
	v_cmp_eq_u32_e64 s0, 0, v17
	s_delay_alu instid0(VALU_DEP_1) | instskip(NEXT) | instid1(SALU_CYCLE_1)
	s_and_b32 s0, s0, vcc_lo
	s_and_b32 exec_lo, exec_lo, s0
	s_cbranch_execz .LBB343_33
; %bb.30:
	s_and_not1_b32 vcc_lo, exec_lo, s5
	s_cbranch_vccnz .LBB343_33
; %bb.31:
	v_mul_lo_u32 v0, v16, s8
	v_cmp_lt_f32_e32 vcc_lo, 0, v19
	v_cndmask_b32_e32 v2, 1.0, v19, vcc_lo
	s_delay_alu instid0(VALU_DEP_3) | instskip(NEXT) | instid1(VALU_DEP_1)
	v_ashrrev_i32_e32 v1, 31, v0
	v_lshlrev_b64 v[0:1], 2, v[0:1]
	s_delay_alu instid0(VALU_DEP_1) | instskip(NEXT) | instid1(VALU_DEP_2)
	v_add_co_u32 v0, vcc_lo, s16, v0
	v_add_co_ci_u32_e32 v1, vcc_lo, s17, v1, vcc_lo
	.p2align	6
.LBB343_32:                             ; =>This Inner Loop Header: Depth=1
	global_load_b32 v3, v[0:1], off
	s_add_i32 s8, s8, -1
	s_delay_alu instid0(SALU_CYCLE_1) | instskip(SKIP_3) | instid1(VALU_DEP_2)
	s_cmp_lg_u32 s8, 0
	s_waitcnt vmcnt(0)
	v_div_scale_f32 v4, null, v2, v2, v3
	v_div_scale_f32 v7, vcc_lo, v3, v2, v3
	v_rcp_f32_e32 v5, v4
	s_waitcnt_depctr 0xfff
	v_fma_f32 v6, -v4, v5, 1.0
	s_delay_alu instid0(VALU_DEP_1) | instskip(NEXT) | instid1(VALU_DEP_1)
	v_fmac_f32_e32 v5, v6, v5
	v_mul_f32_e32 v6, v7, v5
	s_delay_alu instid0(VALU_DEP_1) | instskip(NEXT) | instid1(VALU_DEP_1)
	v_fma_f32 v8, -v4, v6, v7
	v_fmac_f32_e32 v6, v8, v5
	s_delay_alu instid0(VALU_DEP_1) | instskip(NEXT) | instid1(VALU_DEP_1)
	v_fma_f32 v4, -v4, v6, v7
	v_div_fmas_f32 v4, v4, v5, v6
	s_delay_alu instid0(VALU_DEP_1)
	v_div_fixup_f32 v3, v4, v2, v3
	global_store_b32 v[0:1], v3, off
	v_add_co_u32 v0, vcc_lo, v0, 4
	v_add_co_ci_u32_e32 v1, vcc_lo, 0, v1, vcc_lo
	s_cbranch_scc1 .LBB343_32
.LBB343_33:
	s_nop 0
	s_sendmsg sendmsg(MSG_DEALLOC_VGPRS)
	s_endpgm
	.section	.rodata,"a",@progbits
	.p2align	6, 0x0
	.amdhsa_kernel _ZN4vllm3moe10topkGatingILi8ELi64ELi4ELi16ELi64Ej14__hip_bfloat16LNS0_11ScoringFuncE1EEEvPKT5_PKbPfiPT4_PiiiibPKf
		.amdhsa_group_segment_fixed_size 0
		.amdhsa_private_segment_fixed_size 0
		.amdhsa_kernarg_size 72
		.amdhsa_user_sgpr_count 15
		.amdhsa_user_sgpr_dispatch_ptr 0
		.amdhsa_user_sgpr_queue_ptr 0
		.amdhsa_user_sgpr_kernarg_segment_ptr 1
		.amdhsa_user_sgpr_dispatch_id 0
		.amdhsa_user_sgpr_private_segment_size 0
		.amdhsa_wavefront_size32 1
		.amdhsa_uses_dynamic_stack 0
		.amdhsa_enable_private_segment 0
		.amdhsa_system_sgpr_workgroup_id_x 1
		.amdhsa_system_sgpr_workgroup_id_y 0
		.amdhsa_system_sgpr_workgroup_id_z 0
		.amdhsa_system_sgpr_workgroup_info 0
		.amdhsa_system_vgpr_workitem_id 1
		.amdhsa_next_free_vgpr 51
		.amdhsa_next_free_sgpr 20
		.amdhsa_reserve_vcc 1
		.amdhsa_float_round_mode_32 0
		.amdhsa_float_round_mode_16_64 0
		.amdhsa_float_denorm_mode_32 3
		.amdhsa_float_denorm_mode_16_64 3
		.amdhsa_dx10_clamp 1
		.amdhsa_ieee_mode 1
		.amdhsa_fp16_overflow 0
		.amdhsa_workgroup_processor_mode 1
		.amdhsa_memory_ordered 1
		.amdhsa_forward_progress 0
		.amdhsa_shared_vgpr_count 0
		.amdhsa_exception_fp_ieee_invalid_op 0
		.amdhsa_exception_fp_denorm_src 0
		.amdhsa_exception_fp_ieee_div_zero 0
		.amdhsa_exception_fp_ieee_overflow 0
		.amdhsa_exception_fp_ieee_underflow 0
		.amdhsa_exception_fp_ieee_inexact 0
		.amdhsa_exception_int_div_zero 0
	.end_amdhsa_kernel
	.section	.text._ZN4vllm3moe10topkGatingILi8ELi64ELi4ELi16ELi64Ej14__hip_bfloat16LNS0_11ScoringFuncE1EEEvPKT5_PKbPfiPT4_PiiiibPKf,"axG",@progbits,_ZN4vllm3moe10topkGatingILi8ELi64ELi4ELi16ELi64Ej14__hip_bfloat16LNS0_11ScoringFuncE1EEEvPKT5_PKbPfiPT4_PiiiibPKf,comdat
.Lfunc_end343:
	.size	_ZN4vllm3moe10topkGatingILi8ELi64ELi4ELi16ELi64Ej14__hip_bfloat16LNS0_11ScoringFuncE1EEEvPKT5_PKbPfiPT4_PiiiibPKf, .Lfunc_end343-_ZN4vllm3moe10topkGatingILi8ELi64ELi4ELi16ELi64Ej14__hip_bfloat16LNS0_11ScoringFuncE1EEEvPKT5_PKbPfiPT4_PiiiibPKf
                                        ; -- End function
	.section	.AMDGPU.csdata,"",@progbits
; Kernel info:
; codeLenInByte = 2932
; NumSgprs: 22
; NumVgprs: 51
; ScratchSize: 0
; MemoryBound: 0
; FloatMode: 240
; IeeeMode: 1
; LDSByteSize: 0 bytes/workgroup (compile time only)
; SGPRBlocks: 2
; VGPRBlocks: 6
; NumSGPRsForWavesPerEU: 22
; NumVGPRsForWavesPerEU: 51
; Occupancy: 16
; WaveLimiterHint : 0
; COMPUTE_PGM_RSRC2:SCRATCH_EN: 0
; COMPUTE_PGM_RSRC2:USER_SGPR: 15
; COMPUTE_PGM_RSRC2:TRAP_HANDLER: 0
; COMPUTE_PGM_RSRC2:TGID_X_EN: 1
; COMPUTE_PGM_RSRC2:TGID_Y_EN: 0
; COMPUTE_PGM_RSRC2:TGID_Z_EN: 0
; COMPUTE_PGM_RSRC2:TIDIG_COMP_CNT: 1
	.section	.text._ZN4vllm3moe10topkGatingILi8ELi64ELi4ELi16ELi32Ej14__hip_bfloat16LNS0_11ScoringFuncE1EEEvPKT5_PKbPfiPT4_PiiiibPKf,"axG",@progbits,_ZN4vllm3moe10topkGatingILi8ELi64ELi4ELi16ELi32Ej14__hip_bfloat16LNS0_11ScoringFuncE1EEEvPKT5_PKbPfiPT4_PiiiibPKf,comdat
	.protected	_ZN4vllm3moe10topkGatingILi8ELi64ELi4ELi16ELi32Ej14__hip_bfloat16LNS0_11ScoringFuncE1EEEvPKT5_PKbPfiPT4_PiiiibPKf ; -- Begin function _ZN4vllm3moe10topkGatingILi8ELi64ELi4ELi16ELi32Ej14__hip_bfloat16LNS0_11ScoringFuncE1EEEvPKT5_PKbPfiPT4_PiiiibPKf
	.globl	_ZN4vllm3moe10topkGatingILi8ELi64ELi4ELi16ELi32Ej14__hip_bfloat16LNS0_11ScoringFuncE1EEEvPKT5_PKbPfiPT4_PiiiibPKf
	.p2align	8
	.type	_ZN4vllm3moe10topkGatingILi8ELi64ELi4ELi16ELi32Ej14__hip_bfloat16LNS0_11ScoringFuncE1EEEvPKT5_PKbPfiPT4_PiiiibPKf,@function
_ZN4vllm3moe10topkGatingILi8ELi64ELi4ELi16ELi32Ej14__hip_bfloat16LNS0_11ScoringFuncE1EEEvPKT5_PKbPfiPT4_PiiiibPKf: ; @_ZN4vllm3moe10topkGatingILi8ELi64ELi4ELi16ELi32Ej14__hip_bfloat16LNS0_11ScoringFuncE1EEEvPKT5_PKbPfiPT4_PiiiibPKf
; %bb.0:
	s_load_b32 s18, s[0:1], 0x18
	v_bfe_u32 v1, v0, 10, 10
	v_and_b32_e32 v0, 0x3ff, v0
	s_lshl_b32 s2, s15, 4
	s_delay_alu instid0(VALU_DEP_2) | instskip(NEXT) | instid1(VALU_DEP_2)
	v_lshlrev_b32_e32 v1, 2, v1
	v_lshrrev_b32_e32 v2, 3, v0
	s_delay_alu instid0(VALU_DEP_1) | instskip(SKIP_2) | instid1(VALU_DEP_1)
	v_add3_u32 v16, s2, v1, v2
	s_mov_b32 s2, exec_lo
	s_waitcnt lgkmcnt(0)
	v_cmpx_gt_i32_e64 s18, v16
	s_cbranch_execz .LBB344_33
; %bb.1:
	s_clause 0x1
	s_load_b128 s[4:7], s[0:1], 0x0
	s_load_b64 s[16:17], s[0:1], 0x10
	s_mov_b32 s9, -1
	s_mov_b32 s19, -1
	s_waitcnt lgkmcnt(0)
	s_cmp_eq_u64 s[6:7], 0
	s_cbranch_scc1 .LBB344_3
; %bb.2:
	v_ashrrev_i32_e32 v2, 31, v16
	v_add_co_u32 v1, vcc_lo, s6, v16
	s_delay_alu instid0(VALU_DEP_2) | instskip(SKIP_3) | instid1(VALU_DEP_1)
	v_add_co_ci_u32_e32 v2, vcc_lo, s7, v2, vcc_lo
	global_load_u8 v1, v[1:2], off
	s_waitcnt vmcnt(0)
	v_and_b32_e32 v1, 1, v1
	v_cmp_eq_u32_e32 vcc_lo, 1, v1
	s_xor_b32 s2, vcc_lo, -1
	s_delay_alu instid0(SALU_CYCLE_1)
	s_or_not1_b32 s19, s2, exec_lo
.LBB344_3:
	v_lshlrev_b32_e32 v1, 6, v16
	v_and_b32_e32 v17, 7, v0
	s_load_b64 s[10:11], s[0:1], 0x40
	s_delay_alu instid0(VALU_DEP_2) | instskip(NEXT) | instid1(VALU_DEP_1)
	v_ashrrev_i32_e32 v2, 31, v1
	v_lshlrev_b64 v[0:1], 1, v[1:2]
	s_delay_alu instid0(VALU_DEP_3) | instskip(NEXT) | instid1(VALU_DEP_2)
	v_lshlrev_b32_e32 v2, 4, v17
	v_add_co_u32 v0, vcc_lo, s4, v0
	s_delay_alu instid0(VALU_DEP_3) | instskip(NEXT) | instid1(VALU_DEP_2)
	v_add_co_ci_u32_e32 v1, vcc_lo, s5, v1, vcc_lo
	v_add_co_u32 v0, vcc_lo, v0, v2
	s_delay_alu instid0(VALU_DEP_2)
	v_add_co_ci_u32_e32 v1, vcc_lo, 0, v1, vcc_lo
	s_waitcnt lgkmcnt(0)
	s_cmp_eq_u64 s[10:11], 0
	global_load_b128 v[0:3], v[0:1], off
	s_waitcnt vmcnt(0)
	v_lshlrev_b32_e32 v5, 16, v1
	s_delay_alu instid0(VALU_DEP_1) | instskip(NEXT) | instid1(VALU_DEP_1)
	v_dual_mul_f32 v5, 0xbfb8aa3b, v5 :: v_dual_lshlrev_b32 v4, 16, v0
	v_mul_f32_e32 v4, 0xbfb8aa3b, v4
	s_delay_alu instid0(VALU_DEP_2) | instskip(NEXT) | instid1(VALU_DEP_1)
	v_exp_f32_e32 v5, v5
	v_exp_f32_e32 v4, v4
	v_and_b32_e32 v1, 0xffff0000, v1
	s_waitcnt_depctr 0xfff
	v_dual_add_f32 v5, 1.0, v5 :: v_dual_and_b32 v0, 0xffff0000, v0
	v_add_f32_e32 v4, 1.0, v4
	v_dual_mul_f32 v1, 0xbfb8aa3b, v1 :: v_dual_lshlrev_b32 v6, 16, v2
	s_delay_alu instid0(VALU_DEP_3) | instskip(NEXT) | instid1(VALU_DEP_4)
	v_dual_mul_f32 v0, 0xbfb8aa3b, v0 :: v_dual_lshlrev_b32 v7, 16, v3
	v_div_scale_f32 v12, null, v5, v5, 1.0
	s_delay_alu instid0(VALU_DEP_3) | instskip(SKIP_1) | instid1(VALU_DEP_3)
	v_exp_f32_e32 v1, v1
	v_and_b32_e32 v2, 0xffff0000, v2
	v_exp_f32_e32 v0, v0
	v_and_b32_e32 v3, 0xffff0000, v3
	v_dual_mul_f32 v6, 0xbfb8aa3b, v6 :: v_dual_mul_f32 v7, 0xbfb8aa3b, v7
	v_rcp_f32_e32 v28, v12
	v_div_scale_f32 v13, s3, 1.0, v5, 1.0
	s_delay_alu instid0(VALU_DEP_2) | instskip(SKIP_1) | instid1(TRANS32_DEP_3)
	v_exp_f32_e32 v6, v6
	v_dual_add_f32 v1, 1.0, v1 :: v_dual_mul_f32 v2, 0xbfb8aa3b, v2
	v_dual_add_f32 v0, 1.0, v0 :: v_dual_mul_f32 v3, 0xbfb8aa3b, v3
	v_lshlrev_b32_e32 v18, 3, v17
	v_exp_f32_e32 v7, v7
	s_delay_alu instid0(VALU_DEP_3) | instskip(NEXT) | instid1(VALU_DEP_2)
	v_exp_f32_e32 v2, v2
	v_div_scale_f32 v10, null, v0, v0, 1.0
	v_exp_f32_e32 v3, v3
	v_add_f32_e32 v6, 1.0, v6
	v_div_scale_f32 v14, null, v1, v1, 1.0
	s_delay_alu instid0(VALU_DEP_3) | instskip(SKIP_1) | instid1(TRANS32_DEP_3)
	v_rcp_f32_e32 v27, v10
	v_fma_f32 v37, -v12, v28, 1.0
	v_dual_add_f32 v7, 1.0, v7 :: v_dual_add_f32 v8, 1.0, v2
	v_div_scale_f32 v2, null, v4, v4, 1.0
	s_delay_alu instid0(TRANS32_DEP_2) | instskip(SKIP_1) | instid1(VALU_DEP_4)
	v_add_f32_e32 v9, 1.0, v3
	v_div_scale_f32 v19, null, v6, v6, 1.0
	v_div_scale_f32 v21, null, v8, v8, 1.0
	s_delay_alu instid0(VALU_DEP_4) | instskip(NEXT) | instid1(VALU_DEP_2)
	v_rcp_f32_e32 v26, v2
	v_rcp_f32_e32 v30, v19
	;; [unrolled: 1-line block ×3, first 2 shown]
	s_delay_alu instid0(VALU_DEP_1)
	v_rcp_f32_e32 v31, v21
	v_div_scale_f32 v23, null, v7, v7, 1.0
	v_fma_f32 v36, -v10, v27, 1.0
	v_div_scale_f32 v3, vcc_lo, 1.0, v4, 1.0
	v_div_scale_f32 v11, s2, 1.0, v0, 1.0
	v_fma_f32 v35, -v2, v26, 1.0
	s_delay_alu instid0(TRANS32_DEP_3) | instskip(NEXT) | instid1(TRANS32_DEP_1)
	v_fma_f32 v39, -v19, v30, 1.0
	v_fma_f32 v40, -v21, v31, 1.0
	s_delay_alu instid0(TRANS32_DEP_2) | instskip(SKIP_3) | instid1(VALU_DEP_3)
	v_fma_f32 v38, -v14, v29, 1.0
	v_div_scale_f32 v25, null, v9, v9, 1.0
	v_dual_fmac_f32 v26, v35, v26 :: v_dual_fmac_f32 v27, v36, v27
	v_rcp_f32_e32 v32, v23
	v_dual_fmac_f32 v28, v37, v28 :: v_dual_fmac_f32 v29, v38, v29
	v_div_scale_f32 v22, s6, 1.0, v8, 1.0
	v_dual_fmac_f32 v30, v39, v30 :: v_dual_fmac_f32 v31, v40, v31
	v_mul_f32_e32 v35, v3, v26
	v_div_scale_f32 v15, s4, 1.0, v1, 1.0
	v_rcp_f32_e32 v33, v25
	s_delay_alu instid0(VALU_DEP_3)
	v_mul_f32_e32 v40, v22, v31
	v_dual_mul_f32 v36, v11, v27 :: v_dual_mul_f32 v37, v13, v28
	v_div_scale_f32 v20, s5, 1.0, v6, 1.0
	v_fma_f32 v43, -v2, v35, v3
	v_mul_f32_e32 v38, v15, v29
	v_fma_f32 v41, -v23, v32, 1.0
	s_delay_alu instid0(VALU_DEP_4)
	v_mul_f32_e32 v39, v20, v30
	v_fma_f32 v44, -v10, v36, v11
	v_fma_f32 v45, -v12, v37, v13
	v_fmac_f32_e32 v35, v43, v26
	v_fma_f32 v46, -v14, v38, v15
	v_div_scale_f32 v24, s7, 1.0, v7, 1.0
	v_fmac_f32_e32 v36, v44, v27
	v_fma_f32 v42, -v25, v33, 1.0
	v_fmac_f32_e32 v32, v41, v32
	v_fma_f32 v47, -v19, v39, v20
	v_dual_fmac_f32 v37, v45, v28 :: v_dual_fmac_f32 v38, v46, v29
	v_fma_f32 v48, -v21, v40, v22
	v_fma_f32 v2, -v2, v35, v3
	v_div_scale_f32 v34, s8, 1.0, v9, 1.0
	v_fmac_f32_e32 v33, v42, v33
	v_mul_f32_e32 v41, v24, v32
	v_fma_f32 v3, -v10, v36, v11
	v_dual_fmac_f32 v39, v47, v30 :: v_dual_fmac_f32 v40, v48, v31
	v_fma_f32 v10, -v12, v37, v13
	v_div_fmas_f32 v2, v2, v26, v35
	s_mov_b32 vcc_lo, s2
	v_fma_f32 v11, -v14, v38, v15
	v_mul_f32_e32 v42, v34, v33
	v_fma_f32 v49, -v23, v41, v24
	v_div_fmas_f32 v3, v3, v27, v36
	s_mov_b32 vcc_lo, s3
	v_fma_f32 v12, -v19, v39, v20
	v_div_fmas_f32 v10, v10, v28, v37
	s_mov_b32 vcc_lo, s4
	v_fma_f32 v13, -v21, v40, v22
	v_div_fixup_f32 v2, v2, v4, 1.0
	v_div_fmas_f32 v4, v11, v29, v38
	s_mov_b32 vcc_lo, s5
	v_fma_f32 v50, -v25, v42, v34
	v_fmac_f32_e32 v41, v49, v32
	v_div_fmas_f32 v11, v12, v30, v39
	s_mov_b32 vcc_lo, s6
	v_div_fixup_f32 v5, v10, v5, 1.0
	v_fmac_f32_e32 v42, v50, v33
	v_div_fmas_f32 v10, v13, v31, v40
	v_cmp_class_f32_e64 vcc_lo, v2, 0x1f8
	v_fma_f32 v14, -v23, v41, v24
	v_div_fixup_f32 v3, v3, v0, 1.0
	v_fma_f32 v15, -v25, v42, v34
	v_div_fixup_f32 v4, v4, v1, 1.0
	v_cndmask_b32_e32 v0, 0, v2, vcc_lo
	s_mov_b32 vcc_lo, s7
	v_div_fixup_f32 v6, v11, v6, 1.0
	v_div_fmas_f32 v12, v14, v32, v41
	v_cmp_class_f32_e64 vcc_lo, v3, 0x1f8
	s_delay_alu instid0(VALU_DEP_2)
	v_div_fixup_f32 v7, v12, v7, 1.0
	v_cndmask_b32_e32 v1, 0, v3, vcc_lo
	s_mov_b32 vcc_lo, s8
	v_div_fmas_f32 v11, v15, v33, v42
	v_cmp_class_f32_e64 vcc_lo, v5, 0x1f8
	v_cndmask_b32_e32 v2, 0, v5, vcc_lo
	v_cmp_class_f32_e64 vcc_lo, v4, 0x1f8
	v_div_fixup_f32 v5, v10, v8, 1.0
	v_div_fixup_f32 v8, v11, v9, 1.0
	v_cndmask_b32_e32 v3, 0, v4, vcc_lo
	v_cmp_class_f32_e64 vcc_lo, v6, 0x1f8
	v_cndmask_b32_e32 v4, 0, v6, vcc_lo
	v_cmp_class_f32_e64 vcc_lo, v5, 0x1f8
	;; [unrolled: 2-line block ×4, first 2 shown]
	v_cndmask_b32_e32 v7, 0, v8, vcc_lo
	s_cbranch_scc1 .LBB344_27
; %bb.4:
	v_lshlrev_b32_e32 v12, 2, v18
	s_clause 0x1
	global_load_b128 v[8:11], v12, s[10:11]
	global_load_b128 v[12:15], v12, s[10:11] offset:16
	s_waitcnt vmcnt(1)
	v_dual_add_f32 v9, v9, v1 :: v_dual_add_f32 v8, v8, v0
	v_dual_add_f32 v11, v11, v3 :: v_dual_add_f32 v10, v10, v2
	s_waitcnt vmcnt(0)
	v_dual_add_f32 v13, v13, v5 :: v_dual_add_f32 v12, v12, v4
	v_dual_add_f32 v15, v15, v7 :: v_dual_add_f32 v14, v14, v6
	s_cbranch_execnz .LBB344_6
.LBB344_5:
	v_dual_mov_b32 v15, v7 :: v_dual_mov_b32 v14, v6
	v_dual_mov_b32 v13, v5 :: v_dual_mov_b32 v12, v4
	;; [unrolled: 1-line block ×4, first 2 shown]
.LBB344_6:
	s_load_b128 s[8:11], s[0:1], 0x30
	v_cmp_eq_u32_e64 s2, 0, v17
	s_mov_b32 s6, 0
	s_waitcnt lgkmcnt(0)
	s_bitcmp1_b32 s11, 0
	s_cselect_b32 vcc_lo, -1, 0
	s_cmp_gt_i32 s8, 0
	s_cselect_b32 s5, -1, 0
	s_cmp_lt_i32 s8, 1
	s_cbranch_scc1 .LBB344_28
; %bb.7:
	v_mbcnt_lo_u32_b32 v19, -1, 0
	s_load_b128 s[12:15], s[0:1], 0x20
	v_mov_b32_e32 v24, v16
	s_delay_alu instid0(VALU_DEP_2) | instskip(SKIP_3) | instid1(VALU_DEP_4)
	v_and_b32_e32 v20, 24, v19
	v_xor_b32_e32 v21, 4, v19
	v_xor_b32_e32 v22, 2, v19
	;; [unrolled: 1-line block ×3, first 2 shown]
	v_add_nc_u32_e32 v20, 8, v20
	s_delay_alu instid0(VALU_DEP_1) | instskip(NEXT) | instid1(VALU_DEP_1)
	v_cmp_lt_i32_e64 s0, v21, v20
	v_cndmask_b32_e64 v21, v19, v21, s0
	v_cmp_lt_i32_e64 s0, v22, v20
	s_delay_alu instid0(VALU_DEP_2) | instskip(NEXT) | instid1(VALU_DEP_2)
	v_lshlrev_b32_e32 v21, 2, v21
	v_cndmask_b32_e64 v22, v19, v22, s0
	v_cmp_lt_i32_e64 s0, v23, v20
	v_mul_lo_u32 v20, v16, s8
	s_delay_alu instid0(VALU_DEP_3) | instskip(NEXT) | instid1(VALU_DEP_3)
	v_lshlrev_b32_e32 v22, 2, v22
	v_cndmask_b32_e64 v23, v19, v23, s0
	v_mov_b32_e32 v19, 0
	s_delay_alu instid0(VALU_DEP_2)
	v_lshlrev_b32_e32 v23, 2, v23
	s_branch .LBB344_10
.LBB344_8:                              ;   in Loop: Header=BB344_10 Depth=1
	s_or_b32 exec_lo, exec_lo, s1
.LBB344_9:                              ;   in Loop: Header=BB344_10 Depth=1
	v_add_nc_u32_e32 v24, s18, v24
	s_cmp_eq_u32 s8, s6
	s_cbranch_scc1 .LBB344_29
.LBB344_10:                             ; =>This Inner Loop Header: Depth=1
	v_cmp_gt_f32_e64 s0, v9, v8
	s_delay_alu instid0(VALU_DEP_1) | instskip(SKIP_2) | instid1(VALU_DEP_3)
	v_cndmask_b32_e64 v26, v8, v9, s0
	v_cndmask_b32_e64 v25, 0, 1, s0
	;; [unrolled: 1-line block ×3, first 2 shown]
	v_cmp_gt_f32_e64 s1, v10, v26
	s_delay_alu instid0(VALU_DEP_1) | instskip(NEXT) | instid1(VALU_DEP_4)
	v_cndmask_b32_e64 v26, v26, v10, s1
	v_cndmask_b32_e64 v25, v25, 2, s1
	s_delay_alu instid0(VALU_DEP_4) | instskip(NEXT) | instid1(VALU_DEP_3)
	v_cndmask_b32_e64 v27, v27, v2, s1
	v_cmp_gt_f32_e64 s3, v11, v26
	s_delay_alu instid0(VALU_DEP_1) | instskip(NEXT) | instid1(VALU_DEP_4)
	v_cndmask_b32_e64 v26, v26, v11, s3
	v_cndmask_b32_e64 v25, v25, 3, s3
	s_delay_alu instid0(VALU_DEP_4) | instskip(NEXT) | instid1(VALU_DEP_3)
	v_cndmask_b32_e64 v27, v27, v3, s3
	v_cmp_gt_f32_e64 s4, v12, v26
	s_delay_alu instid0(VALU_DEP_1) | instskip(NEXT) | instid1(VALU_DEP_4)
	v_cndmask_b32_e64 v26, v26, v12, s4
	v_cndmask_b32_e64 v25, v25, 4, s4
	s_delay_alu instid0(VALU_DEP_4) | instskip(SKIP_1) | instid1(VALU_DEP_3)
	v_cndmask_b32_e64 v27, v27, v4, s4
	s_mov_b32 s4, exec_lo
	v_cmp_gt_f32_e64 s0, v13, v26
	s_delay_alu instid0(VALU_DEP_1) | instskip(SKIP_2) | instid1(VALU_DEP_3)
	v_cndmask_b32_e64 v26, v26, v13, s0
	v_cndmask_b32_e64 v25, v25, 5, s0
	;; [unrolled: 1-line block ×3, first 2 shown]
	v_cmp_gt_f32_e64 s1, v14, v26
	s_delay_alu instid0(VALU_DEP_1) | instskip(NEXT) | instid1(VALU_DEP_4)
	v_cndmask_b32_e64 v26, v26, v14, s1
	v_cndmask_b32_e64 v25, v25, 6, s1
	s_waitcnt lgkmcnt(0)
	v_cndmask_b32_e64 v28, v27, v6, s1
	s_delay_alu instid0(VALU_DEP_3) | instskip(NEXT) | instid1(VALU_DEP_1)
	v_cmp_gt_f32_e64 s0, v15, v26
	v_cndmask_b32_e64 v25, v25, 7, s0
	v_cndmask_b32_e64 v27, v26, v15, s0
	s_delay_alu instid0(VALU_DEP_4) | instskip(NEXT) | instid1(VALU_DEP_3)
	v_cndmask_b32_e64 v26, v28, v7, s0
	v_or_b32_e32 v25, v18, v25
	ds_bpermute_b32 v28, v21, v27
	ds_bpermute_b32 v30, v21, v26
	;; [unrolled: 1-line block ×3, first 2 shown]
	s_waitcnt lgkmcnt(0)
	v_cmp_lt_f32_e64 s3, v27, v28
	v_cmpx_nlt_f32_e32 v27, v28
; %bb.11:                               ;   in Loop: Header=BB344_10 Depth=1
	v_cmp_eq_f32_e64 s0, v27, v28
	v_cmp_lt_i32_e64 s1, v29, v25
	s_delay_alu instid0(VALU_DEP_1) | instskip(SKIP_2) | instid1(SALU_CYCLE_1)
	s_and_b32 s0, s0, s1
	s_and_not1_b32 s1, s3, exec_lo
	s_and_b32 s0, s0, exec_lo
	s_or_b32 s3, s1, s0
; %bb.12:                               ;   in Loop: Header=BB344_10 Depth=1
	s_or_b32 exec_lo, exec_lo, s4
	s_and_saveexec_b32 s0, s3
; %bb.13:                               ;   in Loop: Header=BB344_10 Depth=1
	v_dual_mov_b32 v26, v30 :: v_dual_mov_b32 v27, v28
	v_mov_b32_e32 v25, v29
; %bb.14:                               ;   in Loop: Header=BB344_10 Depth=1
	s_or_b32 exec_lo, exec_lo, s0
	ds_bpermute_b32 v28, v22, v27
	ds_bpermute_b32 v30, v22, v26
	;; [unrolled: 1-line block ×3, first 2 shown]
	s_mov_b32 s4, exec_lo
	s_waitcnt lgkmcnt(2)
	v_cmp_lt_f32_e64 s3, v27, v28
	v_cmpx_nlt_f32_e32 v27, v28
	s_cbranch_execz .LBB344_16
; %bb.15:                               ;   in Loop: Header=BB344_10 Depth=1
	v_cmp_eq_f32_e64 s0, v27, v28
	s_waitcnt lgkmcnt(0)
	v_cmp_lt_i32_e64 s1, v29, v25
	s_delay_alu instid0(VALU_DEP_1) | instskip(SKIP_2) | instid1(SALU_CYCLE_1)
	s_and_b32 s0, s0, s1
	s_and_not1_b32 s1, s3, exec_lo
	s_and_b32 s0, s0, exec_lo
	s_or_b32 s3, s1, s0
.LBB344_16:                             ;   in Loop: Header=BB344_10 Depth=1
	s_or_b32 exec_lo, exec_lo, s4
	s_delay_alu instid0(VALU_DEP_2)
	s_and_saveexec_b32 s0, s3
	s_cbranch_execz .LBB344_18
; %bb.17:                               ;   in Loop: Header=BB344_10 Depth=1
	s_waitcnt lgkmcnt(1)
	v_dual_mov_b32 v26, v30 :: v_dual_mov_b32 v27, v28
	s_waitcnt lgkmcnt(0)
	v_mov_b32_e32 v25, v29
.LBB344_18:                             ;   in Loop: Header=BB344_10 Depth=1
	s_or_b32 exec_lo, exec_lo, s0
	s_waitcnt lgkmcnt(1)
	ds_bpermute_b32 v30, v23, v27
	ds_bpermute_b32 v28, v23, v26
	s_waitcnt lgkmcnt(2)
	ds_bpermute_b32 v29, v23, v25
	s_mov_b32 s4, exec_lo
	s_waitcnt lgkmcnt(2)
	v_cmp_lt_f32_e64 s3, v27, v30
	v_cmpx_nlt_f32_e32 v27, v30
	s_cbranch_execnz .LBB344_22
; %bb.19:                               ;   in Loop: Header=BB344_10 Depth=1
	s_or_b32 exec_lo, exec_lo, s4
	s_delay_alu instid0(VALU_DEP_2)
	s_and_saveexec_b32 s0, s3
	s_cbranch_execnz .LBB344_23
.LBB344_20:                             ;   in Loop: Header=BB344_10 Depth=1
	s_or_b32 exec_lo, exec_lo, s0
	s_and_saveexec_b32 s3, s2
	s_cbranch_execnz .LBB344_24
.LBB344_21:                             ;   in Loop: Header=BB344_10 Depth=1
	s_or_b32 exec_lo, exec_lo, s3
	s_add_i32 s6, s6, 1
	s_delay_alu instid0(SALU_CYCLE_1)
	s_cmp_ge_i32 s6, s8
	s_cbranch_scc1 .LBB344_9
	s_branch .LBB344_25
.LBB344_22:                             ;   in Loop: Header=BB344_10 Depth=1
	v_cmp_eq_f32_e64 s0, v27, v30
	s_waitcnt lgkmcnt(0)
	v_cmp_lt_i32_e64 s1, v29, v25
	s_delay_alu instid0(VALU_DEP_1) | instskip(SKIP_2) | instid1(SALU_CYCLE_1)
	s_and_b32 s0, s0, s1
	s_and_not1_b32 s1, s3, exec_lo
	s_and_b32 s0, s0, exec_lo
	s_or_b32 s3, s1, s0
	s_or_b32 exec_lo, exec_lo, s4
	s_and_saveexec_b32 s0, s3
	s_cbranch_execz .LBB344_20
.LBB344_23:                             ;   in Loop: Header=BB344_10 Depth=1
	s_waitcnt lgkmcnt(0)
	v_dual_mov_b32 v25, v29 :: v_dual_mov_b32 v26, v28
	s_or_b32 exec_lo, exec_lo, s0
	s_and_saveexec_b32 s3, s2
	s_cbranch_execz .LBB344_21
.LBB344_24:                             ;   in Loop: Header=BB344_10 Depth=1
	s_delay_alu instid0(VALU_DEP_1)
	v_dual_add_f32 v34, v19, v26 :: v_dual_add_nc_u32 v27, s6, v20
	v_cmp_le_i32_e64 s0, s9, v25
	v_cmp_gt_i32_e64 s1, s10, v25
	s_waitcnt lgkmcnt(0)
	v_subrev_nc_u32_e32 v29, s9, v25
	v_ashrrev_i32_e32 v28, 31, v27
	v_cndmask_b32_e32 v19, v19, v34, vcc_lo
	s_and_b32 s0, s0, s1
	s_delay_alu instid0(SALU_CYCLE_1) | instskip(NEXT) | instid1(VALU_DEP_2)
	s_and_b32 s0, s19, s0
	v_lshlrev_b64 v[27:28], 2, v[27:28]
	v_cndmask_b32_e64 v33, 64, v29, s0
	s_delay_alu instid0(VALU_DEP_2) | instskip(NEXT) | instid1(VALU_DEP_1)
	v_add_co_u32 v29, s0, s16, v27
	v_add_co_ci_u32_e64 v30, s0, s17, v28, s0
	v_add_co_u32 v31, s0, s12, v27
	s_delay_alu instid0(VALU_DEP_1) | instskip(SKIP_1) | instid1(VALU_DEP_1)
	v_add_co_ci_u32_e64 v32, s0, s13, v28, s0
	v_add_co_u32 v27, s0, s14, v27
	v_add_co_ci_u32_e64 v28, s0, s15, v28, s0
	global_store_b32 v[29:30], v26, off
	global_store_b32 v[31:32], v33, off
	;; [unrolled: 1-line block ×3, first 2 shown]
	s_or_b32 exec_lo, exec_lo, s3
	s_add_i32 s6, s6, 1
	s_delay_alu instid0(SALU_CYCLE_1)
	s_cmp_ge_i32 s6, s8
	s_cbranch_scc1 .LBB344_9
.LBB344_25:                             ;   in Loop: Header=BB344_10 Depth=1
	v_ashrrev_i32_e32 v27, 31, v25
	s_mov_b32 s1, exec_lo
	s_delay_alu instid0(VALU_DEP_1) | instskip(NEXT) | instid1(VALU_DEP_1)
	v_lshrrev_b32_e32 v26, 29, v27
	v_add_nc_u32_e32 v26, v25, v26
	s_delay_alu instid0(VALU_DEP_1) | instskip(SKIP_1) | instid1(VALU_DEP_1)
	v_ashrrev_i32_e32 v26, 3, v26
	s_waitcnt lgkmcnt(1)
	v_lshrrev_b32_e32 v28, 29, v26
	s_delay_alu instid0(VALU_DEP_1) | instskip(NEXT) | instid1(VALU_DEP_1)
	v_add_nc_u32_e32 v28, v26, v28
	v_and_b32_e32 v28, -8, v28
	s_delay_alu instid0(VALU_DEP_1) | instskip(NEXT) | instid1(VALU_DEP_1)
	v_sub_nc_u32_e32 v28, v26, v28
	v_cmpx_eq_u32_e64 v17, v28
	s_cbranch_execz .LBB344_8
; %bb.26:                               ;   in Loop: Header=BB344_10 Depth=1
	v_lshrrev_b32_e32 v27, 26, v27
	v_lshlrev_b32_e32 v26, 3, v26
	s_delay_alu instid0(VALU_DEP_2) | instskip(NEXT) | instid1(VALU_DEP_2)
	v_add_nc_u32_e32 v27, v25, v27
	v_sub_nc_u32_e32 v25, v25, v26
	s_delay_alu instid0(VALU_DEP_2) | instskip(NEXT) | instid1(VALU_DEP_1)
	v_ashrrev_i32_e32 v26, 6, v27
	v_lshl_add_u32 v25, v26, 3, v25
	s_delay_alu instid0(VALU_DEP_1) | instskip(NEXT) | instid1(VALU_DEP_1)
	v_cmp_ne_u32_e64 s0, 7, v25
	v_cndmask_b32_e64 v15, 0xc61c4000, v15, s0
	v_cmp_ne_u32_e64 s0, 6, v25
	s_delay_alu instid0(VALU_DEP_1) | instskip(SKIP_1) | instid1(VALU_DEP_1)
	v_cndmask_b32_e64 v14, 0xc61c4000, v14, s0
	v_cmp_ne_u32_e64 s0, 5, v25
	v_cndmask_b32_e64 v13, 0xc61c4000, v13, s0
	v_cmp_ne_u32_e64 s0, 4, v25
	s_delay_alu instid0(VALU_DEP_1) | instskip(SKIP_1) | instid1(VALU_DEP_1)
	v_cndmask_b32_e64 v12, 0xc61c4000, v12, s0
	;; [unrolled: 5-line block ×3, first 2 shown]
	v_cmp_ne_u32_e64 s0, 1, v25
	v_cndmask_b32_e64 v9, 0xc61c4000, v9, s0
	v_cmp_ne_u32_e64 s0, 0, v25
	s_delay_alu instid0(VALU_DEP_1)
	v_cndmask_b32_e64 v8, 0xc61c4000, v8, s0
	s_branch .LBB344_8
.LBB344_27:
                                        ; implicit-def: $vgpr8_vgpr9_vgpr10_vgpr11_vgpr12_vgpr13_vgpr14_vgpr15
	s_and_not1_b32 vcc_lo, exec_lo, s9
	s_cbranch_vccz .LBB344_5
	s_branch .LBB344_6
.LBB344_28:
	v_mov_b32_e32 v19, 0
.LBB344_29:
	v_cmp_eq_u32_e64 s0, 0, v17
	s_delay_alu instid0(VALU_DEP_1) | instskip(NEXT) | instid1(SALU_CYCLE_1)
	s_and_b32 s0, s0, vcc_lo
	s_and_b32 exec_lo, exec_lo, s0
	s_cbranch_execz .LBB344_33
; %bb.30:
	s_and_not1_b32 vcc_lo, exec_lo, s5
	s_cbranch_vccnz .LBB344_33
; %bb.31:
	v_mul_lo_u32 v0, v16, s8
	v_cmp_lt_f32_e32 vcc_lo, 0, v19
	v_cndmask_b32_e32 v2, 1.0, v19, vcc_lo
	s_delay_alu instid0(VALU_DEP_3) | instskip(NEXT) | instid1(VALU_DEP_1)
	v_ashrrev_i32_e32 v1, 31, v0
	v_lshlrev_b64 v[0:1], 2, v[0:1]
	s_delay_alu instid0(VALU_DEP_1) | instskip(NEXT) | instid1(VALU_DEP_2)
	v_add_co_u32 v0, vcc_lo, s16, v0
	v_add_co_ci_u32_e32 v1, vcc_lo, s17, v1, vcc_lo
	.p2align	6
.LBB344_32:                             ; =>This Inner Loop Header: Depth=1
	global_load_b32 v3, v[0:1], off
	s_add_i32 s8, s8, -1
	s_delay_alu instid0(SALU_CYCLE_1) | instskip(SKIP_3) | instid1(VALU_DEP_2)
	s_cmp_lg_u32 s8, 0
	s_waitcnt vmcnt(0)
	v_div_scale_f32 v4, null, v2, v2, v3
	v_div_scale_f32 v7, vcc_lo, v3, v2, v3
	v_rcp_f32_e32 v5, v4
	s_waitcnt_depctr 0xfff
	v_fma_f32 v6, -v4, v5, 1.0
	s_delay_alu instid0(VALU_DEP_1) | instskip(NEXT) | instid1(VALU_DEP_1)
	v_fmac_f32_e32 v5, v6, v5
	v_mul_f32_e32 v6, v7, v5
	s_delay_alu instid0(VALU_DEP_1) | instskip(NEXT) | instid1(VALU_DEP_1)
	v_fma_f32 v8, -v4, v6, v7
	v_fmac_f32_e32 v6, v8, v5
	s_delay_alu instid0(VALU_DEP_1) | instskip(NEXT) | instid1(VALU_DEP_1)
	v_fma_f32 v4, -v4, v6, v7
	v_div_fmas_f32 v4, v4, v5, v6
	s_delay_alu instid0(VALU_DEP_1)
	v_div_fixup_f32 v3, v4, v2, v3
	global_store_b32 v[0:1], v3, off
	v_add_co_u32 v0, vcc_lo, v0, 4
	v_add_co_ci_u32_e32 v1, vcc_lo, 0, v1, vcc_lo
	s_cbranch_scc1 .LBB344_32
.LBB344_33:
	s_nop 0
	s_sendmsg sendmsg(MSG_DEALLOC_VGPRS)
	s_endpgm
	.section	.rodata,"a",@progbits
	.p2align	6, 0x0
	.amdhsa_kernel _ZN4vllm3moe10topkGatingILi8ELi64ELi4ELi16ELi32Ej14__hip_bfloat16LNS0_11ScoringFuncE1EEEvPKT5_PKbPfiPT4_PiiiibPKf
		.amdhsa_group_segment_fixed_size 0
		.amdhsa_private_segment_fixed_size 0
		.amdhsa_kernarg_size 72
		.amdhsa_user_sgpr_count 15
		.amdhsa_user_sgpr_dispatch_ptr 0
		.amdhsa_user_sgpr_queue_ptr 0
		.amdhsa_user_sgpr_kernarg_segment_ptr 1
		.amdhsa_user_sgpr_dispatch_id 0
		.amdhsa_user_sgpr_private_segment_size 0
		.amdhsa_wavefront_size32 1
		.amdhsa_uses_dynamic_stack 0
		.amdhsa_enable_private_segment 0
		.amdhsa_system_sgpr_workgroup_id_x 1
		.amdhsa_system_sgpr_workgroup_id_y 0
		.amdhsa_system_sgpr_workgroup_id_z 0
		.amdhsa_system_sgpr_workgroup_info 0
		.amdhsa_system_vgpr_workitem_id 1
		.amdhsa_next_free_vgpr 51
		.amdhsa_next_free_sgpr 20
		.amdhsa_reserve_vcc 1
		.amdhsa_float_round_mode_32 0
		.amdhsa_float_round_mode_16_64 0
		.amdhsa_float_denorm_mode_32 3
		.amdhsa_float_denorm_mode_16_64 3
		.amdhsa_dx10_clamp 1
		.amdhsa_ieee_mode 1
		.amdhsa_fp16_overflow 0
		.amdhsa_workgroup_processor_mode 1
		.amdhsa_memory_ordered 1
		.amdhsa_forward_progress 0
		.amdhsa_shared_vgpr_count 0
		.amdhsa_exception_fp_ieee_invalid_op 0
		.amdhsa_exception_fp_denorm_src 0
		.amdhsa_exception_fp_ieee_div_zero 0
		.amdhsa_exception_fp_ieee_overflow 0
		.amdhsa_exception_fp_ieee_underflow 0
		.amdhsa_exception_fp_ieee_inexact 0
		.amdhsa_exception_int_div_zero 0
	.end_amdhsa_kernel
	.section	.text._ZN4vllm3moe10topkGatingILi8ELi64ELi4ELi16ELi32Ej14__hip_bfloat16LNS0_11ScoringFuncE1EEEvPKT5_PKbPfiPT4_PiiiibPKf,"axG",@progbits,_ZN4vllm3moe10topkGatingILi8ELi64ELi4ELi16ELi32Ej14__hip_bfloat16LNS0_11ScoringFuncE1EEEvPKT5_PKbPfiPT4_PiiiibPKf,comdat
.Lfunc_end344:
	.size	_ZN4vllm3moe10topkGatingILi8ELi64ELi4ELi16ELi32Ej14__hip_bfloat16LNS0_11ScoringFuncE1EEEvPKT5_PKbPfiPT4_PiiiibPKf, .Lfunc_end344-_ZN4vllm3moe10topkGatingILi8ELi64ELi4ELi16ELi32Ej14__hip_bfloat16LNS0_11ScoringFuncE1EEEvPKT5_PKbPfiPT4_PiiiibPKf
                                        ; -- End function
	.section	.AMDGPU.csdata,"",@progbits
; Kernel info:
; codeLenInByte = 2932
; NumSgprs: 22
; NumVgprs: 51
; ScratchSize: 0
; MemoryBound: 0
; FloatMode: 240
; IeeeMode: 1
; LDSByteSize: 0 bytes/workgroup (compile time only)
; SGPRBlocks: 2
; VGPRBlocks: 6
; NumSGPRsForWavesPerEU: 22
; NumVGPRsForWavesPerEU: 51
; Occupancy: 16
; WaveLimiterHint : 0
; COMPUTE_PGM_RSRC2:SCRATCH_EN: 0
; COMPUTE_PGM_RSRC2:USER_SGPR: 15
; COMPUTE_PGM_RSRC2:TRAP_HANDLER: 0
; COMPUTE_PGM_RSRC2:TGID_X_EN: 1
; COMPUTE_PGM_RSRC2:TGID_Y_EN: 0
; COMPUTE_PGM_RSRC2:TGID_Z_EN: 0
; COMPUTE_PGM_RSRC2:TIDIG_COMP_CNT: 1
	.section	.text._ZN4vllm3moe10topkGatingILi8ELi128ELi4ELi16ELi64Ej14__hip_bfloat16LNS0_11ScoringFuncE1EEEvPKT5_PKbPfiPT4_PiiiibPKf,"axG",@progbits,_ZN4vllm3moe10topkGatingILi8ELi128ELi4ELi16ELi64Ej14__hip_bfloat16LNS0_11ScoringFuncE1EEEvPKT5_PKbPfiPT4_PiiiibPKf,comdat
	.protected	_ZN4vllm3moe10topkGatingILi8ELi128ELi4ELi16ELi64Ej14__hip_bfloat16LNS0_11ScoringFuncE1EEEvPKT5_PKbPfiPT4_PiiiibPKf ; -- Begin function _ZN4vllm3moe10topkGatingILi8ELi128ELi4ELi16ELi64Ej14__hip_bfloat16LNS0_11ScoringFuncE1EEEvPKT5_PKbPfiPT4_PiiiibPKf
	.globl	_ZN4vllm3moe10topkGatingILi8ELi128ELi4ELi16ELi64Ej14__hip_bfloat16LNS0_11ScoringFuncE1EEEvPKT5_PKbPfiPT4_PiiiibPKf
	.p2align	8
	.type	_ZN4vllm3moe10topkGatingILi8ELi128ELi4ELi16ELi64Ej14__hip_bfloat16LNS0_11ScoringFuncE1EEEvPKT5_PKbPfiPT4_PiiiibPKf,@function
_ZN4vllm3moe10topkGatingILi8ELi128ELi4ELi16ELi64Ej14__hip_bfloat16LNS0_11ScoringFuncE1EEEvPKT5_PKbPfiPT4_PiiiibPKf: ; @_ZN4vllm3moe10topkGatingILi8ELi128ELi4ELi16ELi64Ej14__hip_bfloat16LNS0_11ScoringFuncE1EEEvPKT5_PKbPfiPT4_PiiiibPKf
; %bb.0:
	s_load_b32 s18, s[0:1], 0x18
	v_bfe_u32 v1, v0, 10, 10
	v_and_b32_e32 v0, 0x3ff, v0
	s_lshl_b32 s2, s15, 4
	s_delay_alu instid0(VALU_DEP_2) | instskip(NEXT) | instid1(VALU_DEP_2)
	v_lshlrev_b32_e32 v1, 2, v1
	v_lshrrev_b32_e32 v2, 4, v0
	s_delay_alu instid0(VALU_DEP_1) | instskip(SKIP_2) | instid1(VALU_DEP_1)
	v_add3_u32 v16, s2, v1, v2
	s_mov_b32 s2, exec_lo
	s_waitcnt lgkmcnt(0)
	v_cmpx_gt_i32_e64 s18, v16
	s_cbranch_execz .LBB345_37
; %bb.1:
	s_clause 0x1
	s_load_b128 s[4:7], s[0:1], 0x0
	s_load_b64 s[16:17], s[0:1], 0x10
	s_mov_b32 s9, -1
	s_mov_b32 s19, -1
	s_waitcnt lgkmcnt(0)
	s_cmp_eq_u64 s[6:7], 0
	s_cbranch_scc1 .LBB345_3
; %bb.2:
	v_ashrrev_i32_e32 v2, 31, v16
	v_add_co_u32 v1, vcc_lo, s6, v16
	s_delay_alu instid0(VALU_DEP_2) | instskip(SKIP_3) | instid1(VALU_DEP_1)
	v_add_co_ci_u32_e32 v2, vcc_lo, s7, v2, vcc_lo
	global_load_u8 v1, v[1:2], off
	s_waitcnt vmcnt(0)
	v_and_b32_e32 v1, 1, v1
	v_cmp_eq_u32_e32 vcc_lo, 1, v1
	s_xor_b32 s2, vcc_lo, -1
	s_delay_alu instid0(SALU_CYCLE_1)
	s_or_not1_b32 s19, s2, exec_lo
.LBB345_3:
	v_lshlrev_b32_e32 v1, 7, v16
	v_and_b32_e32 v17, 15, v0
	s_load_b64 s[10:11], s[0:1], 0x40
	s_delay_alu instid0(VALU_DEP_2) | instskip(NEXT) | instid1(VALU_DEP_1)
	v_ashrrev_i32_e32 v2, 31, v1
	v_lshlrev_b64 v[0:1], 1, v[1:2]
	s_delay_alu instid0(VALU_DEP_3) | instskip(NEXT) | instid1(VALU_DEP_2)
	v_lshlrev_b32_e32 v2, 4, v17
	v_add_co_u32 v0, vcc_lo, s4, v0
	s_delay_alu instid0(VALU_DEP_3) | instskip(NEXT) | instid1(VALU_DEP_2)
	v_add_co_ci_u32_e32 v1, vcc_lo, s5, v1, vcc_lo
	v_add_co_u32 v0, vcc_lo, v0, v2
	s_delay_alu instid0(VALU_DEP_2)
	v_add_co_ci_u32_e32 v1, vcc_lo, 0, v1, vcc_lo
	s_waitcnt lgkmcnt(0)
	s_cmp_eq_u64 s[10:11], 0
	global_load_b128 v[0:3], v[0:1], off
	s_waitcnt vmcnt(0)
	v_lshlrev_b32_e32 v5, 16, v1
	s_delay_alu instid0(VALU_DEP_1) | instskip(NEXT) | instid1(VALU_DEP_1)
	v_dual_mul_f32 v5, 0xbfb8aa3b, v5 :: v_dual_lshlrev_b32 v4, 16, v0
	v_mul_f32_e32 v4, 0xbfb8aa3b, v4
	s_delay_alu instid0(VALU_DEP_2) | instskip(NEXT) | instid1(VALU_DEP_1)
	v_exp_f32_e32 v5, v5
	v_exp_f32_e32 v4, v4
	v_and_b32_e32 v1, 0xffff0000, v1
	s_waitcnt_depctr 0xfff
	v_dual_add_f32 v5, 1.0, v5 :: v_dual_and_b32 v0, 0xffff0000, v0
	v_add_f32_e32 v4, 1.0, v4
	v_dual_mul_f32 v1, 0xbfb8aa3b, v1 :: v_dual_lshlrev_b32 v6, 16, v2
	s_delay_alu instid0(VALU_DEP_3) | instskip(NEXT) | instid1(VALU_DEP_4)
	v_dual_mul_f32 v0, 0xbfb8aa3b, v0 :: v_dual_lshlrev_b32 v7, 16, v3
	v_div_scale_f32 v12, null, v5, v5, 1.0
	s_delay_alu instid0(VALU_DEP_3) | instskip(SKIP_1) | instid1(VALU_DEP_3)
	v_exp_f32_e32 v1, v1
	v_and_b32_e32 v2, 0xffff0000, v2
	v_exp_f32_e32 v0, v0
	v_and_b32_e32 v3, 0xffff0000, v3
	v_dual_mul_f32 v6, 0xbfb8aa3b, v6 :: v_dual_mul_f32 v7, 0xbfb8aa3b, v7
	v_rcp_f32_e32 v28, v12
	v_div_scale_f32 v13, s3, 1.0, v5, 1.0
	s_delay_alu instid0(VALU_DEP_2) | instskip(SKIP_1) | instid1(TRANS32_DEP_3)
	v_exp_f32_e32 v6, v6
	v_dual_add_f32 v1, 1.0, v1 :: v_dual_mul_f32 v2, 0xbfb8aa3b, v2
	v_dual_add_f32 v0, 1.0, v0 :: v_dual_mul_f32 v3, 0xbfb8aa3b, v3
	v_lshlrev_b32_e32 v18, 3, v17
	v_exp_f32_e32 v7, v7
	s_delay_alu instid0(VALU_DEP_3) | instskip(NEXT) | instid1(VALU_DEP_2)
	v_exp_f32_e32 v2, v2
	v_div_scale_f32 v10, null, v0, v0, 1.0
	v_exp_f32_e32 v3, v3
	v_add_f32_e32 v6, 1.0, v6
	v_div_scale_f32 v14, null, v1, v1, 1.0
	s_delay_alu instid0(VALU_DEP_3) | instskip(SKIP_1) | instid1(TRANS32_DEP_3)
	v_rcp_f32_e32 v27, v10
	v_fma_f32 v37, -v12, v28, 1.0
	v_dual_add_f32 v7, 1.0, v7 :: v_dual_add_f32 v8, 1.0, v2
	v_div_scale_f32 v2, null, v4, v4, 1.0
	s_delay_alu instid0(TRANS32_DEP_2) | instskip(SKIP_1) | instid1(VALU_DEP_4)
	v_add_f32_e32 v9, 1.0, v3
	v_div_scale_f32 v19, null, v6, v6, 1.0
	v_div_scale_f32 v21, null, v8, v8, 1.0
	s_delay_alu instid0(VALU_DEP_4) | instskip(NEXT) | instid1(VALU_DEP_2)
	v_rcp_f32_e32 v26, v2
	v_rcp_f32_e32 v30, v19
	v_rcp_f32_e32 v29, v14
	s_delay_alu instid0(VALU_DEP_1)
	v_rcp_f32_e32 v31, v21
	v_div_scale_f32 v23, null, v7, v7, 1.0
	v_fma_f32 v36, -v10, v27, 1.0
	v_div_scale_f32 v3, vcc_lo, 1.0, v4, 1.0
	v_div_scale_f32 v11, s2, 1.0, v0, 1.0
	v_fma_f32 v35, -v2, v26, 1.0
	s_delay_alu instid0(TRANS32_DEP_3) | instskip(NEXT) | instid1(TRANS32_DEP_1)
	v_fma_f32 v39, -v19, v30, 1.0
	v_fma_f32 v40, -v21, v31, 1.0
	s_delay_alu instid0(TRANS32_DEP_2) | instskip(SKIP_3) | instid1(VALU_DEP_3)
	v_fma_f32 v38, -v14, v29, 1.0
	v_div_scale_f32 v25, null, v9, v9, 1.0
	v_dual_fmac_f32 v26, v35, v26 :: v_dual_fmac_f32 v27, v36, v27
	v_rcp_f32_e32 v32, v23
	v_dual_fmac_f32 v28, v37, v28 :: v_dual_fmac_f32 v29, v38, v29
	v_div_scale_f32 v22, s6, 1.0, v8, 1.0
	v_dual_fmac_f32 v30, v39, v30 :: v_dual_fmac_f32 v31, v40, v31
	v_mul_f32_e32 v35, v3, v26
	v_div_scale_f32 v15, s4, 1.0, v1, 1.0
	v_rcp_f32_e32 v33, v25
	s_delay_alu instid0(VALU_DEP_3)
	v_mul_f32_e32 v40, v22, v31
	v_dual_mul_f32 v36, v11, v27 :: v_dual_mul_f32 v37, v13, v28
	v_div_scale_f32 v20, s5, 1.0, v6, 1.0
	v_fma_f32 v43, -v2, v35, v3
	v_mul_f32_e32 v38, v15, v29
	v_fma_f32 v41, -v23, v32, 1.0
	s_delay_alu instid0(VALU_DEP_4)
	v_mul_f32_e32 v39, v20, v30
	v_fma_f32 v44, -v10, v36, v11
	v_fma_f32 v45, -v12, v37, v13
	v_fmac_f32_e32 v35, v43, v26
	v_fma_f32 v46, -v14, v38, v15
	v_div_scale_f32 v24, s7, 1.0, v7, 1.0
	v_fmac_f32_e32 v36, v44, v27
	v_fma_f32 v42, -v25, v33, 1.0
	v_fmac_f32_e32 v32, v41, v32
	v_fma_f32 v47, -v19, v39, v20
	v_dual_fmac_f32 v37, v45, v28 :: v_dual_fmac_f32 v38, v46, v29
	v_fma_f32 v48, -v21, v40, v22
	v_fma_f32 v2, -v2, v35, v3
	v_div_scale_f32 v34, s8, 1.0, v9, 1.0
	v_fmac_f32_e32 v33, v42, v33
	v_mul_f32_e32 v41, v24, v32
	v_fma_f32 v3, -v10, v36, v11
	v_dual_fmac_f32 v39, v47, v30 :: v_dual_fmac_f32 v40, v48, v31
	v_fma_f32 v10, -v12, v37, v13
	v_div_fmas_f32 v2, v2, v26, v35
	s_mov_b32 vcc_lo, s2
	v_fma_f32 v11, -v14, v38, v15
	v_mul_f32_e32 v42, v34, v33
	v_fma_f32 v49, -v23, v41, v24
	v_div_fmas_f32 v3, v3, v27, v36
	s_mov_b32 vcc_lo, s3
	v_fma_f32 v12, -v19, v39, v20
	v_div_fmas_f32 v10, v10, v28, v37
	s_mov_b32 vcc_lo, s4
	v_fma_f32 v13, -v21, v40, v22
	v_div_fixup_f32 v2, v2, v4, 1.0
	v_div_fmas_f32 v4, v11, v29, v38
	s_mov_b32 vcc_lo, s5
	v_fma_f32 v50, -v25, v42, v34
	v_fmac_f32_e32 v41, v49, v32
	v_div_fmas_f32 v11, v12, v30, v39
	s_mov_b32 vcc_lo, s6
	v_div_fixup_f32 v5, v10, v5, 1.0
	v_fmac_f32_e32 v42, v50, v33
	v_div_fmas_f32 v10, v13, v31, v40
	v_cmp_class_f32_e64 vcc_lo, v2, 0x1f8
	v_fma_f32 v14, -v23, v41, v24
	v_div_fixup_f32 v3, v3, v0, 1.0
	v_fma_f32 v15, -v25, v42, v34
	v_div_fixup_f32 v4, v4, v1, 1.0
	v_cndmask_b32_e32 v0, 0, v2, vcc_lo
	s_mov_b32 vcc_lo, s7
	v_div_fixup_f32 v6, v11, v6, 1.0
	v_div_fmas_f32 v12, v14, v32, v41
	v_cmp_class_f32_e64 vcc_lo, v3, 0x1f8
	s_delay_alu instid0(VALU_DEP_2)
	v_div_fixup_f32 v7, v12, v7, 1.0
	v_cndmask_b32_e32 v1, 0, v3, vcc_lo
	s_mov_b32 vcc_lo, s8
	v_div_fmas_f32 v11, v15, v33, v42
	v_cmp_class_f32_e64 vcc_lo, v5, 0x1f8
	v_cndmask_b32_e32 v2, 0, v5, vcc_lo
	v_cmp_class_f32_e64 vcc_lo, v4, 0x1f8
	v_div_fixup_f32 v5, v10, v8, 1.0
	v_div_fixup_f32 v8, v11, v9, 1.0
	v_cndmask_b32_e32 v3, 0, v4, vcc_lo
	v_cmp_class_f32_e64 vcc_lo, v6, 0x1f8
	v_cndmask_b32_e32 v4, 0, v6, vcc_lo
	v_cmp_class_f32_e64 vcc_lo, v5, 0x1f8
	;; [unrolled: 2-line block ×4, first 2 shown]
	v_cndmask_b32_e32 v7, 0, v8, vcc_lo
	s_cbranch_scc1 .LBB345_31
; %bb.4:
	v_lshlrev_b32_e32 v12, 2, v18
	s_clause 0x1
	global_load_b128 v[8:11], v12, s[10:11]
	global_load_b128 v[12:15], v12, s[10:11] offset:16
	s_waitcnt vmcnt(1)
	v_dual_add_f32 v9, v9, v1 :: v_dual_add_f32 v8, v8, v0
	v_dual_add_f32 v11, v11, v3 :: v_dual_add_f32 v10, v10, v2
	s_waitcnt vmcnt(0)
	v_dual_add_f32 v13, v13, v5 :: v_dual_add_f32 v12, v12, v4
	v_dual_add_f32 v15, v15, v7 :: v_dual_add_f32 v14, v14, v6
	s_cbranch_execnz .LBB345_6
.LBB345_5:
	v_dual_mov_b32 v15, v7 :: v_dual_mov_b32 v14, v6
	v_dual_mov_b32 v13, v5 :: v_dual_mov_b32 v12, v4
	;; [unrolled: 1-line block ×4, first 2 shown]
.LBB345_6:
	s_load_b128 s[8:11], s[0:1], 0x30
	v_cmp_eq_u32_e64 s2, 0, v17
	s_mov_b32 s6, 0
	s_waitcnt lgkmcnt(0)
	s_bitcmp1_b32 s11, 0
	s_cselect_b32 vcc_lo, -1, 0
	s_cmp_gt_i32 s8, 0
	s_cselect_b32 s5, -1, 0
	s_cmp_lt_i32 s8, 1
	s_cbranch_scc1 .LBB345_32
; %bb.7:
	v_mbcnt_lo_u32_b32 v19, -1, 0
	s_load_b128 s[12:15], s[0:1], 0x20
	s_delay_alu instid0(VALU_DEP_1)
	v_dual_mov_b32 v25, v16 :: v_dual_and_b32 v20, 16, v19
	v_xor_b32_e32 v21, 8, v19
	v_xor_b32_e32 v22, 4, v19
	;; [unrolled: 1-line block ×4, first 2 shown]
	v_add_nc_u32_e32 v20, 16, v20
	s_delay_alu instid0(VALU_DEP_1) | instskip(NEXT) | instid1(VALU_DEP_1)
	v_cmp_lt_i32_e64 s0, v21, v20
	v_cndmask_b32_e64 v21, v19, v21, s0
	v_cmp_lt_i32_e64 s0, v22, v20
	s_delay_alu instid0(VALU_DEP_2) | instskip(NEXT) | instid1(VALU_DEP_2)
	v_lshlrev_b32_e32 v21, 2, v21
	v_cndmask_b32_e64 v22, v19, v22, s0
	v_cmp_lt_i32_e64 s0, v23, v20
	s_delay_alu instid0(VALU_DEP_2) | instskip(NEXT) | instid1(VALU_DEP_2)
	v_lshlrev_b32_e32 v22, 2, v22
	v_cndmask_b32_e64 v23, v19, v23, s0
	v_cmp_lt_i32_e64 s0, v24, v20
	v_mul_lo_u32 v20, v16, s8
	s_delay_alu instid0(VALU_DEP_3) | instskip(NEXT) | instid1(VALU_DEP_3)
	v_lshlrev_b32_e32 v23, 2, v23
	v_cndmask_b32_e64 v19, v19, v24, s0
	s_delay_alu instid0(VALU_DEP_1)
	v_dual_mov_b32 v19, 0 :: v_dual_lshlrev_b32 v24, 2, v19
	s_branch .LBB345_10
.LBB345_8:                              ;   in Loop: Header=BB345_10 Depth=1
	s_or_b32 exec_lo, exec_lo, s1
.LBB345_9:                              ;   in Loop: Header=BB345_10 Depth=1
	v_add_nc_u32_e32 v25, s18, v25
	s_cmp_eq_u32 s8, s6
	s_cbranch_scc1 .LBB345_33
.LBB345_10:                             ; =>This Inner Loop Header: Depth=1
	v_cmp_gt_f32_e64 s0, v9, v8
	s_delay_alu instid0(VALU_DEP_1) | instskip(SKIP_2) | instid1(VALU_DEP_3)
	v_cndmask_b32_e64 v27, v8, v9, s0
	v_cndmask_b32_e64 v26, 0, 1, s0
	;; [unrolled: 1-line block ×3, first 2 shown]
	v_cmp_gt_f32_e64 s1, v10, v27
	s_delay_alu instid0(VALU_DEP_1) | instskip(NEXT) | instid1(VALU_DEP_4)
	v_cndmask_b32_e64 v27, v27, v10, s1
	v_cndmask_b32_e64 v26, v26, 2, s1
	s_delay_alu instid0(VALU_DEP_4) | instskip(NEXT) | instid1(VALU_DEP_3)
	v_cndmask_b32_e64 v28, v28, v2, s1
	v_cmp_gt_f32_e64 s3, v11, v27
	s_delay_alu instid0(VALU_DEP_1) | instskip(NEXT) | instid1(VALU_DEP_4)
	v_cndmask_b32_e64 v27, v27, v11, s3
	v_cndmask_b32_e64 v26, v26, 3, s3
	s_delay_alu instid0(VALU_DEP_4) | instskip(NEXT) | instid1(VALU_DEP_3)
	v_cndmask_b32_e64 v28, v28, v3, s3
	v_cmp_gt_f32_e64 s4, v12, v27
	s_delay_alu instid0(VALU_DEP_1) | instskip(NEXT) | instid1(VALU_DEP_4)
	v_cndmask_b32_e64 v27, v27, v12, s4
	v_cndmask_b32_e64 v26, v26, 4, s4
	s_delay_alu instid0(VALU_DEP_4) | instskip(SKIP_1) | instid1(VALU_DEP_3)
	v_cndmask_b32_e64 v28, v28, v4, s4
	s_mov_b32 s4, exec_lo
	v_cmp_gt_f32_e64 s0, v13, v27
	s_delay_alu instid0(VALU_DEP_1) | instskip(SKIP_2) | instid1(VALU_DEP_3)
	v_cndmask_b32_e64 v27, v27, v13, s0
	v_cndmask_b32_e64 v26, v26, 5, s0
	;; [unrolled: 1-line block ×3, first 2 shown]
	v_cmp_gt_f32_e64 s1, v14, v27
	s_delay_alu instid0(VALU_DEP_1) | instskip(NEXT) | instid1(VALU_DEP_4)
	v_cndmask_b32_e64 v27, v27, v14, s1
	v_cndmask_b32_e64 v26, v26, 6, s1
	s_waitcnt lgkmcnt(0)
	v_cndmask_b32_e64 v29, v28, v6, s1
	s_delay_alu instid0(VALU_DEP_3) | instskip(NEXT) | instid1(VALU_DEP_1)
	v_cmp_gt_f32_e64 s0, v15, v27
	v_cndmask_b32_e64 v26, v26, 7, s0
	v_cndmask_b32_e64 v28, v27, v15, s0
	s_delay_alu instid0(VALU_DEP_4) | instskip(NEXT) | instid1(VALU_DEP_3)
	v_cndmask_b32_e64 v27, v29, v7, s0
	v_or_b32_e32 v26, v18, v26
	ds_bpermute_b32 v29, v21, v28
	ds_bpermute_b32 v31, v21, v27
	;; [unrolled: 1-line block ×3, first 2 shown]
	s_waitcnt lgkmcnt(0)
	v_cmp_lt_f32_e64 s3, v28, v29
	v_cmpx_nlt_f32_e32 v28, v29
; %bb.11:                               ;   in Loop: Header=BB345_10 Depth=1
	v_cmp_eq_f32_e64 s0, v28, v29
	v_cmp_lt_i32_e64 s1, v30, v26
	s_delay_alu instid0(VALU_DEP_1) | instskip(SKIP_2) | instid1(SALU_CYCLE_1)
	s_and_b32 s0, s0, s1
	s_and_not1_b32 s1, s3, exec_lo
	s_and_b32 s0, s0, exec_lo
	s_or_b32 s3, s1, s0
; %bb.12:                               ;   in Loop: Header=BB345_10 Depth=1
	s_or_b32 exec_lo, exec_lo, s4
	s_and_saveexec_b32 s0, s3
; %bb.13:                               ;   in Loop: Header=BB345_10 Depth=1
	v_dual_mov_b32 v27, v31 :: v_dual_mov_b32 v28, v29
	v_mov_b32_e32 v26, v30
; %bb.14:                               ;   in Loop: Header=BB345_10 Depth=1
	s_or_b32 exec_lo, exec_lo, s0
	ds_bpermute_b32 v29, v22, v28
	ds_bpermute_b32 v31, v22, v27
	;; [unrolled: 1-line block ×3, first 2 shown]
	s_mov_b32 s4, exec_lo
	s_waitcnt lgkmcnt(2)
	v_cmp_lt_f32_e64 s3, v28, v29
	v_cmpx_nlt_f32_e32 v28, v29
	s_cbranch_execz .LBB345_16
; %bb.15:                               ;   in Loop: Header=BB345_10 Depth=1
	v_cmp_eq_f32_e64 s0, v28, v29
	s_waitcnt lgkmcnt(0)
	v_cmp_lt_i32_e64 s1, v30, v26
	s_delay_alu instid0(VALU_DEP_1) | instskip(SKIP_2) | instid1(SALU_CYCLE_1)
	s_and_b32 s0, s0, s1
	s_and_not1_b32 s1, s3, exec_lo
	s_and_b32 s0, s0, exec_lo
	s_or_b32 s3, s1, s0
.LBB345_16:                             ;   in Loop: Header=BB345_10 Depth=1
	s_or_b32 exec_lo, exec_lo, s4
	s_delay_alu instid0(VALU_DEP_2)
	s_and_saveexec_b32 s0, s3
	s_cbranch_execz .LBB345_18
; %bb.17:                               ;   in Loop: Header=BB345_10 Depth=1
	s_waitcnt lgkmcnt(1)
	v_dual_mov_b32 v27, v31 :: v_dual_mov_b32 v28, v29
	s_waitcnt lgkmcnt(0)
	v_mov_b32_e32 v26, v30
.LBB345_18:                             ;   in Loop: Header=BB345_10 Depth=1
	s_or_b32 exec_lo, exec_lo, s0
	ds_bpermute_b32 v29, v23, v28
	s_waitcnt lgkmcnt(2)
	ds_bpermute_b32 v31, v23, v27
	s_waitcnt lgkmcnt(2)
	ds_bpermute_b32 v30, v23, v26
	s_mov_b32 s4, exec_lo
	s_waitcnt lgkmcnt(2)
	v_cmp_lt_f32_e64 s3, v28, v29
	v_cmpx_nlt_f32_e32 v28, v29
	s_cbranch_execz .LBB345_20
; %bb.19:                               ;   in Loop: Header=BB345_10 Depth=1
	v_cmp_eq_f32_e64 s0, v28, v29
	s_waitcnt lgkmcnt(0)
	v_cmp_lt_i32_e64 s1, v30, v26
	s_delay_alu instid0(VALU_DEP_1) | instskip(SKIP_2) | instid1(SALU_CYCLE_1)
	s_and_b32 s0, s0, s1
	s_and_not1_b32 s1, s3, exec_lo
	s_and_b32 s0, s0, exec_lo
	s_or_b32 s3, s1, s0
.LBB345_20:                             ;   in Loop: Header=BB345_10 Depth=1
	s_or_b32 exec_lo, exec_lo, s4
	s_delay_alu instid0(VALU_DEP_2)
	s_and_saveexec_b32 s0, s3
	s_cbranch_execz .LBB345_22
; %bb.21:                               ;   in Loop: Header=BB345_10 Depth=1
	s_waitcnt lgkmcnt(1)
	v_dual_mov_b32 v27, v31 :: v_dual_mov_b32 v28, v29
	s_waitcnt lgkmcnt(0)
	v_mov_b32_e32 v26, v30
.LBB345_22:                             ;   in Loop: Header=BB345_10 Depth=1
	s_or_b32 exec_lo, exec_lo, s0
	s_waitcnt lgkmcnt(1)
	ds_bpermute_b32 v31, v24, v28
	ds_bpermute_b32 v29, v24, v27
	s_waitcnt lgkmcnt(2)
	ds_bpermute_b32 v30, v24, v26
	s_mov_b32 s4, exec_lo
	s_waitcnt lgkmcnt(2)
	v_cmp_lt_f32_e64 s3, v28, v31
	v_cmpx_nlt_f32_e32 v28, v31
	s_cbranch_execnz .LBB345_26
; %bb.23:                               ;   in Loop: Header=BB345_10 Depth=1
	s_or_b32 exec_lo, exec_lo, s4
	s_delay_alu instid0(VALU_DEP_2)
	s_and_saveexec_b32 s0, s3
	s_cbranch_execnz .LBB345_27
.LBB345_24:                             ;   in Loop: Header=BB345_10 Depth=1
	s_or_b32 exec_lo, exec_lo, s0
	s_and_saveexec_b32 s3, s2
	s_cbranch_execnz .LBB345_28
.LBB345_25:                             ;   in Loop: Header=BB345_10 Depth=1
	s_or_b32 exec_lo, exec_lo, s3
	s_add_i32 s6, s6, 1
	s_delay_alu instid0(SALU_CYCLE_1)
	s_cmp_ge_i32 s6, s8
	s_cbranch_scc1 .LBB345_9
	s_branch .LBB345_29
.LBB345_26:                             ;   in Loop: Header=BB345_10 Depth=1
	v_cmp_eq_f32_e64 s0, v28, v31
	s_waitcnt lgkmcnt(0)
	v_cmp_lt_i32_e64 s1, v30, v26
	s_delay_alu instid0(VALU_DEP_1) | instskip(SKIP_2) | instid1(SALU_CYCLE_1)
	s_and_b32 s0, s0, s1
	s_and_not1_b32 s1, s3, exec_lo
	s_and_b32 s0, s0, exec_lo
	s_or_b32 s3, s1, s0
	s_or_b32 exec_lo, exec_lo, s4
	s_and_saveexec_b32 s0, s3
	s_cbranch_execz .LBB345_24
.LBB345_27:                             ;   in Loop: Header=BB345_10 Depth=1
	s_waitcnt lgkmcnt(0)
	v_dual_mov_b32 v26, v30 :: v_dual_mov_b32 v27, v29
	s_or_b32 exec_lo, exec_lo, s0
	s_and_saveexec_b32 s3, s2
	s_cbranch_execz .LBB345_25
.LBB345_28:                             ;   in Loop: Header=BB345_10 Depth=1
	s_delay_alu instid0(VALU_DEP_1)
	v_dual_add_f32 v35, v19, v27 :: v_dual_add_nc_u32 v28, s6, v20
	v_cmp_le_i32_e64 s0, s9, v26
	v_cmp_gt_i32_e64 s1, s10, v26
	s_waitcnt lgkmcnt(0)
	v_subrev_nc_u32_e32 v30, s9, v26
	v_ashrrev_i32_e32 v29, 31, v28
	v_cndmask_b32_e32 v19, v19, v35, vcc_lo
	s_and_b32 s0, s0, s1
	s_delay_alu instid0(SALU_CYCLE_1) | instskip(NEXT) | instid1(VALU_DEP_2)
	s_and_b32 s0, s19, s0
	v_lshlrev_b64 v[28:29], 2, v[28:29]
	v_cndmask_b32_e64 v34, 0x80, v30, s0
	s_delay_alu instid0(VALU_DEP_2) | instskip(NEXT) | instid1(VALU_DEP_1)
	v_add_co_u32 v30, s0, s16, v28
	v_add_co_ci_u32_e64 v31, s0, s17, v29, s0
	v_add_co_u32 v32, s0, s12, v28
	s_delay_alu instid0(VALU_DEP_1) | instskip(SKIP_1) | instid1(VALU_DEP_1)
	v_add_co_ci_u32_e64 v33, s0, s13, v29, s0
	v_add_co_u32 v28, s0, s14, v28
	v_add_co_ci_u32_e64 v29, s0, s15, v29, s0
	global_store_b32 v[30:31], v27, off
	global_store_b32 v[32:33], v34, off
	;; [unrolled: 1-line block ×3, first 2 shown]
	s_or_b32 exec_lo, exec_lo, s3
	s_add_i32 s6, s6, 1
	s_delay_alu instid0(SALU_CYCLE_1)
	s_cmp_ge_i32 s6, s8
	s_cbranch_scc1 .LBB345_9
.LBB345_29:                             ;   in Loop: Header=BB345_10 Depth=1
	v_ashrrev_i32_e32 v28, 31, v26
	s_mov_b32 s1, exec_lo
	s_delay_alu instid0(VALU_DEP_1) | instskip(NEXT) | instid1(VALU_DEP_1)
	v_lshrrev_b32_e32 v27, 29, v28
	v_add_nc_u32_e32 v27, v26, v27
	s_delay_alu instid0(VALU_DEP_1) | instskip(SKIP_1) | instid1(VALU_DEP_1)
	v_ashrrev_i32_e32 v27, 3, v27
	s_waitcnt lgkmcnt(1)
	v_lshrrev_b32_e32 v29, 28, v27
	s_delay_alu instid0(VALU_DEP_1) | instskip(NEXT) | instid1(VALU_DEP_1)
	v_add_nc_u32_e32 v29, v27, v29
	v_and_b32_e32 v29, -16, v29
	s_delay_alu instid0(VALU_DEP_1) | instskip(NEXT) | instid1(VALU_DEP_1)
	v_sub_nc_u32_e32 v29, v27, v29
	v_cmpx_eq_u32_e64 v17, v29
	s_cbranch_execz .LBB345_8
; %bb.30:                               ;   in Loop: Header=BB345_10 Depth=1
	v_lshrrev_b32_e32 v28, 25, v28
	v_lshlrev_b32_e32 v27, 3, v27
	s_delay_alu instid0(VALU_DEP_2) | instskip(NEXT) | instid1(VALU_DEP_2)
	v_add_nc_u32_e32 v28, v26, v28
	v_sub_nc_u32_e32 v26, v26, v27
	s_delay_alu instid0(VALU_DEP_2) | instskip(NEXT) | instid1(VALU_DEP_1)
	v_ashrrev_i32_e32 v27, 7, v28
	v_lshl_add_u32 v26, v27, 3, v26
	s_delay_alu instid0(VALU_DEP_1) | instskip(NEXT) | instid1(VALU_DEP_1)
	v_cmp_ne_u32_e64 s0, 7, v26
	v_cndmask_b32_e64 v15, 0xc61c4000, v15, s0
	v_cmp_ne_u32_e64 s0, 6, v26
	s_delay_alu instid0(VALU_DEP_1) | instskip(SKIP_1) | instid1(VALU_DEP_1)
	v_cndmask_b32_e64 v14, 0xc61c4000, v14, s0
	v_cmp_ne_u32_e64 s0, 5, v26
	v_cndmask_b32_e64 v13, 0xc61c4000, v13, s0
	v_cmp_ne_u32_e64 s0, 4, v26
	s_delay_alu instid0(VALU_DEP_1) | instskip(SKIP_1) | instid1(VALU_DEP_1)
	v_cndmask_b32_e64 v12, 0xc61c4000, v12, s0
	;; [unrolled: 5-line block ×3, first 2 shown]
	v_cmp_ne_u32_e64 s0, 1, v26
	v_cndmask_b32_e64 v9, 0xc61c4000, v9, s0
	v_cmp_ne_u32_e64 s0, 0, v26
	s_delay_alu instid0(VALU_DEP_1)
	v_cndmask_b32_e64 v8, 0xc61c4000, v8, s0
	s_branch .LBB345_8
.LBB345_31:
                                        ; implicit-def: $vgpr8_vgpr9_vgpr10_vgpr11_vgpr12_vgpr13_vgpr14_vgpr15
	s_and_not1_b32 vcc_lo, exec_lo, s9
	s_cbranch_vccz .LBB345_5
	s_branch .LBB345_6
.LBB345_32:
	v_mov_b32_e32 v19, 0
.LBB345_33:
	v_cmp_eq_u32_e64 s0, 0, v17
	s_delay_alu instid0(VALU_DEP_1) | instskip(NEXT) | instid1(SALU_CYCLE_1)
	s_and_b32 s0, s0, vcc_lo
	s_and_b32 exec_lo, exec_lo, s0
	s_cbranch_execz .LBB345_37
; %bb.34:
	s_and_not1_b32 vcc_lo, exec_lo, s5
	s_cbranch_vccnz .LBB345_37
; %bb.35:
	v_mul_lo_u32 v0, v16, s8
	v_cmp_lt_f32_e32 vcc_lo, 0, v19
	v_cndmask_b32_e32 v2, 1.0, v19, vcc_lo
	s_delay_alu instid0(VALU_DEP_3) | instskip(NEXT) | instid1(VALU_DEP_1)
	v_ashrrev_i32_e32 v1, 31, v0
	v_lshlrev_b64 v[0:1], 2, v[0:1]
	s_delay_alu instid0(VALU_DEP_1) | instskip(NEXT) | instid1(VALU_DEP_2)
	v_add_co_u32 v0, vcc_lo, s16, v0
	v_add_co_ci_u32_e32 v1, vcc_lo, s17, v1, vcc_lo
	.p2align	6
.LBB345_36:                             ; =>This Inner Loop Header: Depth=1
	global_load_b32 v3, v[0:1], off
	s_add_i32 s8, s8, -1
	s_delay_alu instid0(SALU_CYCLE_1) | instskip(SKIP_3) | instid1(VALU_DEP_2)
	s_cmp_lg_u32 s8, 0
	s_waitcnt vmcnt(0)
	v_div_scale_f32 v4, null, v2, v2, v3
	v_div_scale_f32 v7, vcc_lo, v3, v2, v3
	v_rcp_f32_e32 v5, v4
	s_waitcnt_depctr 0xfff
	v_fma_f32 v6, -v4, v5, 1.0
	s_delay_alu instid0(VALU_DEP_1) | instskip(NEXT) | instid1(VALU_DEP_1)
	v_fmac_f32_e32 v5, v6, v5
	v_mul_f32_e32 v6, v7, v5
	s_delay_alu instid0(VALU_DEP_1) | instskip(NEXT) | instid1(VALU_DEP_1)
	v_fma_f32 v8, -v4, v6, v7
	v_fmac_f32_e32 v6, v8, v5
	s_delay_alu instid0(VALU_DEP_1) | instskip(NEXT) | instid1(VALU_DEP_1)
	v_fma_f32 v4, -v4, v6, v7
	v_div_fmas_f32 v4, v4, v5, v6
	s_delay_alu instid0(VALU_DEP_1)
	v_div_fixup_f32 v3, v4, v2, v3
	global_store_b32 v[0:1], v3, off
	v_add_co_u32 v0, vcc_lo, v0, 4
	v_add_co_ci_u32_e32 v1, vcc_lo, 0, v1, vcc_lo
	s_cbranch_scc1 .LBB345_36
.LBB345_37:
	s_nop 0
	s_sendmsg sendmsg(MSG_DEALLOC_VGPRS)
	s_endpgm
	.section	.rodata,"a",@progbits
	.p2align	6, 0x0
	.amdhsa_kernel _ZN4vllm3moe10topkGatingILi8ELi128ELi4ELi16ELi64Ej14__hip_bfloat16LNS0_11ScoringFuncE1EEEvPKT5_PKbPfiPT4_PiiiibPKf
		.amdhsa_group_segment_fixed_size 0
		.amdhsa_private_segment_fixed_size 0
		.amdhsa_kernarg_size 72
		.amdhsa_user_sgpr_count 15
		.amdhsa_user_sgpr_dispatch_ptr 0
		.amdhsa_user_sgpr_queue_ptr 0
		.amdhsa_user_sgpr_kernarg_segment_ptr 1
		.amdhsa_user_sgpr_dispatch_id 0
		.amdhsa_user_sgpr_private_segment_size 0
		.amdhsa_wavefront_size32 1
		.amdhsa_uses_dynamic_stack 0
		.amdhsa_enable_private_segment 0
		.amdhsa_system_sgpr_workgroup_id_x 1
		.amdhsa_system_sgpr_workgroup_id_y 0
		.amdhsa_system_sgpr_workgroup_id_z 0
		.amdhsa_system_sgpr_workgroup_info 0
		.amdhsa_system_vgpr_workitem_id 1
		.amdhsa_next_free_vgpr 51
		.amdhsa_next_free_sgpr 20
		.amdhsa_reserve_vcc 1
		.amdhsa_float_round_mode_32 0
		.amdhsa_float_round_mode_16_64 0
		.amdhsa_float_denorm_mode_32 3
		.amdhsa_float_denorm_mode_16_64 3
		.amdhsa_dx10_clamp 1
		.amdhsa_ieee_mode 1
		.amdhsa_fp16_overflow 0
		.amdhsa_workgroup_processor_mode 1
		.amdhsa_memory_ordered 1
		.amdhsa_forward_progress 0
		.amdhsa_shared_vgpr_count 0
		.amdhsa_exception_fp_ieee_invalid_op 0
		.amdhsa_exception_fp_denorm_src 0
		.amdhsa_exception_fp_ieee_div_zero 0
		.amdhsa_exception_fp_ieee_overflow 0
		.amdhsa_exception_fp_ieee_underflow 0
		.amdhsa_exception_fp_ieee_inexact 0
		.amdhsa_exception_int_div_zero 0
	.end_amdhsa_kernel
	.section	.text._ZN4vllm3moe10topkGatingILi8ELi128ELi4ELi16ELi64Ej14__hip_bfloat16LNS0_11ScoringFuncE1EEEvPKT5_PKbPfiPT4_PiiiibPKf,"axG",@progbits,_ZN4vllm3moe10topkGatingILi8ELi128ELi4ELi16ELi64Ej14__hip_bfloat16LNS0_11ScoringFuncE1EEEvPKT5_PKbPfiPT4_PiiiibPKf,comdat
.Lfunc_end345:
	.size	_ZN4vllm3moe10topkGatingILi8ELi128ELi4ELi16ELi64Ej14__hip_bfloat16LNS0_11ScoringFuncE1EEEvPKT5_PKbPfiPT4_PiiiibPKf, .Lfunc_end345-_ZN4vllm3moe10topkGatingILi8ELi128ELi4ELi16ELi64Ej14__hip_bfloat16LNS0_11ScoringFuncE1EEEvPKT5_PKbPfiPT4_PiiiibPKf
                                        ; -- End function
	.section	.AMDGPU.csdata,"",@progbits
; Kernel info:
; codeLenInByte = 3100
; NumSgprs: 22
; NumVgprs: 51
; ScratchSize: 0
; MemoryBound: 0
; FloatMode: 240
; IeeeMode: 1
; LDSByteSize: 0 bytes/workgroup (compile time only)
; SGPRBlocks: 2
; VGPRBlocks: 6
; NumSGPRsForWavesPerEU: 22
; NumVGPRsForWavesPerEU: 51
; Occupancy: 16
; WaveLimiterHint : 0
; COMPUTE_PGM_RSRC2:SCRATCH_EN: 0
; COMPUTE_PGM_RSRC2:USER_SGPR: 15
; COMPUTE_PGM_RSRC2:TRAP_HANDLER: 0
; COMPUTE_PGM_RSRC2:TGID_X_EN: 1
; COMPUTE_PGM_RSRC2:TGID_Y_EN: 0
; COMPUTE_PGM_RSRC2:TGID_Z_EN: 0
; COMPUTE_PGM_RSRC2:TIDIG_COMP_CNT: 1
	.section	.text._ZN4vllm3moe10topkGatingILi8ELi128ELi4ELi16ELi32Ej14__hip_bfloat16LNS0_11ScoringFuncE1EEEvPKT5_PKbPfiPT4_PiiiibPKf,"axG",@progbits,_ZN4vllm3moe10topkGatingILi8ELi128ELi4ELi16ELi32Ej14__hip_bfloat16LNS0_11ScoringFuncE1EEEvPKT5_PKbPfiPT4_PiiiibPKf,comdat
	.protected	_ZN4vllm3moe10topkGatingILi8ELi128ELi4ELi16ELi32Ej14__hip_bfloat16LNS0_11ScoringFuncE1EEEvPKT5_PKbPfiPT4_PiiiibPKf ; -- Begin function _ZN4vllm3moe10topkGatingILi8ELi128ELi4ELi16ELi32Ej14__hip_bfloat16LNS0_11ScoringFuncE1EEEvPKT5_PKbPfiPT4_PiiiibPKf
	.globl	_ZN4vllm3moe10topkGatingILi8ELi128ELi4ELi16ELi32Ej14__hip_bfloat16LNS0_11ScoringFuncE1EEEvPKT5_PKbPfiPT4_PiiiibPKf
	.p2align	8
	.type	_ZN4vllm3moe10topkGatingILi8ELi128ELi4ELi16ELi32Ej14__hip_bfloat16LNS0_11ScoringFuncE1EEEvPKT5_PKbPfiPT4_PiiiibPKf,@function
_ZN4vllm3moe10topkGatingILi8ELi128ELi4ELi16ELi32Ej14__hip_bfloat16LNS0_11ScoringFuncE1EEEvPKT5_PKbPfiPT4_PiiiibPKf: ; @_ZN4vllm3moe10topkGatingILi8ELi128ELi4ELi16ELi32Ej14__hip_bfloat16LNS0_11ScoringFuncE1EEEvPKT5_PKbPfiPT4_PiiiibPKf
; %bb.0:
	s_load_b32 s18, s[0:1], 0x18
	v_bfe_u32 v1, v0, 10, 10
	v_and_b32_e32 v0, 0x3ff, v0
	s_lshl_b32 s2, s15, 3
	s_delay_alu instid0(VALU_DEP_2) | instskip(NEXT) | instid1(VALU_DEP_2)
	v_lshlrev_b32_e32 v1, 1, v1
	v_lshrrev_b32_e32 v2, 4, v0
	s_delay_alu instid0(VALU_DEP_1) | instskip(SKIP_2) | instid1(VALU_DEP_1)
	v_add3_u32 v16, s2, v1, v2
	s_mov_b32 s2, exec_lo
	s_waitcnt lgkmcnt(0)
	v_cmpx_gt_i32_e64 s18, v16
	s_cbranch_execz .LBB346_37
; %bb.1:
	s_clause 0x1
	s_load_b128 s[4:7], s[0:1], 0x0
	s_load_b64 s[16:17], s[0:1], 0x10
	s_mov_b32 s9, -1
	s_mov_b32 s19, -1
	s_waitcnt lgkmcnt(0)
	s_cmp_eq_u64 s[6:7], 0
	s_cbranch_scc1 .LBB346_3
; %bb.2:
	v_ashrrev_i32_e32 v2, 31, v16
	v_add_co_u32 v1, vcc_lo, s6, v16
	s_delay_alu instid0(VALU_DEP_2) | instskip(SKIP_3) | instid1(VALU_DEP_1)
	v_add_co_ci_u32_e32 v2, vcc_lo, s7, v2, vcc_lo
	global_load_u8 v1, v[1:2], off
	s_waitcnt vmcnt(0)
	v_and_b32_e32 v1, 1, v1
	v_cmp_eq_u32_e32 vcc_lo, 1, v1
	s_xor_b32 s2, vcc_lo, -1
	s_delay_alu instid0(SALU_CYCLE_1)
	s_or_not1_b32 s19, s2, exec_lo
.LBB346_3:
	v_lshlrev_b32_e32 v1, 7, v16
	v_and_b32_e32 v17, 15, v0
	s_load_b64 s[10:11], s[0:1], 0x40
	s_delay_alu instid0(VALU_DEP_2) | instskip(NEXT) | instid1(VALU_DEP_1)
	v_ashrrev_i32_e32 v2, 31, v1
	v_lshlrev_b64 v[0:1], 1, v[1:2]
	s_delay_alu instid0(VALU_DEP_3) | instskip(NEXT) | instid1(VALU_DEP_2)
	v_lshlrev_b32_e32 v2, 4, v17
	v_add_co_u32 v0, vcc_lo, s4, v0
	s_delay_alu instid0(VALU_DEP_3) | instskip(NEXT) | instid1(VALU_DEP_2)
	v_add_co_ci_u32_e32 v1, vcc_lo, s5, v1, vcc_lo
	v_add_co_u32 v0, vcc_lo, v0, v2
	s_delay_alu instid0(VALU_DEP_2)
	v_add_co_ci_u32_e32 v1, vcc_lo, 0, v1, vcc_lo
	s_waitcnt lgkmcnt(0)
	s_cmp_eq_u64 s[10:11], 0
	global_load_b128 v[0:3], v[0:1], off
	s_waitcnt vmcnt(0)
	v_lshlrev_b32_e32 v5, 16, v1
	s_delay_alu instid0(VALU_DEP_1) | instskip(NEXT) | instid1(VALU_DEP_1)
	v_dual_mul_f32 v5, 0xbfb8aa3b, v5 :: v_dual_lshlrev_b32 v4, 16, v0
	v_mul_f32_e32 v4, 0xbfb8aa3b, v4
	s_delay_alu instid0(VALU_DEP_2) | instskip(NEXT) | instid1(VALU_DEP_1)
	v_exp_f32_e32 v5, v5
	v_exp_f32_e32 v4, v4
	v_and_b32_e32 v1, 0xffff0000, v1
	s_waitcnt_depctr 0xfff
	v_dual_add_f32 v5, 1.0, v5 :: v_dual_and_b32 v0, 0xffff0000, v0
	v_add_f32_e32 v4, 1.0, v4
	v_dual_mul_f32 v1, 0xbfb8aa3b, v1 :: v_dual_lshlrev_b32 v6, 16, v2
	s_delay_alu instid0(VALU_DEP_3) | instskip(NEXT) | instid1(VALU_DEP_4)
	v_dual_mul_f32 v0, 0xbfb8aa3b, v0 :: v_dual_lshlrev_b32 v7, 16, v3
	v_div_scale_f32 v12, null, v5, v5, 1.0
	s_delay_alu instid0(VALU_DEP_3) | instskip(SKIP_1) | instid1(VALU_DEP_3)
	v_exp_f32_e32 v1, v1
	v_and_b32_e32 v2, 0xffff0000, v2
	v_exp_f32_e32 v0, v0
	v_and_b32_e32 v3, 0xffff0000, v3
	v_dual_mul_f32 v6, 0xbfb8aa3b, v6 :: v_dual_mul_f32 v7, 0xbfb8aa3b, v7
	v_rcp_f32_e32 v28, v12
	v_div_scale_f32 v13, s3, 1.0, v5, 1.0
	s_delay_alu instid0(VALU_DEP_2) | instskip(SKIP_1) | instid1(TRANS32_DEP_3)
	v_exp_f32_e32 v6, v6
	v_dual_add_f32 v1, 1.0, v1 :: v_dual_mul_f32 v2, 0xbfb8aa3b, v2
	v_dual_add_f32 v0, 1.0, v0 :: v_dual_mul_f32 v3, 0xbfb8aa3b, v3
	v_lshlrev_b32_e32 v18, 3, v17
	v_exp_f32_e32 v7, v7
	s_delay_alu instid0(VALU_DEP_3) | instskip(NEXT) | instid1(VALU_DEP_2)
	v_exp_f32_e32 v2, v2
	v_div_scale_f32 v10, null, v0, v0, 1.0
	v_exp_f32_e32 v3, v3
	v_add_f32_e32 v6, 1.0, v6
	v_div_scale_f32 v14, null, v1, v1, 1.0
	s_delay_alu instid0(VALU_DEP_3) | instskip(SKIP_1) | instid1(TRANS32_DEP_3)
	v_rcp_f32_e32 v27, v10
	v_fma_f32 v37, -v12, v28, 1.0
	v_dual_add_f32 v7, 1.0, v7 :: v_dual_add_f32 v8, 1.0, v2
	v_div_scale_f32 v2, null, v4, v4, 1.0
	s_delay_alu instid0(TRANS32_DEP_2) | instskip(SKIP_1) | instid1(VALU_DEP_4)
	v_add_f32_e32 v9, 1.0, v3
	v_div_scale_f32 v19, null, v6, v6, 1.0
	v_div_scale_f32 v21, null, v8, v8, 1.0
	s_delay_alu instid0(VALU_DEP_4) | instskip(NEXT) | instid1(VALU_DEP_2)
	v_rcp_f32_e32 v26, v2
	v_rcp_f32_e32 v30, v19
	v_rcp_f32_e32 v29, v14
	s_delay_alu instid0(VALU_DEP_1)
	v_rcp_f32_e32 v31, v21
	v_div_scale_f32 v23, null, v7, v7, 1.0
	v_fma_f32 v36, -v10, v27, 1.0
	v_div_scale_f32 v3, vcc_lo, 1.0, v4, 1.0
	v_div_scale_f32 v11, s2, 1.0, v0, 1.0
	v_fma_f32 v35, -v2, v26, 1.0
	s_delay_alu instid0(TRANS32_DEP_3) | instskip(NEXT) | instid1(TRANS32_DEP_1)
	v_fma_f32 v39, -v19, v30, 1.0
	v_fma_f32 v40, -v21, v31, 1.0
	s_delay_alu instid0(TRANS32_DEP_2) | instskip(SKIP_3) | instid1(VALU_DEP_3)
	v_fma_f32 v38, -v14, v29, 1.0
	v_div_scale_f32 v25, null, v9, v9, 1.0
	v_dual_fmac_f32 v26, v35, v26 :: v_dual_fmac_f32 v27, v36, v27
	v_rcp_f32_e32 v32, v23
	v_dual_fmac_f32 v28, v37, v28 :: v_dual_fmac_f32 v29, v38, v29
	v_div_scale_f32 v22, s6, 1.0, v8, 1.0
	v_dual_fmac_f32 v30, v39, v30 :: v_dual_fmac_f32 v31, v40, v31
	v_mul_f32_e32 v35, v3, v26
	v_div_scale_f32 v15, s4, 1.0, v1, 1.0
	v_rcp_f32_e32 v33, v25
	s_delay_alu instid0(VALU_DEP_3)
	v_mul_f32_e32 v40, v22, v31
	v_dual_mul_f32 v36, v11, v27 :: v_dual_mul_f32 v37, v13, v28
	v_div_scale_f32 v20, s5, 1.0, v6, 1.0
	v_fma_f32 v43, -v2, v35, v3
	v_mul_f32_e32 v38, v15, v29
	v_fma_f32 v41, -v23, v32, 1.0
	s_delay_alu instid0(VALU_DEP_4)
	v_mul_f32_e32 v39, v20, v30
	v_fma_f32 v44, -v10, v36, v11
	v_fma_f32 v45, -v12, v37, v13
	v_fmac_f32_e32 v35, v43, v26
	v_fma_f32 v46, -v14, v38, v15
	v_div_scale_f32 v24, s7, 1.0, v7, 1.0
	v_fmac_f32_e32 v36, v44, v27
	v_fma_f32 v42, -v25, v33, 1.0
	v_fmac_f32_e32 v32, v41, v32
	v_fma_f32 v47, -v19, v39, v20
	v_dual_fmac_f32 v37, v45, v28 :: v_dual_fmac_f32 v38, v46, v29
	v_fma_f32 v48, -v21, v40, v22
	v_fma_f32 v2, -v2, v35, v3
	v_div_scale_f32 v34, s8, 1.0, v9, 1.0
	v_fmac_f32_e32 v33, v42, v33
	v_mul_f32_e32 v41, v24, v32
	v_fma_f32 v3, -v10, v36, v11
	v_dual_fmac_f32 v39, v47, v30 :: v_dual_fmac_f32 v40, v48, v31
	v_fma_f32 v10, -v12, v37, v13
	v_div_fmas_f32 v2, v2, v26, v35
	s_mov_b32 vcc_lo, s2
	v_fma_f32 v11, -v14, v38, v15
	v_mul_f32_e32 v42, v34, v33
	v_fma_f32 v49, -v23, v41, v24
	v_div_fmas_f32 v3, v3, v27, v36
	s_mov_b32 vcc_lo, s3
	v_fma_f32 v12, -v19, v39, v20
	v_div_fmas_f32 v10, v10, v28, v37
	s_mov_b32 vcc_lo, s4
	v_fma_f32 v13, -v21, v40, v22
	v_div_fixup_f32 v2, v2, v4, 1.0
	v_div_fmas_f32 v4, v11, v29, v38
	s_mov_b32 vcc_lo, s5
	v_fma_f32 v50, -v25, v42, v34
	v_fmac_f32_e32 v41, v49, v32
	v_div_fmas_f32 v11, v12, v30, v39
	s_mov_b32 vcc_lo, s6
	v_div_fixup_f32 v5, v10, v5, 1.0
	v_fmac_f32_e32 v42, v50, v33
	v_div_fmas_f32 v10, v13, v31, v40
	v_cmp_class_f32_e64 vcc_lo, v2, 0x1f8
	v_fma_f32 v14, -v23, v41, v24
	v_div_fixup_f32 v3, v3, v0, 1.0
	v_fma_f32 v15, -v25, v42, v34
	v_div_fixup_f32 v4, v4, v1, 1.0
	v_cndmask_b32_e32 v0, 0, v2, vcc_lo
	s_mov_b32 vcc_lo, s7
	v_div_fixup_f32 v6, v11, v6, 1.0
	v_div_fmas_f32 v12, v14, v32, v41
	v_cmp_class_f32_e64 vcc_lo, v3, 0x1f8
	s_delay_alu instid0(VALU_DEP_2)
	v_div_fixup_f32 v7, v12, v7, 1.0
	v_cndmask_b32_e32 v1, 0, v3, vcc_lo
	s_mov_b32 vcc_lo, s8
	v_div_fmas_f32 v11, v15, v33, v42
	v_cmp_class_f32_e64 vcc_lo, v5, 0x1f8
	v_cndmask_b32_e32 v2, 0, v5, vcc_lo
	v_cmp_class_f32_e64 vcc_lo, v4, 0x1f8
	v_div_fixup_f32 v5, v10, v8, 1.0
	v_div_fixup_f32 v8, v11, v9, 1.0
	v_cndmask_b32_e32 v3, 0, v4, vcc_lo
	v_cmp_class_f32_e64 vcc_lo, v6, 0x1f8
	v_cndmask_b32_e32 v4, 0, v6, vcc_lo
	v_cmp_class_f32_e64 vcc_lo, v5, 0x1f8
	;; [unrolled: 2-line block ×4, first 2 shown]
	v_cndmask_b32_e32 v7, 0, v8, vcc_lo
	s_cbranch_scc1 .LBB346_31
; %bb.4:
	v_lshlrev_b32_e32 v12, 2, v18
	s_clause 0x1
	global_load_b128 v[8:11], v12, s[10:11]
	global_load_b128 v[12:15], v12, s[10:11] offset:16
	s_waitcnt vmcnt(1)
	v_dual_add_f32 v9, v9, v1 :: v_dual_add_f32 v8, v8, v0
	v_dual_add_f32 v11, v11, v3 :: v_dual_add_f32 v10, v10, v2
	s_waitcnt vmcnt(0)
	v_dual_add_f32 v13, v13, v5 :: v_dual_add_f32 v12, v12, v4
	v_dual_add_f32 v15, v15, v7 :: v_dual_add_f32 v14, v14, v6
	s_cbranch_execnz .LBB346_6
.LBB346_5:
	v_dual_mov_b32 v15, v7 :: v_dual_mov_b32 v14, v6
	v_dual_mov_b32 v13, v5 :: v_dual_mov_b32 v12, v4
	;; [unrolled: 1-line block ×4, first 2 shown]
.LBB346_6:
	s_load_b128 s[8:11], s[0:1], 0x30
	v_cmp_eq_u32_e64 s2, 0, v17
	s_mov_b32 s6, 0
	s_waitcnt lgkmcnt(0)
	s_bitcmp1_b32 s11, 0
	s_cselect_b32 vcc_lo, -1, 0
	s_cmp_gt_i32 s8, 0
	s_cselect_b32 s5, -1, 0
	s_cmp_lt_i32 s8, 1
	s_cbranch_scc1 .LBB346_32
; %bb.7:
	v_mbcnt_lo_u32_b32 v19, -1, 0
	s_load_b128 s[12:15], s[0:1], 0x20
	s_delay_alu instid0(VALU_DEP_1)
	v_dual_mov_b32 v25, v16 :: v_dual_and_b32 v20, 16, v19
	v_xor_b32_e32 v21, 8, v19
	v_xor_b32_e32 v22, 4, v19
	;; [unrolled: 1-line block ×4, first 2 shown]
	v_add_nc_u32_e32 v20, 16, v20
	s_delay_alu instid0(VALU_DEP_1) | instskip(NEXT) | instid1(VALU_DEP_1)
	v_cmp_lt_i32_e64 s0, v21, v20
	v_cndmask_b32_e64 v21, v19, v21, s0
	v_cmp_lt_i32_e64 s0, v22, v20
	s_delay_alu instid0(VALU_DEP_2) | instskip(NEXT) | instid1(VALU_DEP_2)
	v_lshlrev_b32_e32 v21, 2, v21
	v_cndmask_b32_e64 v22, v19, v22, s0
	v_cmp_lt_i32_e64 s0, v23, v20
	s_delay_alu instid0(VALU_DEP_2) | instskip(NEXT) | instid1(VALU_DEP_2)
	v_lshlrev_b32_e32 v22, 2, v22
	v_cndmask_b32_e64 v23, v19, v23, s0
	v_cmp_lt_i32_e64 s0, v24, v20
	v_mul_lo_u32 v20, v16, s8
	s_delay_alu instid0(VALU_DEP_3) | instskip(NEXT) | instid1(VALU_DEP_3)
	v_lshlrev_b32_e32 v23, 2, v23
	v_cndmask_b32_e64 v19, v19, v24, s0
	s_delay_alu instid0(VALU_DEP_1)
	v_dual_mov_b32 v19, 0 :: v_dual_lshlrev_b32 v24, 2, v19
	s_branch .LBB346_10
.LBB346_8:                              ;   in Loop: Header=BB346_10 Depth=1
	s_or_b32 exec_lo, exec_lo, s1
.LBB346_9:                              ;   in Loop: Header=BB346_10 Depth=1
	v_add_nc_u32_e32 v25, s18, v25
	s_cmp_eq_u32 s8, s6
	s_cbranch_scc1 .LBB346_33
.LBB346_10:                             ; =>This Inner Loop Header: Depth=1
	v_cmp_gt_f32_e64 s0, v9, v8
	s_delay_alu instid0(VALU_DEP_1) | instskip(SKIP_2) | instid1(VALU_DEP_3)
	v_cndmask_b32_e64 v27, v8, v9, s0
	v_cndmask_b32_e64 v26, 0, 1, s0
	;; [unrolled: 1-line block ×3, first 2 shown]
	v_cmp_gt_f32_e64 s1, v10, v27
	s_delay_alu instid0(VALU_DEP_1) | instskip(NEXT) | instid1(VALU_DEP_4)
	v_cndmask_b32_e64 v27, v27, v10, s1
	v_cndmask_b32_e64 v26, v26, 2, s1
	s_delay_alu instid0(VALU_DEP_4) | instskip(NEXT) | instid1(VALU_DEP_3)
	v_cndmask_b32_e64 v28, v28, v2, s1
	v_cmp_gt_f32_e64 s3, v11, v27
	s_delay_alu instid0(VALU_DEP_1) | instskip(NEXT) | instid1(VALU_DEP_4)
	v_cndmask_b32_e64 v27, v27, v11, s3
	v_cndmask_b32_e64 v26, v26, 3, s3
	s_delay_alu instid0(VALU_DEP_4) | instskip(NEXT) | instid1(VALU_DEP_3)
	v_cndmask_b32_e64 v28, v28, v3, s3
	v_cmp_gt_f32_e64 s4, v12, v27
	s_delay_alu instid0(VALU_DEP_1) | instskip(NEXT) | instid1(VALU_DEP_4)
	v_cndmask_b32_e64 v27, v27, v12, s4
	v_cndmask_b32_e64 v26, v26, 4, s4
	s_delay_alu instid0(VALU_DEP_4) | instskip(SKIP_1) | instid1(VALU_DEP_3)
	v_cndmask_b32_e64 v28, v28, v4, s4
	s_mov_b32 s4, exec_lo
	v_cmp_gt_f32_e64 s0, v13, v27
	s_delay_alu instid0(VALU_DEP_1) | instskip(SKIP_2) | instid1(VALU_DEP_3)
	v_cndmask_b32_e64 v27, v27, v13, s0
	v_cndmask_b32_e64 v26, v26, 5, s0
	;; [unrolled: 1-line block ×3, first 2 shown]
	v_cmp_gt_f32_e64 s1, v14, v27
	s_delay_alu instid0(VALU_DEP_1) | instskip(NEXT) | instid1(VALU_DEP_4)
	v_cndmask_b32_e64 v27, v27, v14, s1
	v_cndmask_b32_e64 v26, v26, 6, s1
	s_waitcnt lgkmcnt(0)
	v_cndmask_b32_e64 v29, v28, v6, s1
	s_delay_alu instid0(VALU_DEP_3) | instskip(NEXT) | instid1(VALU_DEP_1)
	v_cmp_gt_f32_e64 s0, v15, v27
	v_cndmask_b32_e64 v26, v26, 7, s0
	v_cndmask_b32_e64 v28, v27, v15, s0
	s_delay_alu instid0(VALU_DEP_4) | instskip(NEXT) | instid1(VALU_DEP_3)
	v_cndmask_b32_e64 v27, v29, v7, s0
	v_or_b32_e32 v26, v18, v26
	ds_bpermute_b32 v29, v21, v28
	ds_bpermute_b32 v31, v21, v27
	;; [unrolled: 1-line block ×3, first 2 shown]
	s_waitcnt lgkmcnt(0)
	v_cmp_lt_f32_e64 s3, v28, v29
	v_cmpx_nlt_f32_e32 v28, v29
; %bb.11:                               ;   in Loop: Header=BB346_10 Depth=1
	v_cmp_eq_f32_e64 s0, v28, v29
	v_cmp_lt_i32_e64 s1, v30, v26
	s_delay_alu instid0(VALU_DEP_1) | instskip(SKIP_2) | instid1(SALU_CYCLE_1)
	s_and_b32 s0, s0, s1
	s_and_not1_b32 s1, s3, exec_lo
	s_and_b32 s0, s0, exec_lo
	s_or_b32 s3, s1, s0
; %bb.12:                               ;   in Loop: Header=BB346_10 Depth=1
	s_or_b32 exec_lo, exec_lo, s4
	s_and_saveexec_b32 s0, s3
; %bb.13:                               ;   in Loop: Header=BB346_10 Depth=1
	v_dual_mov_b32 v27, v31 :: v_dual_mov_b32 v28, v29
	v_mov_b32_e32 v26, v30
; %bb.14:                               ;   in Loop: Header=BB346_10 Depth=1
	s_or_b32 exec_lo, exec_lo, s0
	ds_bpermute_b32 v29, v22, v28
	ds_bpermute_b32 v31, v22, v27
	;; [unrolled: 1-line block ×3, first 2 shown]
	s_mov_b32 s4, exec_lo
	s_waitcnt lgkmcnt(2)
	v_cmp_lt_f32_e64 s3, v28, v29
	v_cmpx_nlt_f32_e32 v28, v29
	s_cbranch_execz .LBB346_16
; %bb.15:                               ;   in Loop: Header=BB346_10 Depth=1
	v_cmp_eq_f32_e64 s0, v28, v29
	s_waitcnt lgkmcnt(0)
	v_cmp_lt_i32_e64 s1, v30, v26
	s_delay_alu instid0(VALU_DEP_1) | instskip(SKIP_2) | instid1(SALU_CYCLE_1)
	s_and_b32 s0, s0, s1
	s_and_not1_b32 s1, s3, exec_lo
	s_and_b32 s0, s0, exec_lo
	s_or_b32 s3, s1, s0
.LBB346_16:                             ;   in Loop: Header=BB346_10 Depth=1
	s_or_b32 exec_lo, exec_lo, s4
	s_delay_alu instid0(VALU_DEP_2)
	s_and_saveexec_b32 s0, s3
	s_cbranch_execz .LBB346_18
; %bb.17:                               ;   in Loop: Header=BB346_10 Depth=1
	s_waitcnt lgkmcnt(1)
	v_dual_mov_b32 v27, v31 :: v_dual_mov_b32 v28, v29
	s_waitcnt lgkmcnt(0)
	v_mov_b32_e32 v26, v30
.LBB346_18:                             ;   in Loop: Header=BB346_10 Depth=1
	s_or_b32 exec_lo, exec_lo, s0
	ds_bpermute_b32 v29, v23, v28
	s_waitcnt lgkmcnt(2)
	ds_bpermute_b32 v31, v23, v27
	s_waitcnt lgkmcnt(2)
	ds_bpermute_b32 v30, v23, v26
	s_mov_b32 s4, exec_lo
	s_waitcnt lgkmcnt(2)
	v_cmp_lt_f32_e64 s3, v28, v29
	v_cmpx_nlt_f32_e32 v28, v29
	s_cbranch_execz .LBB346_20
; %bb.19:                               ;   in Loop: Header=BB346_10 Depth=1
	v_cmp_eq_f32_e64 s0, v28, v29
	s_waitcnt lgkmcnt(0)
	v_cmp_lt_i32_e64 s1, v30, v26
	s_delay_alu instid0(VALU_DEP_1) | instskip(SKIP_2) | instid1(SALU_CYCLE_1)
	s_and_b32 s0, s0, s1
	s_and_not1_b32 s1, s3, exec_lo
	s_and_b32 s0, s0, exec_lo
	s_or_b32 s3, s1, s0
.LBB346_20:                             ;   in Loop: Header=BB346_10 Depth=1
	s_or_b32 exec_lo, exec_lo, s4
	s_delay_alu instid0(VALU_DEP_2)
	s_and_saveexec_b32 s0, s3
	s_cbranch_execz .LBB346_22
; %bb.21:                               ;   in Loop: Header=BB346_10 Depth=1
	s_waitcnt lgkmcnt(1)
	v_dual_mov_b32 v27, v31 :: v_dual_mov_b32 v28, v29
	s_waitcnt lgkmcnt(0)
	v_mov_b32_e32 v26, v30
.LBB346_22:                             ;   in Loop: Header=BB346_10 Depth=1
	s_or_b32 exec_lo, exec_lo, s0
	s_waitcnt lgkmcnt(1)
	ds_bpermute_b32 v31, v24, v28
	ds_bpermute_b32 v29, v24, v27
	s_waitcnt lgkmcnt(2)
	ds_bpermute_b32 v30, v24, v26
	s_mov_b32 s4, exec_lo
	s_waitcnt lgkmcnt(2)
	v_cmp_lt_f32_e64 s3, v28, v31
	v_cmpx_nlt_f32_e32 v28, v31
	s_cbranch_execnz .LBB346_26
; %bb.23:                               ;   in Loop: Header=BB346_10 Depth=1
	s_or_b32 exec_lo, exec_lo, s4
	s_delay_alu instid0(VALU_DEP_2)
	s_and_saveexec_b32 s0, s3
	s_cbranch_execnz .LBB346_27
.LBB346_24:                             ;   in Loop: Header=BB346_10 Depth=1
	s_or_b32 exec_lo, exec_lo, s0
	s_and_saveexec_b32 s3, s2
	s_cbranch_execnz .LBB346_28
.LBB346_25:                             ;   in Loop: Header=BB346_10 Depth=1
	s_or_b32 exec_lo, exec_lo, s3
	s_add_i32 s6, s6, 1
	s_delay_alu instid0(SALU_CYCLE_1)
	s_cmp_ge_i32 s6, s8
	s_cbranch_scc1 .LBB346_9
	s_branch .LBB346_29
.LBB346_26:                             ;   in Loop: Header=BB346_10 Depth=1
	v_cmp_eq_f32_e64 s0, v28, v31
	s_waitcnt lgkmcnt(0)
	v_cmp_lt_i32_e64 s1, v30, v26
	s_delay_alu instid0(VALU_DEP_1) | instskip(SKIP_2) | instid1(SALU_CYCLE_1)
	s_and_b32 s0, s0, s1
	s_and_not1_b32 s1, s3, exec_lo
	s_and_b32 s0, s0, exec_lo
	s_or_b32 s3, s1, s0
	s_or_b32 exec_lo, exec_lo, s4
	s_and_saveexec_b32 s0, s3
	s_cbranch_execz .LBB346_24
.LBB346_27:                             ;   in Loop: Header=BB346_10 Depth=1
	s_waitcnt lgkmcnt(0)
	v_dual_mov_b32 v26, v30 :: v_dual_mov_b32 v27, v29
	s_or_b32 exec_lo, exec_lo, s0
	s_and_saveexec_b32 s3, s2
	s_cbranch_execz .LBB346_25
.LBB346_28:                             ;   in Loop: Header=BB346_10 Depth=1
	s_delay_alu instid0(VALU_DEP_1)
	v_dual_add_f32 v35, v19, v27 :: v_dual_add_nc_u32 v28, s6, v20
	v_cmp_le_i32_e64 s0, s9, v26
	v_cmp_gt_i32_e64 s1, s10, v26
	s_waitcnt lgkmcnt(0)
	v_subrev_nc_u32_e32 v30, s9, v26
	v_ashrrev_i32_e32 v29, 31, v28
	v_cndmask_b32_e32 v19, v19, v35, vcc_lo
	s_and_b32 s0, s0, s1
	s_delay_alu instid0(SALU_CYCLE_1) | instskip(NEXT) | instid1(VALU_DEP_2)
	s_and_b32 s0, s19, s0
	v_lshlrev_b64 v[28:29], 2, v[28:29]
	v_cndmask_b32_e64 v34, 0x80, v30, s0
	s_delay_alu instid0(VALU_DEP_2) | instskip(NEXT) | instid1(VALU_DEP_1)
	v_add_co_u32 v30, s0, s16, v28
	v_add_co_ci_u32_e64 v31, s0, s17, v29, s0
	v_add_co_u32 v32, s0, s12, v28
	s_delay_alu instid0(VALU_DEP_1) | instskip(SKIP_1) | instid1(VALU_DEP_1)
	v_add_co_ci_u32_e64 v33, s0, s13, v29, s0
	v_add_co_u32 v28, s0, s14, v28
	v_add_co_ci_u32_e64 v29, s0, s15, v29, s0
	global_store_b32 v[30:31], v27, off
	global_store_b32 v[32:33], v34, off
	;; [unrolled: 1-line block ×3, first 2 shown]
	s_or_b32 exec_lo, exec_lo, s3
	s_add_i32 s6, s6, 1
	s_delay_alu instid0(SALU_CYCLE_1)
	s_cmp_ge_i32 s6, s8
	s_cbranch_scc1 .LBB346_9
.LBB346_29:                             ;   in Loop: Header=BB346_10 Depth=1
	v_ashrrev_i32_e32 v28, 31, v26
	s_mov_b32 s1, exec_lo
	s_delay_alu instid0(VALU_DEP_1) | instskip(NEXT) | instid1(VALU_DEP_1)
	v_lshrrev_b32_e32 v27, 29, v28
	v_add_nc_u32_e32 v27, v26, v27
	s_delay_alu instid0(VALU_DEP_1) | instskip(SKIP_1) | instid1(VALU_DEP_1)
	v_ashrrev_i32_e32 v27, 3, v27
	s_waitcnt lgkmcnt(1)
	v_lshrrev_b32_e32 v29, 28, v27
	s_delay_alu instid0(VALU_DEP_1) | instskip(NEXT) | instid1(VALU_DEP_1)
	v_add_nc_u32_e32 v29, v27, v29
	v_and_b32_e32 v29, -16, v29
	s_delay_alu instid0(VALU_DEP_1) | instskip(NEXT) | instid1(VALU_DEP_1)
	v_sub_nc_u32_e32 v29, v27, v29
	v_cmpx_eq_u32_e64 v17, v29
	s_cbranch_execz .LBB346_8
; %bb.30:                               ;   in Loop: Header=BB346_10 Depth=1
	v_lshrrev_b32_e32 v28, 25, v28
	v_lshlrev_b32_e32 v27, 3, v27
	s_delay_alu instid0(VALU_DEP_2) | instskip(NEXT) | instid1(VALU_DEP_2)
	v_add_nc_u32_e32 v28, v26, v28
	v_sub_nc_u32_e32 v26, v26, v27
	s_delay_alu instid0(VALU_DEP_2) | instskip(NEXT) | instid1(VALU_DEP_1)
	v_ashrrev_i32_e32 v27, 7, v28
	v_lshl_add_u32 v26, v27, 3, v26
	s_delay_alu instid0(VALU_DEP_1) | instskip(NEXT) | instid1(VALU_DEP_1)
	v_cmp_ne_u32_e64 s0, 7, v26
	v_cndmask_b32_e64 v15, 0xc61c4000, v15, s0
	v_cmp_ne_u32_e64 s0, 6, v26
	s_delay_alu instid0(VALU_DEP_1) | instskip(SKIP_1) | instid1(VALU_DEP_1)
	v_cndmask_b32_e64 v14, 0xc61c4000, v14, s0
	v_cmp_ne_u32_e64 s0, 5, v26
	v_cndmask_b32_e64 v13, 0xc61c4000, v13, s0
	v_cmp_ne_u32_e64 s0, 4, v26
	s_delay_alu instid0(VALU_DEP_1) | instskip(SKIP_1) | instid1(VALU_DEP_1)
	v_cndmask_b32_e64 v12, 0xc61c4000, v12, s0
	;; [unrolled: 5-line block ×3, first 2 shown]
	v_cmp_ne_u32_e64 s0, 1, v26
	v_cndmask_b32_e64 v9, 0xc61c4000, v9, s0
	v_cmp_ne_u32_e64 s0, 0, v26
	s_delay_alu instid0(VALU_DEP_1)
	v_cndmask_b32_e64 v8, 0xc61c4000, v8, s0
	s_branch .LBB346_8
.LBB346_31:
                                        ; implicit-def: $vgpr8_vgpr9_vgpr10_vgpr11_vgpr12_vgpr13_vgpr14_vgpr15
	s_and_not1_b32 vcc_lo, exec_lo, s9
	s_cbranch_vccz .LBB346_5
	s_branch .LBB346_6
.LBB346_32:
	v_mov_b32_e32 v19, 0
.LBB346_33:
	v_cmp_eq_u32_e64 s0, 0, v17
	s_delay_alu instid0(VALU_DEP_1) | instskip(NEXT) | instid1(SALU_CYCLE_1)
	s_and_b32 s0, s0, vcc_lo
	s_and_b32 exec_lo, exec_lo, s0
	s_cbranch_execz .LBB346_37
; %bb.34:
	s_and_not1_b32 vcc_lo, exec_lo, s5
	s_cbranch_vccnz .LBB346_37
; %bb.35:
	v_mul_lo_u32 v0, v16, s8
	v_cmp_lt_f32_e32 vcc_lo, 0, v19
	v_cndmask_b32_e32 v2, 1.0, v19, vcc_lo
	s_delay_alu instid0(VALU_DEP_3) | instskip(NEXT) | instid1(VALU_DEP_1)
	v_ashrrev_i32_e32 v1, 31, v0
	v_lshlrev_b64 v[0:1], 2, v[0:1]
	s_delay_alu instid0(VALU_DEP_1) | instskip(NEXT) | instid1(VALU_DEP_2)
	v_add_co_u32 v0, vcc_lo, s16, v0
	v_add_co_ci_u32_e32 v1, vcc_lo, s17, v1, vcc_lo
	.p2align	6
.LBB346_36:                             ; =>This Inner Loop Header: Depth=1
	global_load_b32 v3, v[0:1], off
	s_add_i32 s8, s8, -1
	s_delay_alu instid0(SALU_CYCLE_1) | instskip(SKIP_3) | instid1(VALU_DEP_2)
	s_cmp_lg_u32 s8, 0
	s_waitcnt vmcnt(0)
	v_div_scale_f32 v4, null, v2, v2, v3
	v_div_scale_f32 v7, vcc_lo, v3, v2, v3
	v_rcp_f32_e32 v5, v4
	s_waitcnt_depctr 0xfff
	v_fma_f32 v6, -v4, v5, 1.0
	s_delay_alu instid0(VALU_DEP_1) | instskip(NEXT) | instid1(VALU_DEP_1)
	v_fmac_f32_e32 v5, v6, v5
	v_mul_f32_e32 v6, v7, v5
	s_delay_alu instid0(VALU_DEP_1) | instskip(NEXT) | instid1(VALU_DEP_1)
	v_fma_f32 v8, -v4, v6, v7
	v_fmac_f32_e32 v6, v8, v5
	s_delay_alu instid0(VALU_DEP_1) | instskip(NEXT) | instid1(VALU_DEP_1)
	v_fma_f32 v4, -v4, v6, v7
	v_div_fmas_f32 v4, v4, v5, v6
	s_delay_alu instid0(VALU_DEP_1)
	v_div_fixup_f32 v3, v4, v2, v3
	global_store_b32 v[0:1], v3, off
	v_add_co_u32 v0, vcc_lo, v0, 4
	v_add_co_ci_u32_e32 v1, vcc_lo, 0, v1, vcc_lo
	s_cbranch_scc1 .LBB346_36
.LBB346_37:
	s_nop 0
	s_sendmsg sendmsg(MSG_DEALLOC_VGPRS)
	s_endpgm
	.section	.rodata,"a",@progbits
	.p2align	6, 0x0
	.amdhsa_kernel _ZN4vllm3moe10topkGatingILi8ELi128ELi4ELi16ELi32Ej14__hip_bfloat16LNS0_11ScoringFuncE1EEEvPKT5_PKbPfiPT4_PiiiibPKf
		.amdhsa_group_segment_fixed_size 0
		.amdhsa_private_segment_fixed_size 0
		.amdhsa_kernarg_size 72
		.amdhsa_user_sgpr_count 15
		.amdhsa_user_sgpr_dispatch_ptr 0
		.amdhsa_user_sgpr_queue_ptr 0
		.amdhsa_user_sgpr_kernarg_segment_ptr 1
		.amdhsa_user_sgpr_dispatch_id 0
		.amdhsa_user_sgpr_private_segment_size 0
		.amdhsa_wavefront_size32 1
		.amdhsa_uses_dynamic_stack 0
		.amdhsa_enable_private_segment 0
		.amdhsa_system_sgpr_workgroup_id_x 1
		.amdhsa_system_sgpr_workgroup_id_y 0
		.amdhsa_system_sgpr_workgroup_id_z 0
		.amdhsa_system_sgpr_workgroup_info 0
		.amdhsa_system_vgpr_workitem_id 1
		.amdhsa_next_free_vgpr 51
		.amdhsa_next_free_sgpr 20
		.amdhsa_reserve_vcc 1
		.amdhsa_float_round_mode_32 0
		.amdhsa_float_round_mode_16_64 0
		.amdhsa_float_denorm_mode_32 3
		.amdhsa_float_denorm_mode_16_64 3
		.amdhsa_dx10_clamp 1
		.amdhsa_ieee_mode 1
		.amdhsa_fp16_overflow 0
		.amdhsa_workgroup_processor_mode 1
		.amdhsa_memory_ordered 1
		.amdhsa_forward_progress 0
		.amdhsa_shared_vgpr_count 0
		.amdhsa_exception_fp_ieee_invalid_op 0
		.amdhsa_exception_fp_denorm_src 0
		.amdhsa_exception_fp_ieee_div_zero 0
		.amdhsa_exception_fp_ieee_overflow 0
		.amdhsa_exception_fp_ieee_underflow 0
		.amdhsa_exception_fp_ieee_inexact 0
		.amdhsa_exception_int_div_zero 0
	.end_amdhsa_kernel
	.section	.text._ZN4vllm3moe10topkGatingILi8ELi128ELi4ELi16ELi32Ej14__hip_bfloat16LNS0_11ScoringFuncE1EEEvPKT5_PKbPfiPT4_PiiiibPKf,"axG",@progbits,_ZN4vllm3moe10topkGatingILi8ELi128ELi4ELi16ELi32Ej14__hip_bfloat16LNS0_11ScoringFuncE1EEEvPKT5_PKbPfiPT4_PiiiibPKf,comdat
.Lfunc_end346:
	.size	_ZN4vllm3moe10topkGatingILi8ELi128ELi4ELi16ELi32Ej14__hip_bfloat16LNS0_11ScoringFuncE1EEEvPKT5_PKbPfiPT4_PiiiibPKf, .Lfunc_end346-_ZN4vllm3moe10topkGatingILi8ELi128ELi4ELi16ELi32Ej14__hip_bfloat16LNS0_11ScoringFuncE1EEEvPKT5_PKbPfiPT4_PiiiibPKf
                                        ; -- End function
	.section	.AMDGPU.csdata,"",@progbits
; Kernel info:
; codeLenInByte = 3100
; NumSgprs: 22
; NumVgprs: 51
; ScratchSize: 0
; MemoryBound: 0
; FloatMode: 240
; IeeeMode: 1
; LDSByteSize: 0 bytes/workgroup (compile time only)
; SGPRBlocks: 2
; VGPRBlocks: 6
; NumSGPRsForWavesPerEU: 22
; NumVGPRsForWavesPerEU: 51
; Occupancy: 16
; WaveLimiterHint : 0
; COMPUTE_PGM_RSRC2:SCRATCH_EN: 0
; COMPUTE_PGM_RSRC2:USER_SGPR: 15
; COMPUTE_PGM_RSRC2:TRAP_HANDLER: 0
; COMPUTE_PGM_RSRC2:TGID_X_EN: 1
; COMPUTE_PGM_RSRC2:TGID_Y_EN: 0
; COMPUTE_PGM_RSRC2:TGID_Z_EN: 0
; COMPUTE_PGM_RSRC2:TIDIG_COMP_CNT: 1
	.section	.text._ZN4vllm3moe10topkGatingILi8ELi256ELi4ELi16ELi64Ej14__hip_bfloat16LNS0_11ScoringFuncE1EEEvPKT5_PKbPfiPT4_PiiiibPKf,"axG",@progbits,_ZN4vllm3moe10topkGatingILi8ELi256ELi4ELi16ELi64Ej14__hip_bfloat16LNS0_11ScoringFuncE1EEEvPKT5_PKbPfiPT4_PiiiibPKf,comdat
	.protected	_ZN4vllm3moe10topkGatingILi8ELi256ELi4ELi16ELi64Ej14__hip_bfloat16LNS0_11ScoringFuncE1EEEvPKT5_PKbPfiPT4_PiiiibPKf ; -- Begin function _ZN4vllm3moe10topkGatingILi8ELi256ELi4ELi16ELi64Ej14__hip_bfloat16LNS0_11ScoringFuncE1EEEvPKT5_PKbPfiPT4_PiiiibPKf
	.globl	_ZN4vllm3moe10topkGatingILi8ELi256ELi4ELi16ELi64Ej14__hip_bfloat16LNS0_11ScoringFuncE1EEEvPKT5_PKbPfiPT4_PiiiibPKf
	.p2align	8
	.type	_ZN4vllm3moe10topkGatingILi8ELi256ELi4ELi16ELi64Ej14__hip_bfloat16LNS0_11ScoringFuncE1EEEvPKT5_PKbPfiPT4_PiiiibPKf,@function
_ZN4vllm3moe10topkGatingILi8ELi256ELi4ELi16ELi64Ej14__hip_bfloat16LNS0_11ScoringFuncE1EEEvPKT5_PKbPfiPT4_PiiiibPKf: ; @_ZN4vllm3moe10topkGatingILi8ELi256ELi4ELi16ELi64Ej14__hip_bfloat16LNS0_11ScoringFuncE1EEEvPKT5_PKbPfiPT4_PiiiibPKf
; %bb.0:
	s_load_b32 s18, s[0:1], 0x18
	v_bfe_u32 v1, v0, 10, 10
	v_and_b32_e32 v0, 0x3ff, v0
	s_lshl_b32 s2, s15, 3
	s_delay_alu instid0(VALU_DEP_2) | instskip(NEXT) | instid1(VALU_DEP_2)
	v_lshlrev_b32_e32 v1, 1, v1
	v_lshrrev_b32_e32 v2, 5, v0
	s_delay_alu instid0(VALU_DEP_1) | instskip(SKIP_2) | instid1(VALU_DEP_1)
	v_add3_u32 v16, s2, v1, v2
	s_mov_b32 s2, exec_lo
	s_waitcnt lgkmcnt(0)
	v_cmpx_gt_i32_e64 s18, v16
	s_cbranch_execz .LBB347_41
; %bb.1:
	s_clause 0x1
	s_load_b128 s[4:7], s[0:1], 0x0
	s_load_b64 s[16:17], s[0:1], 0x10
	s_mov_b32 s9, -1
	s_mov_b32 s19, -1
	s_waitcnt lgkmcnt(0)
	s_cmp_eq_u64 s[6:7], 0
	s_cbranch_scc1 .LBB347_3
; %bb.2:
	v_ashrrev_i32_e32 v2, 31, v16
	v_add_co_u32 v1, vcc_lo, s6, v16
	s_delay_alu instid0(VALU_DEP_2) | instskip(SKIP_3) | instid1(VALU_DEP_1)
	v_add_co_ci_u32_e32 v2, vcc_lo, s7, v2, vcc_lo
	global_load_u8 v1, v[1:2], off
	s_waitcnt vmcnt(0)
	v_and_b32_e32 v1, 1, v1
	v_cmp_eq_u32_e32 vcc_lo, 1, v1
	s_xor_b32 s2, vcc_lo, -1
	s_delay_alu instid0(SALU_CYCLE_1)
	s_or_not1_b32 s19, s2, exec_lo
.LBB347_3:
	v_lshlrev_b32_e32 v1, 8, v16
	v_and_b32_e32 v17, 31, v0
	s_load_b64 s[10:11], s[0:1], 0x40
	s_delay_alu instid0(VALU_DEP_2) | instskip(NEXT) | instid1(VALU_DEP_1)
	v_ashrrev_i32_e32 v2, 31, v1
	v_lshlrev_b64 v[0:1], 1, v[1:2]
	s_delay_alu instid0(VALU_DEP_3) | instskip(NEXT) | instid1(VALU_DEP_2)
	v_lshlrev_b32_e32 v2, 4, v17
	v_add_co_u32 v0, vcc_lo, s4, v0
	s_delay_alu instid0(VALU_DEP_3) | instskip(NEXT) | instid1(VALU_DEP_2)
	v_add_co_ci_u32_e32 v1, vcc_lo, s5, v1, vcc_lo
	v_add_co_u32 v0, vcc_lo, v0, v2
	s_delay_alu instid0(VALU_DEP_2)
	v_add_co_ci_u32_e32 v1, vcc_lo, 0, v1, vcc_lo
	s_waitcnt lgkmcnt(0)
	s_cmp_eq_u64 s[10:11], 0
	global_load_b128 v[0:3], v[0:1], off
	s_waitcnt vmcnt(0)
	v_lshlrev_b32_e32 v5, 16, v1
	s_delay_alu instid0(VALU_DEP_1) | instskip(NEXT) | instid1(VALU_DEP_1)
	v_dual_mul_f32 v5, 0xbfb8aa3b, v5 :: v_dual_lshlrev_b32 v4, 16, v0
	v_mul_f32_e32 v4, 0xbfb8aa3b, v4
	s_delay_alu instid0(VALU_DEP_2) | instskip(NEXT) | instid1(VALU_DEP_1)
	v_exp_f32_e32 v5, v5
	v_exp_f32_e32 v4, v4
	v_and_b32_e32 v1, 0xffff0000, v1
	s_waitcnt_depctr 0xfff
	v_dual_add_f32 v5, 1.0, v5 :: v_dual_and_b32 v0, 0xffff0000, v0
	v_add_f32_e32 v4, 1.0, v4
	v_dual_mul_f32 v1, 0xbfb8aa3b, v1 :: v_dual_lshlrev_b32 v6, 16, v2
	s_delay_alu instid0(VALU_DEP_3) | instskip(NEXT) | instid1(VALU_DEP_4)
	v_dual_mul_f32 v0, 0xbfb8aa3b, v0 :: v_dual_lshlrev_b32 v7, 16, v3
	v_div_scale_f32 v12, null, v5, v5, 1.0
	s_delay_alu instid0(VALU_DEP_3) | instskip(SKIP_1) | instid1(VALU_DEP_3)
	v_exp_f32_e32 v1, v1
	v_and_b32_e32 v2, 0xffff0000, v2
	v_exp_f32_e32 v0, v0
	v_and_b32_e32 v3, 0xffff0000, v3
	v_dual_mul_f32 v6, 0xbfb8aa3b, v6 :: v_dual_mul_f32 v7, 0xbfb8aa3b, v7
	v_rcp_f32_e32 v28, v12
	v_div_scale_f32 v13, s3, 1.0, v5, 1.0
	s_delay_alu instid0(VALU_DEP_2) | instskip(SKIP_1) | instid1(TRANS32_DEP_3)
	v_exp_f32_e32 v6, v6
	v_dual_add_f32 v1, 1.0, v1 :: v_dual_mul_f32 v2, 0xbfb8aa3b, v2
	v_dual_add_f32 v0, 1.0, v0 :: v_dual_mul_f32 v3, 0xbfb8aa3b, v3
	v_lshlrev_b32_e32 v18, 3, v17
	v_exp_f32_e32 v7, v7
	s_delay_alu instid0(VALU_DEP_3) | instskip(NEXT) | instid1(VALU_DEP_2)
	v_exp_f32_e32 v2, v2
	v_div_scale_f32 v10, null, v0, v0, 1.0
	v_exp_f32_e32 v3, v3
	v_add_f32_e32 v6, 1.0, v6
	v_div_scale_f32 v14, null, v1, v1, 1.0
	s_delay_alu instid0(VALU_DEP_3) | instskip(SKIP_1) | instid1(TRANS32_DEP_3)
	v_rcp_f32_e32 v27, v10
	v_fma_f32 v37, -v12, v28, 1.0
	v_dual_add_f32 v7, 1.0, v7 :: v_dual_add_f32 v8, 1.0, v2
	v_div_scale_f32 v2, null, v4, v4, 1.0
	s_delay_alu instid0(TRANS32_DEP_2) | instskip(SKIP_1) | instid1(VALU_DEP_4)
	v_add_f32_e32 v9, 1.0, v3
	v_div_scale_f32 v19, null, v6, v6, 1.0
	v_div_scale_f32 v21, null, v8, v8, 1.0
	s_delay_alu instid0(VALU_DEP_4) | instskip(NEXT) | instid1(VALU_DEP_2)
	v_rcp_f32_e32 v26, v2
	v_rcp_f32_e32 v30, v19
	;; [unrolled: 1-line block ×3, first 2 shown]
	s_delay_alu instid0(VALU_DEP_1)
	v_rcp_f32_e32 v31, v21
	v_div_scale_f32 v23, null, v7, v7, 1.0
	v_fma_f32 v36, -v10, v27, 1.0
	v_div_scale_f32 v3, vcc_lo, 1.0, v4, 1.0
	v_div_scale_f32 v11, s2, 1.0, v0, 1.0
	v_fma_f32 v35, -v2, v26, 1.0
	s_delay_alu instid0(TRANS32_DEP_3) | instskip(NEXT) | instid1(TRANS32_DEP_1)
	v_fma_f32 v39, -v19, v30, 1.0
	v_fma_f32 v40, -v21, v31, 1.0
	s_delay_alu instid0(TRANS32_DEP_2) | instskip(SKIP_3) | instid1(VALU_DEP_3)
	v_fma_f32 v38, -v14, v29, 1.0
	v_div_scale_f32 v25, null, v9, v9, 1.0
	v_dual_fmac_f32 v26, v35, v26 :: v_dual_fmac_f32 v27, v36, v27
	v_rcp_f32_e32 v32, v23
	v_dual_fmac_f32 v28, v37, v28 :: v_dual_fmac_f32 v29, v38, v29
	v_div_scale_f32 v22, s6, 1.0, v8, 1.0
	v_dual_fmac_f32 v30, v39, v30 :: v_dual_fmac_f32 v31, v40, v31
	v_mul_f32_e32 v35, v3, v26
	v_div_scale_f32 v15, s4, 1.0, v1, 1.0
	v_rcp_f32_e32 v33, v25
	s_delay_alu instid0(VALU_DEP_3)
	v_mul_f32_e32 v40, v22, v31
	v_dual_mul_f32 v36, v11, v27 :: v_dual_mul_f32 v37, v13, v28
	v_div_scale_f32 v20, s5, 1.0, v6, 1.0
	v_fma_f32 v43, -v2, v35, v3
	v_mul_f32_e32 v38, v15, v29
	v_fma_f32 v41, -v23, v32, 1.0
	s_delay_alu instid0(VALU_DEP_4)
	v_mul_f32_e32 v39, v20, v30
	v_fma_f32 v44, -v10, v36, v11
	v_fma_f32 v45, -v12, v37, v13
	v_fmac_f32_e32 v35, v43, v26
	v_fma_f32 v46, -v14, v38, v15
	v_div_scale_f32 v24, s7, 1.0, v7, 1.0
	v_fmac_f32_e32 v36, v44, v27
	v_fma_f32 v42, -v25, v33, 1.0
	v_fmac_f32_e32 v32, v41, v32
	v_fma_f32 v47, -v19, v39, v20
	v_dual_fmac_f32 v37, v45, v28 :: v_dual_fmac_f32 v38, v46, v29
	v_fma_f32 v48, -v21, v40, v22
	v_fma_f32 v2, -v2, v35, v3
	v_div_scale_f32 v34, s8, 1.0, v9, 1.0
	v_fmac_f32_e32 v33, v42, v33
	v_mul_f32_e32 v41, v24, v32
	v_fma_f32 v3, -v10, v36, v11
	v_dual_fmac_f32 v39, v47, v30 :: v_dual_fmac_f32 v40, v48, v31
	v_fma_f32 v10, -v12, v37, v13
	v_div_fmas_f32 v2, v2, v26, v35
	s_mov_b32 vcc_lo, s2
	v_fma_f32 v11, -v14, v38, v15
	v_mul_f32_e32 v42, v34, v33
	v_fma_f32 v49, -v23, v41, v24
	v_div_fmas_f32 v3, v3, v27, v36
	s_mov_b32 vcc_lo, s3
	v_fma_f32 v12, -v19, v39, v20
	v_div_fmas_f32 v10, v10, v28, v37
	s_mov_b32 vcc_lo, s4
	v_fma_f32 v13, -v21, v40, v22
	v_div_fixup_f32 v2, v2, v4, 1.0
	v_div_fmas_f32 v4, v11, v29, v38
	s_mov_b32 vcc_lo, s5
	v_fma_f32 v50, -v25, v42, v34
	v_fmac_f32_e32 v41, v49, v32
	v_div_fmas_f32 v11, v12, v30, v39
	s_mov_b32 vcc_lo, s6
	v_div_fixup_f32 v5, v10, v5, 1.0
	v_fmac_f32_e32 v42, v50, v33
	v_div_fmas_f32 v10, v13, v31, v40
	v_cmp_class_f32_e64 vcc_lo, v2, 0x1f8
	v_fma_f32 v14, -v23, v41, v24
	v_div_fixup_f32 v3, v3, v0, 1.0
	v_fma_f32 v15, -v25, v42, v34
	v_div_fixup_f32 v4, v4, v1, 1.0
	v_cndmask_b32_e32 v0, 0, v2, vcc_lo
	s_mov_b32 vcc_lo, s7
	v_div_fixup_f32 v6, v11, v6, 1.0
	v_div_fmas_f32 v12, v14, v32, v41
	v_cmp_class_f32_e64 vcc_lo, v3, 0x1f8
	s_delay_alu instid0(VALU_DEP_2)
	v_div_fixup_f32 v7, v12, v7, 1.0
	v_cndmask_b32_e32 v1, 0, v3, vcc_lo
	s_mov_b32 vcc_lo, s8
	v_div_fmas_f32 v11, v15, v33, v42
	v_cmp_class_f32_e64 vcc_lo, v5, 0x1f8
	v_cndmask_b32_e32 v2, 0, v5, vcc_lo
	v_cmp_class_f32_e64 vcc_lo, v4, 0x1f8
	v_div_fixup_f32 v5, v10, v8, 1.0
	v_div_fixup_f32 v8, v11, v9, 1.0
	v_cndmask_b32_e32 v3, 0, v4, vcc_lo
	v_cmp_class_f32_e64 vcc_lo, v6, 0x1f8
	v_cndmask_b32_e32 v4, 0, v6, vcc_lo
	v_cmp_class_f32_e64 vcc_lo, v5, 0x1f8
	;; [unrolled: 2-line block ×4, first 2 shown]
	v_cndmask_b32_e32 v7, 0, v8, vcc_lo
	s_cbranch_scc1 .LBB347_35
; %bb.4:
	v_lshlrev_b32_e32 v12, 2, v18
	s_clause 0x1
	global_load_b128 v[8:11], v12, s[10:11]
	global_load_b128 v[12:15], v12, s[10:11] offset:16
	s_waitcnt vmcnt(1)
	v_dual_add_f32 v9, v9, v1 :: v_dual_add_f32 v8, v8, v0
	v_dual_add_f32 v11, v11, v3 :: v_dual_add_f32 v10, v10, v2
	s_waitcnt vmcnt(0)
	v_dual_add_f32 v13, v13, v5 :: v_dual_add_f32 v12, v12, v4
	v_dual_add_f32 v15, v15, v7 :: v_dual_add_f32 v14, v14, v6
	s_cbranch_execnz .LBB347_6
.LBB347_5:
	v_dual_mov_b32 v15, v7 :: v_dual_mov_b32 v14, v6
	v_dual_mov_b32 v13, v5 :: v_dual_mov_b32 v12, v4
	;; [unrolled: 1-line block ×4, first 2 shown]
.LBB347_6:
	s_load_b128 s[8:11], s[0:1], 0x30
	v_cmp_eq_u32_e64 s2, 0, v17
	s_mov_b32 s6, 0
	s_waitcnt lgkmcnt(0)
	s_bitcmp1_b32 s11, 0
	s_cselect_b32 vcc_lo, -1, 0
	s_cmp_gt_i32 s8, 0
	s_cselect_b32 s5, -1, 0
	s_cmp_lt_i32 s8, 1
	s_cbranch_scc1 .LBB347_36
; %bb.7:
	v_mbcnt_lo_u32_b32 v20, -1, 0
	s_load_b128 s[12:15], s[0:1], 0x20
	v_mul_lo_u32 v19, v16, s8
	v_mov_b32_e32 v26, v16
	s_delay_alu instid0(VALU_DEP_3)
	v_xor_b32_e32 v21, 16, v20
	v_xor_b32_e32 v22, 8, v20
	;; [unrolled: 1-line block ×5, first 2 shown]
	v_cmp_gt_i32_e64 s0, 32, v21
	s_delay_alu instid0(VALU_DEP_1) | instskip(SKIP_1) | instid1(VALU_DEP_2)
	v_cndmask_b32_e64 v21, v20, v21, s0
	v_cmp_gt_i32_e64 s0, 32, v22
	v_lshlrev_b32_e32 v21, 2, v21
	s_delay_alu instid0(VALU_DEP_2) | instskip(SKIP_1) | instid1(VALU_DEP_2)
	v_cndmask_b32_e64 v22, v20, v22, s0
	v_cmp_gt_i32_e64 s0, 32, v23
	v_lshlrev_b32_e32 v22, 2, v22
	s_delay_alu instid0(VALU_DEP_2) | instskip(SKIP_1) | instid1(VALU_DEP_2)
	;; [unrolled: 4-line block ×3, first 2 shown]
	v_cndmask_b32_e64 v24, v20, v24, s0
	v_cmp_gt_i32_e64 s0, 32, v25
	v_lshlrev_b32_e32 v24, 2, v24
	s_delay_alu instid0(VALU_DEP_2) | instskip(NEXT) | instid1(VALU_DEP_1)
	v_cndmask_b32_e64 v20, v20, v25, s0
	v_dual_mov_b32 v20, 0 :: v_dual_lshlrev_b32 v25, 2, v20
	s_branch .LBB347_10
.LBB347_8:                              ;   in Loop: Header=BB347_10 Depth=1
	s_or_b32 exec_lo, exec_lo, s1
.LBB347_9:                              ;   in Loop: Header=BB347_10 Depth=1
	v_add_nc_u32_e32 v26, s18, v26
	s_cmp_eq_u32 s8, s6
	s_cbranch_scc1 .LBB347_37
.LBB347_10:                             ; =>This Inner Loop Header: Depth=1
	v_cmp_gt_f32_e64 s0, v9, v8
	s_delay_alu instid0(VALU_DEP_1) | instskip(SKIP_2) | instid1(VALU_DEP_3)
	v_cndmask_b32_e64 v28, v8, v9, s0
	v_cndmask_b32_e64 v27, 0, 1, s0
	;; [unrolled: 1-line block ×3, first 2 shown]
	v_cmp_gt_f32_e64 s1, v10, v28
	s_delay_alu instid0(VALU_DEP_1) | instskip(NEXT) | instid1(VALU_DEP_4)
	v_cndmask_b32_e64 v28, v28, v10, s1
	v_cndmask_b32_e64 v27, v27, 2, s1
	s_delay_alu instid0(VALU_DEP_4) | instskip(NEXT) | instid1(VALU_DEP_3)
	v_cndmask_b32_e64 v29, v29, v2, s1
	v_cmp_gt_f32_e64 s3, v11, v28
	s_delay_alu instid0(VALU_DEP_1) | instskip(NEXT) | instid1(VALU_DEP_4)
	v_cndmask_b32_e64 v28, v28, v11, s3
	v_cndmask_b32_e64 v27, v27, 3, s3
	s_delay_alu instid0(VALU_DEP_4) | instskip(NEXT) | instid1(VALU_DEP_3)
	v_cndmask_b32_e64 v29, v29, v3, s3
	v_cmp_gt_f32_e64 s4, v12, v28
	s_delay_alu instid0(VALU_DEP_1) | instskip(NEXT) | instid1(VALU_DEP_4)
	v_cndmask_b32_e64 v28, v28, v12, s4
	v_cndmask_b32_e64 v27, v27, 4, s4
	s_delay_alu instid0(VALU_DEP_4) | instskip(SKIP_1) | instid1(VALU_DEP_3)
	v_cndmask_b32_e64 v29, v29, v4, s4
	s_mov_b32 s4, exec_lo
	v_cmp_gt_f32_e64 s0, v13, v28
	s_delay_alu instid0(VALU_DEP_1) | instskip(SKIP_2) | instid1(VALU_DEP_3)
	v_cndmask_b32_e64 v28, v28, v13, s0
	v_cndmask_b32_e64 v27, v27, 5, s0
	;; [unrolled: 1-line block ×3, first 2 shown]
	v_cmp_gt_f32_e64 s1, v14, v28
	s_delay_alu instid0(VALU_DEP_1) | instskip(NEXT) | instid1(VALU_DEP_4)
	v_cndmask_b32_e64 v28, v28, v14, s1
	v_cndmask_b32_e64 v27, v27, 6, s1
	s_waitcnt lgkmcnt(0)
	v_cndmask_b32_e64 v30, v29, v6, s1
	s_delay_alu instid0(VALU_DEP_3) | instskip(NEXT) | instid1(VALU_DEP_1)
	v_cmp_gt_f32_e64 s0, v15, v28
	v_cndmask_b32_e64 v27, v27, 7, s0
	v_cndmask_b32_e64 v29, v28, v15, s0
	s_delay_alu instid0(VALU_DEP_4) | instskip(NEXT) | instid1(VALU_DEP_3)
	v_cndmask_b32_e64 v28, v30, v7, s0
	v_or_b32_e32 v27, v18, v27
	ds_bpermute_b32 v30, v21, v29
	ds_bpermute_b32 v32, v21, v28
	;; [unrolled: 1-line block ×3, first 2 shown]
	s_waitcnt lgkmcnt(0)
	v_cmp_lt_f32_e64 s3, v29, v30
	v_cmpx_nlt_f32_e32 v29, v30
; %bb.11:                               ;   in Loop: Header=BB347_10 Depth=1
	v_cmp_eq_f32_e64 s0, v29, v30
	v_cmp_lt_i32_e64 s1, v31, v27
	s_delay_alu instid0(VALU_DEP_1) | instskip(SKIP_2) | instid1(SALU_CYCLE_1)
	s_and_b32 s0, s0, s1
	s_and_not1_b32 s1, s3, exec_lo
	s_and_b32 s0, s0, exec_lo
	s_or_b32 s3, s1, s0
; %bb.12:                               ;   in Loop: Header=BB347_10 Depth=1
	s_or_b32 exec_lo, exec_lo, s4
	s_and_saveexec_b32 s0, s3
; %bb.13:                               ;   in Loop: Header=BB347_10 Depth=1
	v_dual_mov_b32 v28, v32 :: v_dual_mov_b32 v29, v30
	v_mov_b32_e32 v27, v31
; %bb.14:                               ;   in Loop: Header=BB347_10 Depth=1
	s_or_b32 exec_lo, exec_lo, s0
	ds_bpermute_b32 v30, v22, v29
	ds_bpermute_b32 v32, v22, v28
	;; [unrolled: 1-line block ×3, first 2 shown]
	s_mov_b32 s4, exec_lo
	s_waitcnt lgkmcnt(2)
	v_cmp_lt_f32_e64 s3, v29, v30
	v_cmpx_nlt_f32_e32 v29, v30
	s_cbranch_execz .LBB347_16
; %bb.15:                               ;   in Loop: Header=BB347_10 Depth=1
	v_cmp_eq_f32_e64 s0, v29, v30
	s_waitcnt lgkmcnt(0)
	v_cmp_lt_i32_e64 s1, v31, v27
	s_delay_alu instid0(VALU_DEP_1) | instskip(SKIP_2) | instid1(SALU_CYCLE_1)
	s_and_b32 s0, s0, s1
	s_and_not1_b32 s1, s3, exec_lo
	s_and_b32 s0, s0, exec_lo
	s_or_b32 s3, s1, s0
.LBB347_16:                             ;   in Loop: Header=BB347_10 Depth=1
	s_or_b32 exec_lo, exec_lo, s4
	s_delay_alu instid0(VALU_DEP_2)
	s_and_saveexec_b32 s0, s3
	s_cbranch_execz .LBB347_18
; %bb.17:                               ;   in Loop: Header=BB347_10 Depth=1
	s_waitcnt lgkmcnt(1)
	v_dual_mov_b32 v28, v32 :: v_dual_mov_b32 v29, v30
	s_waitcnt lgkmcnt(0)
	v_mov_b32_e32 v27, v31
.LBB347_18:                             ;   in Loop: Header=BB347_10 Depth=1
	s_or_b32 exec_lo, exec_lo, s0
	ds_bpermute_b32 v30, v23, v29
	s_waitcnt lgkmcnt(2)
	ds_bpermute_b32 v32, v23, v28
	s_waitcnt lgkmcnt(2)
	ds_bpermute_b32 v31, v23, v27
	s_mov_b32 s4, exec_lo
	s_waitcnt lgkmcnt(2)
	v_cmp_lt_f32_e64 s3, v29, v30
	v_cmpx_nlt_f32_e32 v29, v30
	s_cbranch_execz .LBB347_20
; %bb.19:                               ;   in Loop: Header=BB347_10 Depth=1
	v_cmp_eq_f32_e64 s0, v29, v30
	s_waitcnt lgkmcnt(0)
	v_cmp_lt_i32_e64 s1, v31, v27
	s_delay_alu instid0(VALU_DEP_1) | instskip(SKIP_2) | instid1(SALU_CYCLE_1)
	s_and_b32 s0, s0, s1
	s_and_not1_b32 s1, s3, exec_lo
	s_and_b32 s0, s0, exec_lo
	s_or_b32 s3, s1, s0
.LBB347_20:                             ;   in Loop: Header=BB347_10 Depth=1
	s_or_b32 exec_lo, exec_lo, s4
	s_delay_alu instid0(VALU_DEP_2)
	s_and_saveexec_b32 s0, s3
	s_cbranch_execz .LBB347_22
; %bb.21:                               ;   in Loop: Header=BB347_10 Depth=1
	s_waitcnt lgkmcnt(1)
	v_dual_mov_b32 v28, v32 :: v_dual_mov_b32 v29, v30
	s_waitcnt lgkmcnt(0)
	v_mov_b32_e32 v27, v31
.LBB347_22:                             ;   in Loop: Header=BB347_10 Depth=1
	s_or_b32 exec_lo, exec_lo, s0
	ds_bpermute_b32 v30, v24, v29
	s_waitcnt lgkmcnt(2)
	ds_bpermute_b32 v32, v24, v28
	s_waitcnt lgkmcnt(2)
	ds_bpermute_b32 v31, v24, v27
	s_mov_b32 s4, exec_lo
	s_waitcnt lgkmcnt(2)
	v_cmp_lt_f32_e64 s3, v29, v30
	v_cmpx_nlt_f32_e32 v29, v30
	s_cbranch_execz .LBB347_24
; %bb.23:                               ;   in Loop: Header=BB347_10 Depth=1
	v_cmp_eq_f32_e64 s0, v29, v30
	s_waitcnt lgkmcnt(0)
	v_cmp_lt_i32_e64 s1, v31, v27
	s_delay_alu instid0(VALU_DEP_1) | instskip(SKIP_2) | instid1(SALU_CYCLE_1)
	s_and_b32 s0, s0, s1
	s_and_not1_b32 s1, s3, exec_lo
	s_and_b32 s0, s0, exec_lo
	s_or_b32 s3, s1, s0
.LBB347_24:                             ;   in Loop: Header=BB347_10 Depth=1
	s_or_b32 exec_lo, exec_lo, s4
	s_delay_alu instid0(VALU_DEP_2)
	s_and_saveexec_b32 s0, s3
	s_cbranch_execz .LBB347_26
; %bb.25:                               ;   in Loop: Header=BB347_10 Depth=1
	s_waitcnt lgkmcnt(1)
	v_dual_mov_b32 v28, v32 :: v_dual_mov_b32 v29, v30
	s_waitcnt lgkmcnt(0)
	v_mov_b32_e32 v27, v31
.LBB347_26:                             ;   in Loop: Header=BB347_10 Depth=1
	s_or_b32 exec_lo, exec_lo, s0
	s_waitcnt lgkmcnt(1)
	ds_bpermute_b32 v32, v25, v29
	ds_bpermute_b32 v30, v25, v28
	s_waitcnt lgkmcnt(2)
	ds_bpermute_b32 v31, v25, v27
	s_mov_b32 s4, exec_lo
	s_waitcnt lgkmcnt(2)
	v_cmp_lt_f32_e64 s3, v29, v32
	v_cmpx_nlt_f32_e32 v29, v32
	s_cbranch_execnz .LBB347_30
; %bb.27:                               ;   in Loop: Header=BB347_10 Depth=1
	s_or_b32 exec_lo, exec_lo, s4
	s_delay_alu instid0(VALU_DEP_2)
	s_and_saveexec_b32 s0, s3
	s_cbranch_execnz .LBB347_31
.LBB347_28:                             ;   in Loop: Header=BB347_10 Depth=1
	s_or_b32 exec_lo, exec_lo, s0
	s_and_saveexec_b32 s3, s2
	s_cbranch_execnz .LBB347_32
.LBB347_29:                             ;   in Loop: Header=BB347_10 Depth=1
	s_or_b32 exec_lo, exec_lo, s3
	s_add_i32 s6, s6, 1
	s_delay_alu instid0(SALU_CYCLE_1)
	s_cmp_ge_i32 s6, s8
	s_cbranch_scc1 .LBB347_9
	s_branch .LBB347_33
.LBB347_30:                             ;   in Loop: Header=BB347_10 Depth=1
	v_cmp_eq_f32_e64 s0, v29, v32
	s_waitcnt lgkmcnt(0)
	v_cmp_lt_i32_e64 s1, v31, v27
	s_delay_alu instid0(VALU_DEP_1) | instskip(SKIP_2) | instid1(SALU_CYCLE_1)
	s_and_b32 s0, s0, s1
	s_and_not1_b32 s1, s3, exec_lo
	s_and_b32 s0, s0, exec_lo
	s_or_b32 s3, s1, s0
	s_or_b32 exec_lo, exec_lo, s4
	s_and_saveexec_b32 s0, s3
	s_cbranch_execz .LBB347_28
.LBB347_31:                             ;   in Loop: Header=BB347_10 Depth=1
	s_waitcnt lgkmcnt(0)
	v_dual_mov_b32 v27, v31 :: v_dual_mov_b32 v28, v30
	s_or_b32 exec_lo, exec_lo, s0
	s_and_saveexec_b32 s3, s2
	s_cbranch_execz .LBB347_29
.LBB347_32:                             ;   in Loop: Header=BB347_10 Depth=1
	s_delay_alu instid0(VALU_DEP_1)
	v_dual_add_f32 v36, v20, v28 :: v_dual_add_nc_u32 v29, s6, v19
	v_cmp_le_i32_e64 s0, s9, v27
	v_cmp_gt_i32_e64 s1, s10, v27
	s_waitcnt lgkmcnt(0)
	v_subrev_nc_u32_e32 v31, s9, v27
	v_ashrrev_i32_e32 v30, 31, v29
	v_cndmask_b32_e32 v20, v20, v36, vcc_lo
	s_and_b32 s0, s0, s1
	s_delay_alu instid0(SALU_CYCLE_1) | instskip(NEXT) | instid1(VALU_DEP_2)
	s_and_b32 s0, s19, s0
	v_lshlrev_b64 v[29:30], 2, v[29:30]
	v_cndmask_b32_e64 v35, 0x100, v31, s0
	s_delay_alu instid0(VALU_DEP_2) | instskip(NEXT) | instid1(VALU_DEP_1)
	v_add_co_u32 v31, s0, s16, v29
	v_add_co_ci_u32_e64 v32, s0, s17, v30, s0
	v_add_co_u32 v33, s0, s12, v29
	s_delay_alu instid0(VALU_DEP_1) | instskip(SKIP_1) | instid1(VALU_DEP_1)
	v_add_co_ci_u32_e64 v34, s0, s13, v30, s0
	v_add_co_u32 v29, s0, s14, v29
	v_add_co_ci_u32_e64 v30, s0, s15, v30, s0
	global_store_b32 v[31:32], v28, off
	global_store_b32 v[33:34], v35, off
	;; [unrolled: 1-line block ×3, first 2 shown]
	s_or_b32 exec_lo, exec_lo, s3
	s_add_i32 s6, s6, 1
	s_delay_alu instid0(SALU_CYCLE_1)
	s_cmp_ge_i32 s6, s8
	s_cbranch_scc1 .LBB347_9
.LBB347_33:                             ;   in Loop: Header=BB347_10 Depth=1
	v_ashrrev_i32_e32 v28, 31, v27
	s_mov_b32 s1, exec_lo
	s_delay_alu instid0(VALU_DEP_1) | instskip(NEXT) | instid1(VALU_DEP_1)
	v_lshrrev_b32_e32 v29, 29, v28
	v_add_nc_u32_e32 v29, v27, v29
	s_waitcnt lgkmcnt(1)
	s_delay_alu instid0(VALU_DEP_1) | instskip(SKIP_1) | instid1(VALU_DEP_2)
	v_ashrrev_i32_e32 v30, 31, v29
	v_ashrrev_i32_e32 v29, 3, v29
	v_lshrrev_b32_e32 v30, 27, v30
	s_delay_alu instid0(VALU_DEP_1) | instskip(NEXT) | instid1(VALU_DEP_1)
	v_add_nc_u32_e32 v30, v29, v30
	v_and_b32_e32 v30, 0xffffffe0, v30
	s_delay_alu instid0(VALU_DEP_1) | instskip(NEXT) | instid1(VALU_DEP_1)
	v_sub_nc_u32_e32 v30, v29, v30
	v_cmpx_eq_u32_e64 v17, v30
	s_cbranch_execz .LBB347_8
; %bb.34:                               ;   in Loop: Header=BB347_10 Depth=1
	v_lshrrev_b32_e32 v28, 24, v28
	v_lshlrev_b32_e32 v29, 3, v29
	s_delay_alu instid0(VALU_DEP_2) | instskip(NEXT) | instid1(VALU_DEP_2)
	v_add_nc_u32_e32 v28, v27, v28
	v_sub_nc_u32_e32 v27, v27, v29
	s_delay_alu instid0(VALU_DEP_2) | instskip(NEXT) | instid1(VALU_DEP_1)
	v_ashrrev_i32_e32 v28, 8, v28
	v_lshl_add_u32 v27, v28, 3, v27
	s_delay_alu instid0(VALU_DEP_1) | instskip(NEXT) | instid1(VALU_DEP_1)
	v_cmp_ne_u32_e64 s0, 7, v27
	v_cndmask_b32_e64 v15, 0xc61c4000, v15, s0
	v_cmp_ne_u32_e64 s0, 6, v27
	s_delay_alu instid0(VALU_DEP_1) | instskip(SKIP_1) | instid1(VALU_DEP_1)
	v_cndmask_b32_e64 v14, 0xc61c4000, v14, s0
	v_cmp_ne_u32_e64 s0, 5, v27
	v_cndmask_b32_e64 v13, 0xc61c4000, v13, s0
	v_cmp_ne_u32_e64 s0, 4, v27
	s_delay_alu instid0(VALU_DEP_1) | instskip(SKIP_1) | instid1(VALU_DEP_1)
	v_cndmask_b32_e64 v12, 0xc61c4000, v12, s0
	;; [unrolled: 5-line block ×3, first 2 shown]
	v_cmp_ne_u32_e64 s0, 1, v27
	v_cndmask_b32_e64 v9, 0xc61c4000, v9, s0
	v_cmp_ne_u32_e64 s0, 0, v27
	s_delay_alu instid0(VALU_DEP_1)
	v_cndmask_b32_e64 v8, 0xc61c4000, v8, s0
	s_branch .LBB347_8
.LBB347_35:
                                        ; implicit-def: $vgpr8_vgpr9_vgpr10_vgpr11_vgpr12_vgpr13_vgpr14_vgpr15
	s_and_not1_b32 vcc_lo, exec_lo, s9
	s_cbranch_vccz .LBB347_5
	s_branch .LBB347_6
.LBB347_36:
	v_mov_b32_e32 v20, 0
.LBB347_37:
	v_cmp_eq_u32_e64 s0, 0, v17
	s_delay_alu instid0(VALU_DEP_1) | instskip(NEXT) | instid1(SALU_CYCLE_1)
	s_and_b32 s0, s0, vcc_lo
	s_and_b32 exec_lo, exec_lo, s0
	s_cbranch_execz .LBB347_41
; %bb.38:
	s_and_not1_b32 vcc_lo, exec_lo, s5
	s_cbranch_vccnz .LBB347_41
; %bb.39:
	v_mul_lo_u32 v0, v16, s8
	v_cmp_lt_f32_e32 vcc_lo, 0, v20
	v_cndmask_b32_e32 v2, 1.0, v20, vcc_lo
	s_delay_alu instid0(VALU_DEP_3) | instskip(NEXT) | instid1(VALU_DEP_1)
	v_ashrrev_i32_e32 v1, 31, v0
	v_lshlrev_b64 v[0:1], 2, v[0:1]
	s_delay_alu instid0(VALU_DEP_1) | instskip(NEXT) | instid1(VALU_DEP_2)
	v_add_co_u32 v0, vcc_lo, s16, v0
	v_add_co_ci_u32_e32 v1, vcc_lo, s17, v1, vcc_lo
	.p2align	6
.LBB347_40:                             ; =>This Inner Loop Header: Depth=1
	global_load_b32 v3, v[0:1], off
	s_add_i32 s8, s8, -1
	s_delay_alu instid0(SALU_CYCLE_1) | instskip(SKIP_3) | instid1(VALU_DEP_2)
	s_cmp_lg_u32 s8, 0
	s_waitcnt vmcnt(0)
	v_div_scale_f32 v4, null, v2, v2, v3
	v_div_scale_f32 v7, vcc_lo, v3, v2, v3
	v_rcp_f32_e32 v5, v4
	s_waitcnt_depctr 0xfff
	v_fma_f32 v6, -v4, v5, 1.0
	s_delay_alu instid0(VALU_DEP_1) | instskip(NEXT) | instid1(VALU_DEP_1)
	v_fmac_f32_e32 v5, v6, v5
	v_mul_f32_e32 v6, v7, v5
	s_delay_alu instid0(VALU_DEP_1) | instskip(NEXT) | instid1(VALU_DEP_1)
	v_fma_f32 v8, -v4, v6, v7
	v_fmac_f32_e32 v6, v8, v5
	s_delay_alu instid0(VALU_DEP_1) | instskip(NEXT) | instid1(VALU_DEP_1)
	v_fma_f32 v4, -v4, v6, v7
	v_div_fmas_f32 v4, v4, v5, v6
	s_delay_alu instid0(VALU_DEP_1)
	v_div_fixup_f32 v3, v4, v2, v3
	global_store_b32 v[0:1], v3, off
	v_add_co_u32 v0, vcc_lo, v0, 4
	v_add_co_ci_u32_e32 v1, vcc_lo, 0, v1, vcc_lo
	s_cbranch_scc1 .LBB347_40
.LBB347_41:
	s_nop 0
	s_sendmsg sendmsg(MSG_DEALLOC_VGPRS)
	s_endpgm
	.section	.rodata,"a",@progbits
	.p2align	6, 0x0
	.amdhsa_kernel _ZN4vllm3moe10topkGatingILi8ELi256ELi4ELi16ELi64Ej14__hip_bfloat16LNS0_11ScoringFuncE1EEEvPKT5_PKbPfiPT4_PiiiibPKf
		.amdhsa_group_segment_fixed_size 0
		.amdhsa_private_segment_fixed_size 0
		.amdhsa_kernarg_size 72
		.amdhsa_user_sgpr_count 15
		.amdhsa_user_sgpr_dispatch_ptr 0
		.amdhsa_user_sgpr_queue_ptr 0
		.amdhsa_user_sgpr_kernarg_segment_ptr 1
		.amdhsa_user_sgpr_dispatch_id 0
		.amdhsa_user_sgpr_private_segment_size 0
		.amdhsa_wavefront_size32 1
		.amdhsa_uses_dynamic_stack 0
		.amdhsa_enable_private_segment 0
		.amdhsa_system_sgpr_workgroup_id_x 1
		.amdhsa_system_sgpr_workgroup_id_y 0
		.amdhsa_system_sgpr_workgroup_id_z 0
		.amdhsa_system_sgpr_workgroup_info 0
		.amdhsa_system_vgpr_workitem_id 1
		.amdhsa_next_free_vgpr 51
		.amdhsa_next_free_sgpr 20
		.amdhsa_reserve_vcc 1
		.amdhsa_float_round_mode_32 0
		.amdhsa_float_round_mode_16_64 0
		.amdhsa_float_denorm_mode_32 3
		.amdhsa_float_denorm_mode_16_64 3
		.amdhsa_dx10_clamp 1
		.amdhsa_ieee_mode 1
		.amdhsa_fp16_overflow 0
		.amdhsa_workgroup_processor_mode 1
		.amdhsa_memory_ordered 1
		.amdhsa_forward_progress 0
		.amdhsa_shared_vgpr_count 0
		.amdhsa_exception_fp_ieee_invalid_op 0
		.amdhsa_exception_fp_denorm_src 0
		.amdhsa_exception_fp_ieee_div_zero 0
		.amdhsa_exception_fp_ieee_overflow 0
		.amdhsa_exception_fp_ieee_underflow 0
		.amdhsa_exception_fp_ieee_inexact 0
		.amdhsa_exception_int_div_zero 0
	.end_amdhsa_kernel
	.section	.text._ZN4vllm3moe10topkGatingILi8ELi256ELi4ELi16ELi64Ej14__hip_bfloat16LNS0_11ScoringFuncE1EEEvPKT5_PKbPfiPT4_PiiiibPKf,"axG",@progbits,_ZN4vllm3moe10topkGatingILi8ELi256ELi4ELi16ELi64Ej14__hip_bfloat16LNS0_11ScoringFuncE1EEEvPKT5_PKbPfiPT4_PiiiibPKf,comdat
.Lfunc_end347:
	.size	_ZN4vllm3moe10topkGatingILi8ELi256ELi4ELi16ELi64Ej14__hip_bfloat16LNS0_11ScoringFuncE1EEEvPKT5_PKbPfiPT4_PiiiibPKf, .Lfunc_end347-_ZN4vllm3moe10topkGatingILi8ELi256ELi4ELi16ELi64Ej14__hip_bfloat16LNS0_11ScoringFuncE1EEEvPKT5_PKbPfiPT4_PiiiibPKf
                                        ; -- End function
	.section	.AMDGPU.csdata,"",@progbits
; Kernel info:
; codeLenInByte = 3260
; NumSgprs: 22
; NumVgprs: 51
; ScratchSize: 0
; MemoryBound: 0
; FloatMode: 240
; IeeeMode: 1
; LDSByteSize: 0 bytes/workgroup (compile time only)
; SGPRBlocks: 2
; VGPRBlocks: 6
; NumSGPRsForWavesPerEU: 22
; NumVGPRsForWavesPerEU: 51
; Occupancy: 16
; WaveLimiterHint : 0
; COMPUTE_PGM_RSRC2:SCRATCH_EN: 0
; COMPUTE_PGM_RSRC2:USER_SGPR: 15
; COMPUTE_PGM_RSRC2:TRAP_HANDLER: 0
; COMPUTE_PGM_RSRC2:TGID_X_EN: 1
; COMPUTE_PGM_RSRC2:TGID_Y_EN: 0
; COMPUTE_PGM_RSRC2:TGID_Z_EN: 0
; COMPUTE_PGM_RSRC2:TIDIG_COMP_CNT: 1
	.section	.text._ZN4vllm3moe10topkGatingILi8ELi256ELi4ELi16ELi32Ej14__hip_bfloat16LNS0_11ScoringFuncE1EEEvPKT5_PKbPfiPT4_PiiiibPKf,"axG",@progbits,_ZN4vllm3moe10topkGatingILi8ELi256ELi4ELi16ELi32Ej14__hip_bfloat16LNS0_11ScoringFuncE1EEEvPKT5_PKbPfiPT4_PiiiibPKf,comdat
	.protected	_ZN4vllm3moe10topkGatingILi8ELi256ELi4ELi16ELi32Ej14__hip_bfloat16LNS0_11ScoringFuncE1EEEvPKT5_PKbPfiPT4_PiiiibPKf ; -- Begin function _ZN4vllm3moe10topkGatingILi8ELi256ELi4ELi16ELi32Ej14__hip_bfloat16LNS0_11ScoringFuncE1EEEvPKT5_PKbPfiPT4_PiiiibPKf
	.globl	_ZN4vllm3moe10topkGatingILi8ELi256ELi4ELi16ELi32Ej14__hip_bfloat16LNS0_11ScoringFuncE1EEEvPKT5_PKbPfiPT4_PiiiibPKf
	.p2align	8
	.type	_ZN4vllm3moe10topkGatingILi8ELi256ELi4ELi16ELi32Ej14__hip_bfloat16LNS0_11ScoringFuncE1EEEvPKT5_PKbPfiPT4_PiiiibPKf,@function
_ZN4vllm3moe10topkGatingILi8ELi256ELi4ELi16ELi32Ej14__hip_bfloat16LNS0_11ScoringFuncE1EEEvPKT5_PKbPfiPT4_PiiiibPKf: ; @_ZN4vllm3moe10topkGatingILi8ELi256ELi4ELi16ELi32Ej14__hip_bfloat16LNS0_11ScoringFuncE1EEEvPKT5_PKbPfiPT4_PiiiibPKf
; %bb.0:
	s_load_b32 s18, s[0:1], 0x18
	v_and_b32_e32 v1, 0x3ff, v0
	v_bfe_u32 v0, v0, 10, 10
	s_lshl_b32 s2, s15, 2
	s_delay_alu instid0(VALU_DEP_2) | instskip(NEXT) | instid1(VALU_DEP_1)
	v_lshrrev_b32_e32 v2, 5, v1
	v_add3_u32 v16, s2, v0, v2
	s_mov_b32 s2, exec_lo
	s_waitcnt lgkmcnt(0)
	s_delay_alu instid0(VALU_DEP_1)
	v_cmpx_gt_i32_e64 s18, v16
	s_cbranch_execz .LBB348_41
; %bb.1:
	s_clause 0x1
	s_load_b128 s[4:7], s[0:1], 0x0
	s_load_b64 s[16:17], s[0:1], 0x10
	s_mov_b32 s9, -1
	s_mov_b32 s19, -1
	s_waitcnt lgkmcnt(0)
	s_cmp_eq_u64 s[6:7], 0
	s_cbranch_scc1 .LBB348_3
; %bb.2:
	v_ashrrev_i32_e32 v0, 31, v16
	v_add_co_u32 v2, vcc_lo, s6, v16
	s_delay_alu instid0(VALU_DEP_2) | instskip(SKIP_3) | instid1(VALU_DEP_1)
	v_add_co_ci_u32_e32 v3, vcc_lo, s7, v0, vcc_lo
	global_load_u8 v0, v[2:3], off
	s_waitcnt vmcnt(0)
	v_and_b32_e32 v0, 1, v0
	v_cmp_eq_u32_e32 vcc_lo, 1, v0
	s_xor_b32 s2, vcc_lo, -1
	s_delay_alu instid0(SALU_CYCLE_1)
	s_or_not1_b32 s19, s2, exec_lo
.LBB348_3:
	v_lshlrev_b32_e32 v2, 8, v16
	v_and_b32_e32 v17, 31, v1
	s_load_b64 s[10:11], s[0:1], 0x40
	s_delay_alu instid0(VALU_DEP_2) | instskip(NEXT) | instid1(VALU_DEP_1)
	v_ashrrev_i32_e32 v3, 31, v2
	v_lshlrev_b64 v[0:1], 1, v[2:3]
	s_delay_alu instid0(VALU_DEP_3) | instskip(NEXT) | instid1(VALU_DEP_2)
	v_lshlrev_b32_e32 v2, 4, v17
	v_add_co_u32 v0, vcc_lo, s4, v0
	s_delay_alu instid0(VALU_DEP_3) | instskip(NEXT) | instid1(VALU_DEP_2)
	v_add_co_ci_u32_e32 v1, vcc_lo, s5, v1, vcc_lo
	v_add_co_u32 v0, vcc_lo, v0, v2
	s_delay_alu instid0(VALU_DEP_2)
	v_add_co_ci_u32_e32 v1, vcc_lo, 0, v1, vcc_lo
	s_waitcnt lgkmcnt(0)
	s_cmp_eq_u64 s[10:11], 0
	global_load_b128 v[0:3], v[0:1], off
	s_waitcnt vmcnt(0)
	v_lshlrev_b32_e32 v5, 16, v1
	v_and_b32_e32 v1, 0xffff0000, v1
	v_lshlrev_b32_e32 v4, 16, v0
	v_lshlrev_b32_e32 v7, 16, v3
	s_delay_alu instid0(VALU_DEP_4) | instskip(NEXT) | instid1(VALU_DEP_3)
	v_mul_f32_e32 v5, 0xbfb8aa3b, v5
	v_dual_mul_f32 v1, 0xbfb8aa3b, v1 :: v_dual_mul_f32 v4, 0xbfb8aa3b, v4
	s_delay_alu instid0(VALU_DEP_2) | instskip(SKIP_1) | instid1(VALU_DEP_2)
	v_exp_f32_e32 v5, v5
	v_and_b32_e32 v0, 0xffff0000, v0
	v_exp_f32_e32 v1, v1
	s_delay_alu instid0(VALU_DEP_2)
	v_exp_f32_e32 v4, v4
	s_delay_alu instid0(TRANS32_DEP_3) | instid1(VALU_DEP_1)
	v_dual_add_f32 v5, 1.0, v5 :: v_dual_mul_f32 v0, 0xbfb8aa3b, v0
	s_waitcnt_depctr 0xfff
	v_dual_add_f32 v1, 1.0, v1 :: v_dual_add_f32 v4, 1.0, v4
	v_div_scale_f32 v12, null, v5, v5, 1.0
	v_exp_f32_e32 v0, v0
	v_and_b32_e32 v3, 0xffff0000, v3
	v_div_scale_f32 v13, s3, 1.0, v5, 1.0
	s_delay_alu instid0(VALU_DEP_3)
	v_rcp_f32_e32 v28, v12
	v_div_scale_f32 v14, null, v1, v1, 1.0
	v_div_scale_f32 v15, s4, 1.0, v1, 1.0
	s_waitcnt_depctr 0xfff
	v_add_f32_e32 v0, 1.0, v0
	v_dual_mul_f32 v3, 0xbfb8aa3b, v3 :: v_dual_lshlrev_b32 v6, 16, v2
	v_and_b32_e32 v2, 0xffff0000, v2
	v_fma_f32 v37, -v12, v28, 1.0
	s_delay_alu instid0(VALU_DEP_4) | instskip(NEXT) | instid1(VALU_DEP_4)
	v_div_scale_f32 v10, null, v0, v0, 1.0
	v_dual_mul_f32 v6, 0xbfb8aa3b, v6 :: v_dual_mul_f32 v7, 0xbfb8aa3b, v7
	v_rcp_f32_e32 v29, v14
	v_exp_f32_e32 v3, v3
	s_delay_alu instid0(VALU_DEP_2) | instskip(NEXT) | instid1(VALU_DEP_1)
	v_rcp_f32_e32 v27, v10
	v_exp_f32_e32 v6, v6
	v_exp_f32_e32 v7, v7
	v_mul_f32_e32 v2, 0xbfb8aa3b, v2
	v_lshlrev_b32_e32 v18, 3, v17
	v_div_scale_f32 v11, s2, 1.0, v0, 1.0
	v_fma_f32 v38, -v14, v29, 1.0
	v_add_f32_e32 v9, 1.0, v3
	s_delay_alu instid0(TRANS32_DEP_3) | instskip(NEXT) | instid1(TRANS32_DEP_1)
	v_fma_f32 v36, -v10, v27, 1.0
	v_dual_add_f32 v6, 1.0, v6 :: v_dual_add_f32 v7, 1.0, v7
	v_exp_f32_e32 v2, v2
	s_delay_alu instid0(VALU_DEP_3) | instskip(NEXT) | instid1(VALU_DEP_3)
	v_div_scale_f32 v25, null, v9, v9, 1.0
	v_fmac_f32_e32 v27, v36, v27
	s_delay_alu instid0(VALU_DEP_3) | instskip(SKIP_2) | instid1(VALU_DEP_3)
	v_div_scale_f32 v23, null, v7, v7, 1.0
	v_fmac_f32_e32 v29, v38, v29
	v_div_scale_f32 v19, null, v6, v6, 1.0
	v_rcp_f32_e32 v32, v23
	s_delay_alu instid0(TRANS32_DEP_2) | instskip(SKIP_1) | instid1(VALU_DEP_3)
	v_add_f32_e32 v8, 1.0, v2
	v_div_scale_f32 v2, null, v4, v4, 1.0
	v_rcp_f32_e32 v30, v19
	v_rcp_f32_e32 v33, v25
	s_delay_alu instid0(VALU_DEP_2) | instskip(NEXT) | instid1(VALU_DEP_2)
	v_div_scale_f32 v21, null, v8, v8, 1.0
	v_rcp_f32_e32 v26, v2
	v_div_scale_f32 v3, vcc_lo, 1.0, v4, 1.0
	s_delay_alu instid0(VALU_DEP_2) | instskip(SKIP_3) | instid1(TRANS32_DEP_3)
	v_rcp_f32_e32 v31, v21
	v_fma_f32 v41, -v23, v32, 1.0
	v_div_scale_f32 v20, s5, 1.0, v6, 1.0
	v_fma_f32 v39, -v19, v30, 1.0
	v_fma_f32 v42, -v25, v33, 1.0
	v_fmac_f32_e32 v28, v37, v28
	s_delay_alu instid0(TRANS32_DEP_2) | instskip(SKIP_1) | instid1(VALU_DEP_4)
	v_fma_f32 v35, -v2, v26, 1.0
	v_div_scale_f32 v22, s6, 1.0, v8, 1.0
	v_fmac_f32_e32 v33, v42, v33
	s_delay_alu instid0(TRANS32_DEP_1) | instskip(NEXT) | instid1(VALU_DEP_4)
	v_fma_f32 v40, -v21, v31, 1.0
	v_fmac_f32_e32 v26, v35, v26
	v_dual_fmac_f32 v30, v39, v30 :: v_dual_mul_f32 v37, v13, v28
	v_mul_f32_e32 v36, v11, v27
	s_delay_alu instid0(VALU_DEP_4) | instskip(NEXT) | instid1(VALU_DEP_4)
	v_dual_fmac_f32 v31, v40, v31 :: v_dual_fmac_f32 v32, v41, v32
	v_mul_f32_e32 v35, v3, v26
	v_div_scale_f32 v24, s7, 1.0, v7, 1.0
	v_dual_mul_f32 v38, v15, v29 :: v_dual_mul_f32 v39, v20, v30
	s_delay_alu instid0(VALU_DEP_3) | instskip(NEXT) | instid1(VALU_DEP_3)
	v_fma_f32 v43, -v2, v35, v3
	v_mul_f32_e32 v41, v24, v32
	v_fma_f32 v44, -v10, v36, v11
	v_div_scale_f32 v34, s8, 1.0, v9, 1.0
	v_fma_f32 v45, -v12, v37, v13
	v_dual_mul_f32 v40, v22, v31 :: v_dual_fmac_f32 v35, v43, v26
	v_fma_f32 v46, -v14, v38, v15
	v_fma_f32 v47, -v19, v39, v20
	v_fmac_f32_e32 v36, v44, v27
	v_dual_mul_f32 v42, v34, v33 :: v_dual_fmac_f32 v37, v45, v28
	v_fma_f32 v2, -v2, v35, v3
	v_fma_f32 v49, -v23, v41, v24
	v_dual_fmac_f32 v38, v46, v29 :: v_dual_fmac_f32 v39, v47, v30
	v_fma_f32 v3, -v10, v36, v11
	v_fma_f32 v10, -v12, v37, v13
	s_delay_alu instid0(VALU_DEP_4)
	v_fmac_f32_e32 v41, v49, v32
	v_div_fmas_f32 v2, v2, v26, v35
	s_mov_b32 vcc_lo, s2
	v_fma_f32 v11, -v14, v38, v15
	v_div_fmas_f32 v3, v3, v27, v36
	s_mov_b32 vcc_lo, s3
	v_fma_f32 v48, -v21, v40, v22
	v_div_fmas_f32 v10, v10, v28, v37
	s_mov_b32 vcc_lo, s4
	v_div_fixup_f32 v2, v2, v4, 1.0
	v_div_fmas_f32 v4, v11, v29, v38
	v_fma_f32 v12, -v19, v39, v20
	s_mov_b32 vcc_lo, s5
	v_div_fixup_f32 v5, v10, v5, 1.0
	v_fma_f32 v50, -v25, v42, v34
	v_div_fixup_f32 v4, v4, v1, 1.0
	v_fmac_f32_e32 v40, v48, v31
	v_div_fmas_f32 v11, v12, v30, v39
	s_mov_b32 vcc_lo, s6
	v_fma_f32 v14, -v23, v41, v24
	v_div_fixup_f32 v3, v3, v0, 1.0
	v_fma_f32 v13, -v21, v40, v22
	v_div_fixup_f32 v6, v11, v6, 1.0
	s_delay_alu instid0(VALU_DEP_2)
	v_div_fmas_f32 v10, v13, v31, v40
	v_cmp_class_f32_e64 vcc_lo, v2, 0x1f8
	v_cndmask_b32_e32 v0, 0, v2, vcc_lo
	s_mov_b32 vcc_lo, s7
	v_div_fmas_f32 v12, v14, v32, v41
	v_cmp_class_f32_e64 vcc_lo, v3, 0x1f8
	v_fmac_f32_e32 v42, v50, v33
	s_delay_alu instid0(VALU_DEP_3) | instskip(SKIP_1) | instid1(VALU_DEP_3)
	v_div_fixup_f32 v7, v12, v7, 1.0
	v_cndmask_b32_e32 v1, 0, v3, vcc_lo
	v_fma_f32 v15, -v25, v42, v34
	s_mov_b32 vcc_lo, s8
	s_delay_alu instid0(VALU_DEP_1)
	v_div_fmas_f32 v11, v15, v33, v42
	v_cmp_class_f32_e64 vcc_lo, v5, 0x1f8
	v_cndmask_b32_e32 v2, 0, v5, vcc_lo
	v_cmp_class_f32_e64 vcc_lo, v4, 0x1f8
	v_div_fixup_f32 v5, v10, v8, 1.0
	v_div_fixup_f32 v8, v11, v9, 1.0
	v_cndmask_b32_e32 v3, 0, v4, vcc_lo
	v_cmp_class_f32_e64 vcc_lo, v6, 0x1f8
	v_cndmask_b32_e32 v4, 0, v6, vcc_lo
	v_cmp_class_f32_e64 vcc_lo, v5, 0x1f8
	;; [unrolled: 2-line block ×4, first 2 shown]
	v_cndmask_b32_e32 v7, 0, v8, vcc_lo
	s_cbranch_scc1 .LBB348_35
; %bb.4:
	v_lshlrev_b32_e32 v12, 2, v18
	s_clause 0x1
	global_load_b128 v[8:11], v12, s[10:11]
	global_load_b128 v[12:15], v12, s[10:11] offset:16
	s_waitcnt vmcnt(1)
	v_dual_add_f32 v9, v9, v1 :: v_dual_add_f32 v8, v8, v0
	v_dual_add_f32 v11, v11, v3 :: v_dual_add_f32 v10, v10, v2
	s_waitcnt vmcnt(0)
	v_dual_add_f32 v13, v13, v5 :: v_dual_add_f32 v12, v12, v4
	v_dual_add_f32 v15, v15, v7 :: v_dual_add_f32 v14, v14, v6
	s_cbranch_execnz .LBB348_6
.LBB348_5:
	v_dual_mov_b32 v15, v7 :: v_dual_mov_b32 v14, v6
	v_dual_mov_b32 v13, v5 :: v_dual_mov_b32 v12, v4
	;; [unrolled: 1-line block ×4, first 2 shown]
.LBB348_6:
	s_load_b128 s[8:11], s[0:1], 0x30
	v_cmp_eq_u32_e64 s2, 0, v17
	s_mov_b32 s6, 0
	s_waitcnt lgkmcnt(0)
	s_bitcmp1_b32 s11, 0
	s_cselect_b32 vcc_lo, -1, 0
	s_cmp_gt_i32 s8, 0
	s_cselect_b32 s5, -1, 0
	s_cmp_lt_i32 s8, 1
	s_cbranch_scc1 .LBB348_36
; %bb.7:
	v_mbcnt_lo_u32_b32 v20, -1, 0
	s_load_b128 s[12:15], s[0:1], 0x20
	v_mul_lo_u32 v19, v16, s8
	v_mov_b32_e32 v26, v16
	s_delay_alu instid0(VALU_DEP_3)
	v_xor_b32_e32 v21, 16, v20
	v_xor_b32_e32 v22, 8, v20
	;; [unrolled: 1-line block ×5, first 2 shown]
	v_cmp_gt_i32_e64 s0, 32, v21
	s_delay_alu instid0(VALU_DEP_1) | instskip(SKIP_1) | instid1(VALU_DEP_2)
	v_cndmask_b32_e64 v21, v20, v21, s0
	v_cmp_gt_i32_e64 s0, 32, v22
	v_lshlrev_b32_e32 v21, 2, v21
	s_delay_alu instid0(VALU_DEP_2) | instskip(SKIP_1) | instid1(VALU_DEP_2)
	v_cndmask_b32_e64 v22, v20, v22, s0
	v_cmp_gt_i32_e64 s0, 32, v23
	v_lshlrev_b32_e32 v22, 2, v22
	s_delay_alu instid0(VALU_DEP_2) | instskip(SKIP_1) | instid1(VALU_DEP_2)
	;; [unrolled: 4-line block ×3, first 2 shown]
	v_cndmask_b32_e64 v24, v20, v24, s0
	v_cmp_gt_i32_e64 s0, 32, v25
	v_lshlrev_b32_e32 v24, 2, v24
	s_delay_alu instid0(VALU_DEP_2) | instskip(NEXT) | instid1(VALU_DEP_1)
	v_cndmask_b32_e64 v20, v20, v25, s0
	v_dual_mov_b32 v20, 0 :: v_dual_lshlrev_b32 v25, 2, v20
	s_branch .LBB348_10
.LBB348_8:                              ;   in Loop: Header=BB348_10 Depth=1
	s_or_b32 exec_lo, exec_lo, s1
.LBB348_9:                              ;   in Loop: Header=BB348_10 Depth=1
	v_add_nc_u32_e32 v26, s18, v26
	s_cmp_eq_u32 s8, s6
	s_cbranch_scc1 .LBB348_37
.LBB348_10:                             ; =>This Inner Loop Header: Depth=1
	v_cmp_gt_f32_e64 s0, v9, v8
	s_delay_alu instid0(VALU_DEP_1) | instskip(SKIP_2) | instid1(VALU_DEP_3)
	v_cndmask_b32_e64 v28, v8, v9, s0
	v_cndmask_b32_e64 v27, 0, 1, s0
	;; [unrolled: 1-line block ×3, first 2 shown]
	v_cmp_gt_f32_e64 s1, v10, v28
	s_delay_alu instid0(VALU_DEP_1) | instskip(NEXT) | instid1(VALU_DEP_4)
	v_cndmask_b32_e64 v28, v28, v10, s1
	v_cndmask_b32_e64 v27, v27, 2, s1
	s_delay_alu instid0(VALU_DEP_4) | instskip(NEXT) | instid1(VALU_DEP_3)
	v_cndmask_b32_e64 v29, v29, v2, s1
	v_cmp_gt_f32_e64 s3, v11, v28
	s_delay_alu instid0(VALU_DEP_1) | instskip(NEXT) | instid1(VALU_DEP_4)
	v_cndmask_b32_e64 v28, v28, v11, s3
	v_cndmask_b32_e64 v27, v27, 3, s3
	s_delay_alu instid0(VALU_DEP_4) | instskip(NEXT) | instid1(VALU_DEP_3)
	v_cndmask_b32_e64 v29, v29, v3, s3
	v_cmp_gt_f32_e64 s4, v12, v28
	s_delay_alu instid0(VALU_DEP_1) | instskip(NEXT) | instid1(VALU_DEP_4)
	v_cndmask_b32_e64 v28, v28, v12, s4
	v_cndmask_b32_e64 v27, v27, 4, s4
	s_delay_alu instid0(VALU_DEP_4) | instskip(SKIP_1) | instid1(VALU_DEP_3)
	v_cndmask_b32_e64 v29, v29, v4, s4
	s_mov_b32 s4, exec_lo
	v_cmp_gt_f32_e64 s0, v13, v28
	s_delay_alu instid0(VALU_DEP_1) | instskip(SKIP_2) | instid1(VALU_DEP_3)
	v_cndmask_b32_e64 v28, v28, v13, s0
	v_cndmask_b32_e64 v27, v27, 5, s0
	;; [unrolled: 1-line block ×3, first 2 shown]
	v_cmp_gt_f32_e64 s1, v14, v28
	s_delay_alu instid0(VALU_DEP_1) | instskip(NEXT) | instid1(VALU_DEP_4)
	v_cndmask_b32_e64 v28, v28, v14, s1
	v_cndmask_b32_e64 v27, v27, 6, s1
	s_waitcnt lgkmcnt(0)
	v_cndmask_b32_e64 v30, v29, v6, s1
	s_delay_alu instid0(VALU_DEP_3) | instskip(NEXT) | instid1(VALU_DEP_1)
	v_cmp_gt_f32_e64 s0, v15, v28
	v_cndmask_b32_e64 v27, v27, 7, s0
	v_cndmask_b32_e64 v29, v28, v15, s0
	s_delay_alu instid0(VALU_DEP_4) | instskip(NEXT) | instid1(VALU_DEP_3)
	v_cndmask_b32_e64 v28, v30, v7, s0
	v_or_b32_e32 v27, v18, v27
	ds_bpermute_b32 v30, v21, v29
	ds_bpermute_b32 v32, v21, v28
	;; [unrolled: 1-line block ×3, first 2 shown]
	s_waitcnt lgkmcnt(0)
	v_cmp_lt_f32_e64 s3, v29, v30
	v_cmpx_nlt_f32_e32 v29, v30
; %bb.11:                               ;   in Loop: Header=BB348_10 Depth=1
	v_cmp_eq_f32_e64 s0, v29, v30
	v_cmp_lt_i32_e64 s1, v31, v27
	s_delay_alu instid0(VALU_DEP_1) | instskip(SKIP_2) | instid1(SALU_CYCLE_1)
	s_and_b32 s0, s0, s1
	s_and_not1_b32 s1, s3, exec_lo
	s_and_b32 s0, s0, exec_lo
	s_or_b32 s3, s1, s0
; %bb.12:                               ;   in Loop: Header=BB348_10 Depth=1
	s_or_b32 exec_lo, exec_lo, s4
	s_and_saveexec_b32 s0, s3
; %bb.13:                               ;   in Loop: Header=BB348_10 Depth=1
	v_dual_mov_b32 v28, v32 :: v_dual_mov_b32 v29, v30
	v_mov_b32_e32 v27, v31
; %bb.14:                               ;   in Loop: Header=BB348_10 Depth=1
	s_or_b32 exec_lo, exec_lo, s0
	ds_bpermute_b32 v30, v22, v29
	ds_bpermute_b32 v32, v22, v28
	;; [unrolled: 1-line block ×3, first 2 shown]
	s_mov_b32 s4, exec_lo
	s_waitcnt lgkmcnt(2)
	v_cmp_lt_f32_e64 s3, v29, v30
	v_cmpx_nlt_f32_e32 v29, v30
	s_cbranch_execz .LBB348_16
; %bb.15:                               ;   in Loop: Header=BB348_10 Depth=1
	v_cmp_eq_f32_e64 s0, v29, v30
	s_waitcnt lgkmcnt(0)
	v_cmp_lt_i32_e64 s1, v31, v27
	s_delay_alu instid0(VALU_DEP_1) | instskip(SKIP_2) | instid1(SALU_CYCLE_1)
	s_and_b32 s0, s0, s1
	s_and_not1_b32 s1, s3, exec_lo
	s_and_b32 s0, s0, exec_lo
	s_or_b32 s3, s1, s0
.LBB348_16:                             ;   in Loop: Header=BB348_10 Depth=1
	s_or_b32 exec_lo, exec_lo, s4
	s_delay_alu instid0(VALU_DEP_2)
	s_and_saveexec_b32 s0, s3
	s_cbranch_execz .LBB348_18
; %bb.17:                               ;   in Loop: Header=BB348_10 Depth=1
	s_waitcnt lgkmcnt(1)
	v_dual_mov_b32 v28, v32 :: v_dual_mov_b32 v29, v30
	s_waitcnt lgkmcnt(0)
	v_mov_b32_e32 v27, v31
.LBB348_18:                             ;   in Loop: Header=BB348_10 Depth=1
	s_or_b32 exec_lo, exec_lo, s0
	ds_bpermute_b32 v30, v23, v29
	s_waitcnt lgkmcnt(2)
	ds_bpermute_b32 v32, v23, v28
	s_waitcnt lgkmcnt(2)
	ds_bpermute_b32 v31, v23, v27
	s_mov_b32 s4, exec_lo
	s_waitcnt lgkmcnt(2)
	v_cmp_lt_f32_e64 s3, v29, v30
	v_cmpx_nlt_f32_e32 v29, v30
	s_cbranch_execz .LBB348_20
; %bb.19:                               ;   in Loop: Header=BB348_10 Depth=1
	v_cmp_eq_f32_e64 s0, v29, v30
	s_waitcnt lgkmcnt(0)
	v_cmp_lt_i32_e64 s1, v31, v27
	s_delay_alu instid0(VALU_DEP_1) | instskip(SKIP_2) | instid1(SALU_CYCLE_1)
	s_and_b32 s0, s0, s1
	s_and_not1_b32 s1, s3, exec_lo
	s_and_b32 s0, s0, exec_lo
	s_or_b32 s3, s1, s0
.LBB348_20:                             ;   in Loop: Header=BB348_10 Depth=1
	s_or_b32 exec_lo, exec_lo, s4
	s_delay_alu instid0(VALU_DEP_2)
	s_and_saveexec_b32 s0, s3
	s_cbranch_execz .LBB348_22
; %bb.21:                               ;   in Loop: Header=BB348_10 Depth=1
	s_waitcnt lgkmcnt(1)
	v_dual_mov_b32 v28, v32 :: v_dual_mov_b32 v29, v30
	s_waitcnt lgkmcnt(0)
	v_mov_b32_e32 v27, v31
.LBB348_22:                             ;   in Loop: Header=BB348_10 Depth=1
	s_or_b32 exec_lo, exec_lo, s0
	ds_bpermute_b32 v30, v24, v29
	s_waitcnt lgkmcnt(2)
	ds_bpermute_b32 v32, v24, v28
	s_waitcnt lgkmcnt(2)
	ds_bpermute_b32 v31, v24, v27
	s_mov_b32 s4, exec_lo
	s_waitcnt lgkmcnt(2)
	v_cmp_lt_f32_e64 s3, v29, v30
	v_cmpx_nlt_f32_e32 v29, v30
	s_cbranch_execz .LBB348_24
; %bb.23:                               ;   in Loop: Header=BB348_10 Depth=1
	v_cmp_eq_f32_e64 s0, v29, v30
	s_waitcnt lgkmcnt(0)
	v_cmp_lt_i32_e64 s1, v31, v27
	s_delay_alu instid0(VALU_DEP_1) | instskip(SKIP_2) | instid1(SALU_CYCLE_1)
	s_and_b32 s0, s0, s1
	s_and_not1_b32 s1, s3, exec_lo
	s_and_b32 s0, s0, exec_lo
	s_or_b32 s3, s1, s0
.LBB348_24:                             ;   in Loop: Header=BB348_10 Depth=1
	s_or_b32 exec_lo, exec_lo, s4
	s_delay_alu instid0(VALU_DEP_2)
	s_and_saveexec_b32 s0, s3
	s_cbranch_execz .LBB348_26
; %bb.25:                               ;   in Loop: Header=BB348_10 Depth=1
	s_waitcnt lgkmcnt(1)
	v_dual_mov_b32 v28, v32 :: v_dual_mov_b32 v29, v30
	s_waitcnt lgkmcnt(0)
	v_mov_b32_e32 v27, v31
.LBB348_26:                             ;   in Loop: Header=BB348_10 Depth=1
	s_or_b32 exec_lo, exec_lo, s0
	s_waitcnt lgkmcnt(1)
	ds_bpermute_b32 v32, v25, v29
	ds_bpermute_b32 v30, v25, v28
	s_waitcnt lgkmcnt(2)
	ds_bpermute_b32 v31, v25, v27
	s_mov_b32 s4, exec_lo
	s_waitcnt lgkmcnt(2)
	v_cmp_lt_f32_e64 s3, v29, v32
	v_cmpx_nlt_f32_e32 v29, v32
	s_cbranch_execnz .LBB348_30
; %bb.27:                               ;   in Loop: Header=BB348_10 Depth=1
	s_or_b32 exec_lo, exec_lo, s4
	s_delay_alu instid0(VALU_DEP_2)
	s_and_saveexec_b32 s0, s3
	s_cbranch_execnz .LBB348_31
.LBB348_28:                             ;   in Loop: Header=BB348_10 Depth=1
	s_or_b32 exec_lo, exec_lo, s0
	s_and_saveexec_b32 s3, s2
	s_cbranch_execnz .LBB348_32
.LBB348_29:                             ;   in Loop: Header=BB348_10 Depth=1
	s_or_b32 exec_lo, exec_lo, s3
	s_add_i32 s6, s6, 1
	s_delay_alu instid0(SALU_CYCLE_1)
	s_cmp_ge_i32 s6, s8
	s_cbranch_scc1 .LBB348_9
	s_branch .LBB348_33
.LBB348_30:                             ;   in Loop: Header=BB348_10 Depth=1
	v_cmp_eq_f32_e64 s0, v29, v32
	s_waitcnt lgkmcnt(0)
	v_cmp_lt_i32_e64 s1, v31, v27
	s_delay_alu instid0(VALU_DEP_1) | instskip(SKIP_2) | instid1(SALU_CYCLE_1)
	s_and_b32 s0, s0, s1
	s_and_not1_b32 s1, s3, exec_lo
	s_and_b32 s0, s0, exec_lo
	s_or_b32 s3, s1, s0
	s_or_b32 exec_lo, exec_lo, s4
	s_and_saveexec_b32 s0, s3
	s_cbranch_execz .LBB348_28
.LBB348_31:                             ;   in Loop: Header=BB348_10 Depth=1
	s_waitcnt lgkmcnt(0)
	v_dual_mov_b32 v27, v31 :: v_dual_mov_b32 v28, v30
	s_or_b32 exec_lo, exec_lo, s0
	s_and_saveexec_b32 s3, s2
	s_cbranch_execz .LBB348_29
.LBB348_32:                             ;   in Loop: Header=BB348_10 Depth=1
	s_delay_alu instid0(VALU_DEP_1)
	v_dual_add_f32 v36, v20, v28 :: v_dual_add_nc_u32 v29, s6, v19
	v_cmp_le_i32_e64 s0, s9, v27
	v_cmp_gt_i32_e64 s1, s10, v27
	s_waitcnt lgkmcnt(0)
	v_subrev_nc_u32_e32 v31, s9, v27
	v_ashrrev_i32_e32 v30, 31, v29
	v_cndmask_b32_e32 v20, v20, v36, vcc_lo
	s_and_b32 s0, s0, s1
	s_delay_alu instid0(SALU_CYCLE_1) | instskip(NEXT) | instid1(VALU_DEP_2)
	s_and_b32 s0, s19, s0
	v_lshlrev_b64 v[29:30], 2, v[29:30]
	v_cndmask_b32_e64 v35, 0x100, v31, s0
	s_delay_alu instid0(VALU_DEP_2) | instskip(NEXT) | instid1(VALU_DEP_1)
	v_add_co_u32 v31, s0, s16, v29
	v_add_co_ci_u32_e64 v32, s0, s17, v30, s0
	v_add_co_u32 v33, s0, s12, v29
	s_delay_alu instid0(VALU_DEP_1) | instskip(SKIP_1) | instid1(VALU_DEP_1)
	v_add_co_ci_u32_e64 v34, s0, s13, v30, s0
	v_add_co_u32 v29, s0, s14, v29
	v_add_co_ci_u32_e64 v30, s0, s15, v30, s0
	global_store_b32 v[31:32], v28, off
	global_store_b32 v[33:34], v35, off
	;; [unrolled: 1-line block ×3, first 2 shown]
	s_or_b32 exec_lo, exec_lo, s3
	s_add_i32 s6, s6, 1
	s_delay_alu instid0(SALU_CYCLE_1)
	s_cmp_ge_i32 s6, s8
	s_cbranch_scc1 .LBB348_9
.LBB348_33:                             ;   in Loop: Header=BB348_10 Depth=1
	v_ashrrev_i32_e32 v28, 31, v27
	s_mov_b32 s1, exec_lo
	s_delay_alu instid0(VALU_DEP_1) | instskip(NEXT) | instid1(VALU_DEP_1)
	v_lshrrev_b32_e32 v29, 29, v28
	v_add_nc_u32_e32 v29, v27, v29
	s_waitcnt lgkmcnt(1)
	s_delay_alu instid0(VALU_DEP_1) | instskip(SKIP_1) | instid1(VALU_DEP_2)
	v_ashrrev_i32_e32 v30, 31, v29
	v_ashrrev_i32_e32 v29, 3, v29
	v_lshrrev_b32_e32 v30, 27, v30
	s_delay_alu instid0(VALU_DEP_1) | instskip(NEXT) | instid1(VALU_DEP_1)
	v_add_nc_u32_e32 v30, v29, v30
	v_and_b32_e32 v30, 0xffffffe0, v30
	s_delay_alu instid0(VALU_DEP_1) | instskip(NEXT) | instid1(VALU_DEP_1)
	v_sub_nc_u32_e32 v30, v29, v30
	v_cmpx_eq_u32_e64 v17, v30
	s_cbranch_execz .LBB348_8
; %bb.34:                               ;   in Loop: Header=BB348_10 Depth=1
	v_lshrrev_b32_e32 v28, 24, v28
	v_lshlrev_b32_e32 v29, 3, v29
	s_delay_alu instid0(VALU_DEP_2) | instskip(NEXT) | instid1(VALU_DEP_2)
	v_add_nc_u32_e32 v28, v27, v28
	v_sub_nc_u32_e32 v27, v27, v29
	s_delay_alu instid0(VALU_DEP_2) | instskip(NEXT) | instid1(VALU_DEP_1)
	v_ashrrev_i32_e32 v28, 8, v28
	v_lshl_add_u32 v27, v28, 3, v27
	s_delay_alu instid0(VALU_DEP_1) | instskip(NEXT) | instid1(VALU_DEP_1)
	v_cmp_ne_u32_e64 s0, 7, v27
	v_cndmask_b32_e64 v15, 0xc61c4000, v15, s0
	v_cmp_ne_u32_e64 s0, 6, v27
	s_delay_alu instid0(VALU_DEP_1) | instskip(SKIP_1) | instid1(VALU_DEP_1)
	v_cndmask_b32_e64 v14, 0xc61c4000, v14, s0
	v_cmp_ne_u32_e64 s0, 5, v27
	v_cndmask_b32_e64 v13, 0xc61c4000, v13, s0
	v_cmp_ne_u32_e64 s0, 4, v27
	s_delay_alu instid0(VALU_DEP_1) | instskip(SKIP_1) | instid1(VALU_DEP_1)
	v_cndmask_b32_e64 v12, 0xc61c4000, v12, s0
	v_cmp_ne_u32_e64 s0, 3, v27
	v_cndmask_b32_e64 v11, 0xc61c4000, v11, s0
	v_cmp_ne_u32_e64 s0, 2, v27
	s_delay_alu instid0(VALU_DEP_1) | instskip(SKIP_1) | instid1(VALU_DEP_1)
	v_cndmask_b32_e64 v10, 0xc61c4000, v10, s0
	v_cmp_ne_u32_e64 s0, 1, v27
	v_cndmask_b32_e64 v9, 0xc61c4000, v9, s0
	v_cmp_ne_u32_e64 s0, 0, v27
	s_delay_alu instid0(VALU_DEP_1)
	v_cndmask_b32_e64 v8, 0xc61c4000, v8, s0
	s_branch .LBB348_8
.LBB348_35:
                                        ; implicit-def: $vgpr8_vgpr9_vgpr10_vgpr11_vgpr12_vgpr13_vgpr14_vgpr15
	s_and_not1_b32 vcc_lo, exec_lo, s9
	s_cbranch_vccz .LBB348_5
	s_branch .LBB348_6
.LBB348_36:
	v_mov_b32_e32 v20, 0
.LBB348_37:
	v_cmp_eq_u32_e64 s0, 0, v17
	s_delay_alu instid0(VALU_DEP_1) | instskip(NEXT) | instid1(SALU_CYCLE_1)
	s_and_b32 s0, s0, vcc_lo
	s_and_b32 exec_lo, exec_lo, s0
	s_cbranch_execz .LBB348_41
; %bb.38:
	s_and_not1_b32 vcc_lo, exec_lo, s5
	s_cbranch_vccnz .LBB348_41
; %bb.39:
	v_mul_lo_u32 v0, v16, s8
	v_cmp_lt_f32_e32 vcc_lo, 0, v20
	v_cndmask_b32_e32 v2, 1.0, v20, vcc_lo
	s_delay_alu instid0(VALU_DEP_3) | instskip(NEXT) | instid1(VALU_DEP_1)
	v_ashrrev_i32_e32 v1, 31, v0
	v_lshlrev_b64 v[0:1], 2, v[0:1]
	s_delay_alu instid0(VALU_DEP_1) | instskip(NEXT) | instid1(VALU_DEP_2)
	v_add_co_u32 v0, vcc_lo, s16, v0
	v_add_co_ci_u32_e32 v1, vcc_lo, s17, v1, vcc_lo
	.p2align	6
.LBB348_40:                             ; =>This Inner Loop Header: Depth=1
	global_load_b32 v3, v[0:1], off
	s_add_i32 s8, s8, -1
	s_delay_alu instid0(SALU_CYCLE_1) | instskip(SKIP_3) | instid1(VALU_DEP_2)
	s_cmp_lg_u32 s8, 0
	s_waitcnt vmcnt(0)
	v_div_scale_f32 v4, null, v2, v2, v3
	v_div_scale_f32 v7, vcc_lo, v3, v2, v3
	v_rcp_f32_e32 v5, v4
	s_waitcnt_depctr 0xfff
	v_fma_f32 v6, -v4, v5, 1.0
	s_delay_alu instid0(VALU_DEP_1) | instskip(NEXT) | instid1(VALU_DEP_1)
	v_fmac_f32_e32 v5, v6, v5
	v_mul_f32_e32 v6, v7, v5
	s_delay_alu instid0(VALU_DEP_1) | instskip(NEXT) | instid1(VALU_DEP_1)
	v_fma_f32 v8, -v4, v6, v7
	v_fmac_f32_e32 v6, v8, v5
	s_delay_alu instid0(VALU_DEP_1) | instskip(NEXT) | instid1(VALU_DEP_1)
	v_fma_f32 v4, -v4, v6, v7
	v_div_fmas_f32 v4, v4, v5, v6
	s_delay_alu instid0(VALU_DEP_1)
	v_div_fixup_f32 v3, v4, v2, v3
	global_store_b32 v[0:1], v3, off
	v_add_co_u32 v0, vcc_lo, v0, 4
	v_add_co_ci_u32_e32 v1, vcc_lo, 0, v1, vcc_lo
	s_cbranch_scc1 .LBB348_40
.LBB348_41:
	s_nop 0
	s_sendmsg sendmsg(MSG_DEALLOC_VGPRS)
	s_endpgm
	.section	.rodata,"a",@progbits
	.p2align	6, 0x0
	.amdhsa_kernel _ZN4vllm3moe10topkGatingILi8ELi256ELi4ELi16ELi32Ej14__hip_bfloat16LNS0_11ScoringFuncE1EEEvPKT5_PKbPfiPT4_PiiiibPKf
		.amdhsa_group_segment_fixed_size 0
		.amdhsa_private_segment_fixed_size 0
		.amdhsa_kernarg_size 72
		.amdhsa_user_sgpr_count 15
		.amdhsa_user_sgpr_dispatch_ptr 0
		.amdhsa_user_sgpr_queue_ptr 0
		.amdhsa_user_sgpr_kernarg_segment_ptr 1
		.amdhsa_user_sgpr_dispatch_id 0
		.amdhsa_user_sgpr_private_segment_size 0
		.amdhsa_wavefront_size32 1
		.amdhsa_uses_dynamic_stack 0
		.amdhsa_enable_private_segment 0
		.amdhsa_system_sgpr_workgroup_id_x 1
		.amdhsa_system_sgpr_workgroup_id_y 0
		.amdhsa_system_sgpr_workgroup_id_z 0
		.amdhsa_system_sgpr_workgroup_info 0
		.amdhsa_system_vgpr_workitem_id 1
		.amdhsa_next_free_vgpr 51
		.amdhsa_next_free_sgpr 20
		.amdhsa_reserve_vcc 1
		.amdhsa_float_round_mode_32 0
		.amdhsa_float_round_mode_16_64 0
		.amdhsa_float_denorm_mode_32 3
		.amdhsa_float_denorm_mode_16_64 3
		.amdhsa_dx10_clamp 1
		.amdhsa_ieee_mode 1
		.amdhsa_fp16_overflow 0
		.amdhsa_workgroup_processor_mode 1
		.amdhsa_memory_ordered 1
		.amdhsa_forward_progress 0
		.amdhsa_shared_vgpr_count 0
		.amdhsa_exception_fp_ieee_invalid_op 0
		.amdhsa_exception_fp_denorm_src 0
		.amdhsa_exception_fp_ieee_div_zero 0
		.amdhsa_exception_fp_ieee_overflow 0
		.amdhsa_exception_fp_ieee_underflow 0
		.amdhsa_exception_fp_ieee_inexact 0
		.amdhsa_exception_int_div_zero 0
	.end_amdhsa_kernel
	.section	.text._ZN4vllm3moe10topkGatingILi8ELi256ELi4ELi16ELi32Ej14__hip_bfloat16LNS0_11ScoringFuncE1EEEvPKT5_PKbPfiPT4_PiiiibPKf,"axG",@progbits,_ZN4vllm3moe10topkGatingILi8ELi256ELi4ELi16ELi32Ej14__hip_bfloat16LNS0_11ScoringFuncE1EEEvPKT5_PKbPfiPT4_PiiiibPKf,comdat
.Lfunc_end348:
	.size	_ZN4vllm3moe10topkGatingILi8ELi256ELi4ELi16ELi32Ej14__hip_bfloat16LNS0_11ScoringFuncE1EEEvPKT5_PKbPfiPT4_PiiiibPKf, .Lfunc_end348-_ZN4vllm3moe10topkGatingILi8ELi256ELi4ELi16ELi32Ej14__hip_bfloat16LNS0_11ScoringFuncE1EEEvPKT5_PKbPfiPT4_PiiiibPKf
                                        ; -- End function
	.section	.AMDGPU.csdata,"",@progbits
; Kernel info:
; codeLenInByte = 3280
; NumSgprs: 22
; NumVgprs: 51
; ScratchSize: 0
; MemoryBound: 0
; FloatMode: 240
; IeeeMode: 1
; LDSByteSize: 0 bytes/workgroup (compile time only)
; SGPRBlocks: 2
; VGPRBlocks: 6
; NumSGPRsForWavesPerEU: 22
; NumVGPRsForWavesPerEU: 51
; Occupancy: 16
; WaveLimiterHint : 0
; COMPUTE_PGM_RSRC2:SCRATCH_EN: 0
; COMPUTE_PGM_RSRC2:USER_SGPR: 15
; COMPUTE_PGM_RSRC2:TRAP_HANDLER: 0
; COMPUTE_PGM_RSRC2:TGID_X_EN: 1
; COMPUTE_PGM_RSRC2:TGID_Y_EN: 0
; COMPUTE_PGM_RSRC2:TGID_Z_EN: 0
; COMPUTE_PGM_RSRC2:TIDIG_COMP_CNT: 1
	.section	.text._ZN4vllm3moe10topkGatingILi8ELi512ELi4ELi16ELi64Ej14__hip_bfloat16LNS0_11ScoringFuncE1EEEvPKT5_PKbPfiPT4_PiiiibPKf,"axG",@progbits,_ZN4vllm3moe10topkGatingILi8ELi512ELi4ELi16ELi64Ej14__hip_bfloat16LNS0_11ScoringFuncE1EEEvPKT5_PKbPfiPT4_PiiiibPKf,comdat
	.protected	_ZN4vllm3moe10topkGatingILi8ELi512ELi4ELi16ELi64Ej14__hip_bfloat16LNS0_11ScoringFuncE1EEEvPKT5_PKbPfiPT4_PiiiibPKf ; -- Begin function _ZN4vllm3moe10topkGatingILi8ELi512ELi4ELi16ELi64Ej14__hip_bfloat16LNS0_11ScoringFuncE1EEEvPKT5_PKbPfiPT4_PiiiibPKf
	.globl	_ZN4vllm3moe10topkGatingILi8ELi512ELi4ELi16ELi64Ej14__hip_bfloat16LNS0_11ScoringFuncE1EEEvPKT5_PKbPfiPT4_PiiiibPKf
	.p2align	8
	.type	_ZN4vllm3moe10topkGatingILi8ELi512ELi4ELi16ELi64Ej14__hip_bfloat16LNS0_11ScoringFuncE1EEEvPKT5_PKbPfiPT4_PiiiibPKf,@function
_ZN4vllm3moe10topkGatingILi8ELi512ELi4ELi16ELi64Ej14__hip_bfloat16LNS0_11ScoringFuncE1EEEvPKT5_PKbPfiPT4_PiiiibPKf: ; @_ZN4vllm3moe10topkGatingILi8ELi512ELi4ELi16ELi64Ej14__hip_bfloat16LNS0_11ScoringFuncE1EEEvPKT5_PKbPfiPT4_PiiiibPKf
; %bb.0:
	s_load_b32 s18, s[0:1], 0x18
	v_and_b32_e32 v1, 0x3ff, v0
	v_bfe_u32 v0, v0, 10, 10
	s_lshl_b32 s2, s15, 2
	s_delay_alu instid0(VALU_DEP_2) | instskip(NEXT) | instid1(VALU_DEP_1)
	v_lshrrev_b32_e32 v2, 6, v1
	v_add3_u32 v16, s2, v0, v2
	s_mov_b32 s2, exec_lo
	s_waitcnt lgkmcnt(0)
	s_delay_alu instid0(VALU_DEP_1)
	v_cmpx_gt_i32_e64 s18, v16
	s_cbranch_execz .LBB349_45
; %bb.1:
	s_clause 0x1
	s_load_b128 s[4:7], s[0:1], 0x0
	s_load_b64 s[16:17], s[0:1], 0x10
	s_mov_b32 s9, -1
	s_mov_b32 s19, -1
	s_waitcnt lgkmcnt(0)
	s_cmp_eq_u64 s[6:7], 0
	s_cbranch_scc1 .LBB349_3
; %bb.2:
	v_ashrrev_i32_e32 v0, 31, v16
	v_add_co_u32 v2, vcc_lo, s6, v16
	s_delay_alu instid0(VALU_DEP_2) | instskip(SKIP_3) | instid1(VALU_DEP_1)
	v_add_co_ci_u32_e32 v3, vcc_lo, s7, v0, vcc_lo
	global_load_u8 v0, v[2:3], off
	s_waitcnt vmcnt(0)
	v_and_b32_e32 v0, 1, v0
	v_cmp_eq_u32_e32 vcc_lo, 1, v0
	s_xor_b32 s2, vcc_lo, -1
	s_delay_alu instid0(SALU_CYCLE_1)
	s_or_not1_b32 s19, s2, exec_lo
.LBB349_3:
	v_lshlrev_b32_e32 v2, 9, v16
	v_and_b32_e32 v17, 63, v1
	s_load_b64 s[10:11], s[0:1], 0x40
	s_delay_alu instid0(VALU_DEP_2) | instskip(NEXT) | instid1(VALU_DEP_1)
	v_ashrrev_i32_e32 v3, 31, v2
	v_lshlrev_b64 v[0:1], 1, v[2:3]
	s_delay_alu instid0(VALU_DEP_3) | instskip(NEXT) | instid1(VALU_DEP_2)
	v_lshlrev_b32_e32 v2, 4, v17
	v_add_co_u32 v0, vcc_lo, s4, v0
	s_delay_alu instid0(VALU_DEP_3) | instskip(NEXT) | instid1(VALU_DEP_2)
	v_add_co_ci_u32_e32 v1, vcc_lo, s5, v1, vcc_lo
	v_add_co_u32 v0, vcc_lo, v0, v2
	s_delay_alu instid0(VALU_DEP_2)
	v_add_co_ci_u32_e32 v1, vcc_lo, 0, v1, vcc_lo
	s_waitcnt lgkmcnt(0)
	s_cmp_eq_u64 s[10:11], 0
	global_load_b128 v[0:3], v[0:1], off
	s_waitcnt vmcnt(0)
	v_lshlrev_b32_e32 v5, 16, v1
	v_and_b32_e32 v1, 0xffff0000, v1
	v_lshlrev_b32_e32 v4, 16, v0
	v_lshlrev_b32_e32 v7, 16, v3
	s_delay_alu instid0(VALU_DEP_4) | instskip(NEXT) | instid1(VALU_DEP_3)
	v_mul_f32_e32 v5, 0xbfb8aa3b, v5
	v_dual_mul_f32 v1, 0xbfb8aa3b, v1 :: v_dual_mul_f32 v4, 0xbfb8aa3b, v4
	s_delay_alu instid0(VALU_DEP_2) | instskip(SKIP_1) | instid1(VALU_DEP_2)
	v_exp_f32_e32 v5, v5
	v_and_b32_e32 v0, 0xffff0000, v0
	v_exp_f32_e32 v1, v1
	s_delay_alu instid0(VALU_DEP_2)
	v_exp_f32_e32 v4, v4
	s_delay_alu instid0(TRANS32_DEP_3) | instid1(VALU_DEP_1)
	v_dual_add_f32 v5, 1.0, v5 :: v_dual_mul_f32 v0, 0xbfb8aa3b, v0
	s_waitcnt_depctr 0xfff
	v_dual_add_f32 v1, 1.0, v1 :: v_dual_add_f32 v4, 1.0, v4
	v_div_scale_f32 v12, null, v5, v5, 1.0
	v_exp_f32_e32 v0, v0
	v_and_b32_e32 v3, 0xffff0000, v3
	v_div_scale_f32 v13, s3, 1.0, v5, 1.0
	s_delay_alu instid0(VALU_DEP_3)
	v_rcp_f32_e32 v28, v12
	v_div_scale_f32 v14, null, v1, v1, 1.0
	v_div_scale_f32 v15, s4, 1.0, v1, 1.0
	s_waitcnt_depctr 0xfff
	v_add_f32_e32 v0, 1.0, v0
	v_dual_mul_f32 v3, 0xbfb8aa3b, v3 :: v_dual_lshlrev_b32 v6, 16, v2
	v_and_b32_e32 v2, 0xffff0000, v2
	v_fma_f32 v37, -v12, v28, 1.0
	s_delay_alu instid0(VALU_DEP_4) | instskip(NEXT) | instid1(VALU_DEP_4)
	v_div_scale_f32 v10, null, v0, v0, 1.0
	v_dual_mul_f32 v6, 0xbfb8aa3b, v6 :: v_dual_mul_f32 v7, 0xbfb8aa3b, v7
	v_rcp_f32_e32 v29, v14
	v_exp_f32_e32 v3, v3
	s_delay_alu instid0(VALU_DEP_2) | instskip(NEXT) | instid1(VALU_DEP_1)
	v_rcp_f32_e32 v27, v10
	v_exp_f32_e32 v6, v6
	v_exp_f32_e32 v7, v7
	v_mul_f32_e32 v2, 0xbfb8aa3b, v2
	v_lshlrev_b32_e32 v18, 3, v17
	v_div_scale_f32 v11, s2, 1.0, v0, 1.0
	v_fma_f32 v38, -v14, v29, 1.0
	v_add_f32_e32 v9, 1.0, v3
	s_delay_alu instid0(TRANS32_DEP_3) | instskip(NEXT) | instid1(TRANS32_DEP_1)
	v_fma_f32 v36, -v10, v27, 1.0
	v_dual_add_f32 v6, 1.0, v6 :: v_dual_add_f32 v7, 1.0, v7
	v_exp_f32_e32 v2, v2
	s_delay_alu instid0(VALU_DEP_3) | instskip(NEXT) | instid1(VALU_DEP_3)
	v_div_scale_f32 v25, null, v9, v9, 1.0
	v_fmac_f32_e32 v27, v36, v27
	s_delay_alu instid0(VALU_DEP_3) | instskip(SKIP_2) | instid1(VALU_DEP_3)
	v_div_scale_f32 v23, null, v7, v7, 1.0
	v_fmac_f32_e32 v29, v38, v29
	v_div_scale_f32 v19, null, v6, v6, 1.0
	v_rcp_f32_e32 v32, v23
	s_delay_alu instid0(TRANS32_DEP_2) | instskip(SKIP_1) | instid1(VALU_DEP_3)
	v_add_f32_e32 v8, 1.0, v2
	v_div_scale_f32 v2, null, v4, v4, 1.0
	v_rcp_f32_e32 v30, v19
	v_rcp_f32_e32 v33, v25
	s_delay_alu instid0(VALU_DEP_2) | instskip(NEXT) | instid1(VALU_DEP_2)
	v_div_scale_f32 v21, null, v8, v8, 1.0
	v_rcp_f32_e32 v26, v2
	v_div_scale_f32 v3, vcc_lo, 1.0, v4, 1.0
	s_delay_alu instid0(VALU_DEP_2) | instskip(SKIP_3) | instid1(TRANS32_DEP_3)
	v_rcp_f32_e32 v31, v21
	v_fma_f32 v41, -v23, v32, 1.0
	v_div_scale_f32 v20, s5, 1.0, v6, 1.0
	v_fma_f32 v39, -v19, v30, 1.0
	v_fma_f32 v42, -v25, v33, 1.0
	v_fmac_f32_e32 v28, v37, v28
	s_delay_alu instid0(TRANS32_DEP_2) | instskip(SKIP_1) | instid1(VALU_DEP_4)
	v_fma_f32 v35, -v2, v26, 1.0
	v_div_scale_f32 v22, s6, 1.0, v8, 1.0
	v_fmac_f32_e32 v33, v42, v33
	s_delay_alu instid0(TRANS32_DEP_1) | instskip(NEXT) | instid1(VALU_DEP_4)
	v_fma_f32 v40, -v21, v31, 1.0
	v_fmac_f32_e32 v26, v35, v26
	v_dual_fmac_f32 v30, v39, v30 :: v_dual_mul_f32 v37, v13, v28
	v_mul_f32_e32 v36, v11, v27
	s_delay_alu instid0(VALU_DEP_4) | instskip(NEXT) | instid1(VALU_DEP_4)
	v_dual_fmac_f32 v31, v40, v31 :: v_dual_fmac_f32 v32, v41, v32
	v_mul_f32_e32 v35, v3, v26
	v_div_scale_f32 v24, s7, 1.0, v7, 1.0
	v_dual_mul_f32 v38, v15, v29 :: v_dual_mul_f32 v39, v20, v30
	s_delay_alu instid0(VALU_DEP_3) | instskip(NEXT) | instid1(VALU_DEP_3)
	v_fma_f32 v43, -v2, v35, v3
	v_mul_f32_e32 v41, v24, v32
	v_fma_f32 v44, -v10, v36, v11
	v_div_scale_f32 v34, s8, 1.0, v9, 1.0
	v_fma_f32 v45, -v12, v37, v13
	v_dual_mul_f32 v40, v22, v31 :: v_dual_fmac_f32 v35, v43, v26
	v_fma_f32 v46, -v14, v38, v15
	v_fma_f32 v47, -v19, v39, v20
	v_fmac_f32_e32 v36, v44, v27
	v_dual_mul_f32 v42, v34, v33 :: v_dual_fmac_f32 v37, v45, v28
	v_fma_f32 v2, -v2, v35, v3
	v_fma_f32 v49, -v23, v41, v24
	v_dual_fmac_f32 v38, v46, v29 :: v_dual_fmac_f32 v39, v47, v30
	v_fma_f32 v3, -v10, v36, v11
	v_fma_f32 v10, -v12, v37, v13
	s_delay_alu instid0(VALU_DEP_4)
	v_fmac_f32_e32 v41, v49, v32
	v_div_fmas_f32 v2, v2, v26, v35
	s_mov_b32 vcc_lo, s2
	v_fma_f32 v11, -v14, v38, v15
	v_div_fmas_f32 v3, v3, v27, v36
	s_mov_b32 vcc_lo, s3
	v_fma_f32 v48, -v21, v40, v22
	v_div_fmas_f32 v10, v10, v28, v37
	s_mov_b32 vcc_lo, s4
	v_div_fixup_f32 v2, v2, v4, 1.0
	v_div_fmas_f32 v4, v11, v29, v38
	v_fma_f32 v12, -v19, v39, v20
	s_mov_b32 vcc_lo, s5
	v_div_fixup_f32 v5, v10, v5, 1.0
	v_fma_f32 v50, -v25, v42, v34
	v_div_fixup_f32 v4, v4, v1, 1.0
	v_fmac_f32_e32 v40, v48, v31
	v_div_fmas_f32 v11, v12, v30, v39
	s_mov_b32 vcc_lo, s6
	v_fma_f32 v14, -v23, v41, v24
	v_div_fixup_f32 v3, v3, v0, 1.0
	v_fma_f32 v13, -v21, v40, v22
	v_div_fixup_f32 v6, v11, v6, 1.0
	s_delay_alu instid0(VALU_DEP_2)
	v_div_fmas_f32 v10, v13, v31, v40
	v_cmp_class_f32_e64 vcc_lo, v2, 0x1f8
	v_cndmask_b32_e32 v0, 0, v2, vcc_lo
	s_mov_b32 vcc_lo, s7
	v_div_fmas_f32 v12, v14, v32, v41
	v_cmp_class_f32_e64 vcc_lo, v3, 0x1f8
	v_fmac_f32_e32 v42, v50, v33
	s_delay_alu instid0(VALU_DEP_3) | instskip(SKIP_1) | instid1(VALU_DEP_3)
	v_div_fixup_f32 v7, v12, v7, 1.0
	v_cndmask_b32_e32 v1, 0, v3, vcc_lo
	v_fma_f32 v15, -v25, v42, v34
	s_mov_b32 vcc_lo, s8
	s_delay_alu instid0(VALU_DEP_1)
	v_div_fmas_f32 v11, v15, v33, v42
	v_cmp_class_f32_e64 vcc_lo, v5, 0x1f8
	v_cndmask_b32_e32 v2, 0, v5, vcc_lo
	v_cmp_class_f32_e64 vcc_lo, v4, 0x1f8
	v_div_fixup_f32 v5, v10, v8, 1.0
	v_div_fixup_f32 v8, v11, v9, 1.0
	v_cndmask_b32_e32 v3, 0, v4, vcc_lo
	v_cmp_class_f32_e64 vcc_lo, v6, 0x1f8
	v_cndmask_b32_e32 v4, 0, v6, vcc_lo
	v_cmp_class_f32_e64 vcc_lo, v5, 0x1f8
	;; [unrolled: 2-line block ×4, first 2 shown]
	v_cndmask_b32_e32 v7, 0, v8, vcc_lo
	s_cbranch_scc1 .LBB349_39
; %bb.4:
	v_lshlrev_b32_e32 v12, 2, v18
	s_clause 0x1
	global_load_b128 v[8:11], v12, s[10:11]
	global_load_b128 v[12:15], v12, s[10:11] offset:16
	s_waitcnt vmcnt(1)
	v_dual_add_f32 v9, v9, v1 :: v_dual_add_f32 v8, v8, v0
	v_dual_add_f32 v11, v11, v3 :: v_dual_add_f32 v10, v10, v2
	s_waitcnt vmcnt(0)
	v_dual_add_f32 v13, v13, v5 :: v_dual_add_f32 v12, v12, v4
	v_dual_add_f32 v15, v15, v7 :: v_dual_add_f32 v14, v14, v6
	s_cbranch_execnz .LBB349_6
.LBB349_5:
	v_dual_mov_b32 v15, v7 :: v_dual_mov_b32 v14, v6
	v_dual_mov_b32 v13, v5 :: v_dual_mov_b32 v12, v4
	;; [unrolled: 1-line block ×4, first 2 shown]
.LBB349_6:
	s_load_b128 s[8:11], s[0:1], 0x30
	v_cmp_eq_u32_e64 s2, 0, v17
	s_mov_b32 s6, 0
	s_waitcnt lgkmcnt(0)
	s_bitcmp1_b32 s11, 0
	s_cselect_b32 vcc_lo, -1, 0
	s_cmp_gt_i32 s8, 0
	s_cselect_b32 s5, -1, 0
	s_cmp_lt_i32 s8, 1
	s_cbranch_scc1 .LBB349_40
; %bb.7:
	v_mbcnt_lo_u32_b32 v20, -1, 0
	s_load_b128 s[12:15], s[0:1], 0x20
	v_mul_lo_u32 v19, v16, s8
	v_mov_b32_e32 v27, v16
	s_delay_alu instid0(VALU_DEP_3)
	v_or_b32_e32 v21, 32, v20
	v_xor_b32_e32 v22, 16, v20
	v_xor_b32_e32 v23, 8, v20
	;; [unrolled: 1-line block ×4, first 2 shown]
	v_cmp_gt_i32_e64 s0, 64, v21
	v_xor_b32_e32 v26, 1, v20
	s_delay_alu instid0(VALU_DEP_2) | instskip(SKIP_1) | instid1(VALU_DEP_2)
	v_cndmask_b32_e64 v21, v20, v21, s0
	v_cmp_gt_i32_e64 s0, 64, v22
	v_lshlrev_b32_e32 v21, 2, v21
	s_delay_alu instid0(VALU_DEP_2) | instskip(SKIP_1) | instid1(VALU_DEP_2)
	v_cndmask_b32_e64 v22, v20, v22, s0
	v_cmp_gt_i32_e64 s0, 64, v23
	v_lshlrev_b32_e32 v22, 2, v22
	;; [unrolled: 4-line block ×5, first 2 shown]
	s_delay_alu instid0(VALU_DEP_2) | instskip(NEXT) | instid1(VALU_DEP_1)
	v_cndmask_b32_e64 v20, v20, v26, s0
	v_lshlrev_b32_e32 v26, 2, v20
	v_mov_b32_e32 v20, 0
	s_branch .LBB349_10
.LBB349_8:                              ;   in Loop: Header=BB349_10 Depth=1
	s_or_b32 exec_lo, exec_lo, s1
.LBB349_9:                              ;   in Loop: Header=BB349_10 Depth=1
	v_add_nc_u32_e32 v27, s18, v27
	s_cmp_eq_u32 s8, s6
	s_cbranch_scc1 .LBB349_41
.LBB349_10:                             ; =>This Inner Loop Header: Depth=1
	v_cmp_gt_f32_e64 s0, v9, v8
	s_delay_alu instid0(VALU_DEP_1) | instskip(SKIP_2) | instid1(VALU_DEP_3)
	v_cndmask_b32_e64 v29, v8, v9, s0
	v_cndmask_b32_e64 v28, 0, 1, s0
	;; [unrolled: 1-line block ×3, first 2 shown]
	v_cmp_gt_f32_e64 s1, v10, v29
	s_delay_alu instid0(VALU_DEP_1) | instskip(NEXT) | instid1(VALU_DEP_4)
	v_cndmask_b32_e64 v29, v29, v10, s1
	v_cndmask_b32_e64 v28, v28, 2, s1
	s_delay_alu instid0(VALU_DEP_4) | instskip(NEXT) | instid1(VALU_DEP_3)
	v_cndmask_b32_e64 v30, v30, v2, s1
	v_cmp_gt_f32_e64 s3, v11, v29
	s_delay_alu instid0(VALU_DEP_1) | instskip(NEXT) | instid1(VALU_DEP_4)
	v_cndmask_b32_e64 v29, v29, v11, s3
	v_cndmask_b32_e64 v28, v28, 3, s3
	s_delay_alu instid0(VALU_DEP_4) | instskip(NEXT) | instid1(VALU_DEP_3)
	v_cndmask_b32_e64 v30, v30, v3, s3
	v_cmp_gt_f32_e64 s4, v12, v29
	s_delay_alu instid0(VALU_DEP_1) | instskip(NEXT) | instid1(VALU_DEP_4)
	v_cndmask_b32_e64 v29, v29, v12, s4
	v_cndmask_b32_e64 v28, v28, 4, s4
	s_delay_alu instid0(VALU_DEP_4) | instskip(SKIP_1) | instid1(VALU_DEP_3)
	v_cndmask_b32_e64 v30, v30, v4, s4
	s_mov_b32 s4, exec_lo
	v_cmp_gt_f32_e64 s0, v13, v29
	s_delay_alu instid0(VALU_DEP_1) | instskip(SKIP_2) | instid1(VALU_DEP_3)
	v_cndmask_b32_e64 v29, v29, v13, s0
	v_cndmask_b32_e64 v28, v28, 5, s0
	;; [unrolled: 1-line block ×3, first 2 shown]
	v_cmp_gt_f32_e64 s1, v14, v29
	s_delay_alu instid0(VALU_DEP_1) | instskip(NEXT) | instid1(VALU_DEP_4)
	v_cndmask_b32_e64 v29, v29, v14, s1
	v_cndmask_b32_e64 v28, v28, 6, s1
	s_waitcnt lgkmcnt(0)
	v_cndmask_b32_e64 v31, v30, v6, s1
	s_delay_alu instid0(VALU_DEP_3) | instskip(NEXT) | instid1(VALU_DEP_1)
	v_cmp_gt_f32_e64 s0, v15, v29
	v_cndmask_b32_e64 v28, v28, 7, s0
	v_cndmask_b32_e64 v30, v29, v15, s0
	s_delay_alu instid0(VALU_DEP_4) | instskip(NEXT) | instid1(VALU_DEP_3)
	v_cndmask_b32_e64 v29, v31, v7, s0
	v_or_b32_e32 v28, v18, v28
	ds_bpermute_b32 v31, v21, v30
	ds_bpermute_b32 v33, v21, v29
	;; [unrolled: 1-line block ×3, first 2 shown]
	s_waitcnt lgkmcnt(0)
	v_cmp_lt_f32_e64 s3, v30, v31
	v_cmpx_nlt_f32_e32 v30, v31
; %bb.11:                               ;   in Loop: Header=BB349_10 Depth=1
	v_cmp_eq_f32_e64 s0, v30, v31
	v_cmp_lt_i32_e64 s1, v32, v28
	s_delay_alu instid0(VALU_DEP_1) | instskip(SKIP_2) | instid1(SALU_CYCLE_1)
	s_and_b32 s0, s0, s1
	s_and_not1_b32 s1, s3, exec_lo
	s_and_b32 s0, s0, exec_lo
	s_or_b32 s3, s1, s0
; %bb.12:                               ;   in Loop: Header=BB349_10 Depth=1
	s_or_b32 exec_lo, exec_lo, s4
	s_and_saveexec_b32 s0, s3
; %bb.13:                               ;   in Loop: Header=BB349_10 Depth=1
	v_dual_mov_b32 v29, v33 :: v_dual_mov_b32 v30, v31
	v_mov_b32_e32 v28, v32
; %bb.14:                               ;   in Loop: Header=BB349_10 Depth=1
	s_or_b32 exec_lo, exec_lo, s0
	ds_bpermute_b32 v31, v22, v30
	ds_bpermute_b32 v33, v22, v29
	ds_bpermute_b32 v32, v22, v28
	s_mov_b32 s4, exec_lo
	s_waitcnt lgkmcnt(2)
	v_cmp_lt_f32_e64 s3, v30, v31
	v_cmpx_nlt_f32_e32 v30, v31
	s_cbranch_execz .LBB349_16
; %bb.15:                               ;   in Loop: Header=BB349_10 Depth=1
	v_cmp_eq_f32_e64 s0, v30, v31
	s_waitcnt lgkmcnt(0)
	v_cmp_lt_i32_e64 s1, v32, v28
	s_delay_alu instid0(VALU_DEP_1) | instskip(SKIP_2) | instid1(SALU_CYCLE_1)
	s_and_b32 s0, s0, s1
	s_and_not1_b32 s1, s3, exec_lo
	s_and_b32 s0, s0, exec_lo
	s_or_b32 s3, s1, s0
.LBB349_16:                             ;   in Loop: Header=BB349_10 Depth=1
	s_or_b32 exec_lo, exec_lo, s4
	s_delay_alu instid0(VALU_DEP_2)
	s_and_saveexec_b32 s0, s3
	s_cbranch_execz .LBB349_18
; %bb.17:                               ;   in Loop: Header=BB349_10 Depth=1
	s_waitcnt lgkmcnt(1)
	v_dual_mov_b32 v29, v33 :: v_dual_mov_b32 v30, v31
	s_waitcnt lgkmcnt(0)
	v_mov_b32_e32 v28, v32
.LBB349_18:                             ;   in Loop: Header=BB349_10 Depth=1
	s_or_b32 exec_lo, exec_lo, s0
	ds_bpermute_b32 v31, v23, v30
	s_waitcnt lgkmcnt(2)
	ds_bpermute_b32 v33, v23, v29
	s_waitcnt lgkmcnt(2)
	ds_bpermute_b32 v32, v23, v28
	s_mov_b32 s4, exec_lo
	s_waitcnt lgkmcnt(2)
	v_cmp_lt_f32_e64 s3, v30, v31
	v_cmpx_nlt_f32_e32 v30, v31
	s_cbranch_execz .LBB349_20
; %bb.19:                               ;   in Loop: Header=BB349_10 Depth=1
	v_cmp_eq_f32_e64 s0, v30, v31
	s_waitcnt lgkmcnt(0)
	v_cmp_lt_i32_e64 s1, v32, v28
	s_delay_alu instid0(VALU_DEP_1) | instskip(SKIP_2) | instid1(SALU_CYCLE_1)
	s_and_b32 s0, s0, s1
	s_and_not1_b32 s1, s3, exec_lo
	s_and_b32 s0, s0, exec_lo
	s_or_b32 s3, s1, s0
.LBB349_20:                             ;   in Loop: Header=BB349_10 Depth=1
	s_or_b32 exec_lo, exec_lo, s4
	s_delay_alu instid0(VALU_DEP_2)
	s_and_saveexec_b32 s0, s3
	s_cbranch_execz .LBB349_22
; %bb.21:                               ;   in Loop: Header=BB349_10 Depth=1
	s_waitcnt lgkmcnt(1)
	v_dual_mov_b32 v29, v33 :: v_dual_mov_b32 v30, v31
	s_waitcnt lgkmcnt(0)
	v_mov_b32_e32 v28, v32
.LBB349_22:                             ;   in Loop: Header=BB349_10 Depth=1
	s_or_b32 exec_lo, exec_lo, s0
	ds_bpermute_b32 v31, v24, v30
	s_waitcnt lgkmcnt(2)
	ds_bpermute_b32 v33, v24, v29
	s_waitcnt lgkmcnt(2)
	ds_bpermute_b32 v32, v24, v28
	;; [unrolled: 31-line block ×3, first 2 shown]
	s_mov_b32 s4, exec_lo
	s_waitcnt lgkmcnt(2)
	v_cmp_lt_f32_e64 s3, v30, v31
	v_cmpx_nlt_f32_e32 v30, v31
	s_cbranch_execz .LBB349_28
; %bb.27:                               ;   in Loop: Header=BB349_10 Depth=1
	v_cmp_eq_f32_e64 s0, v30, v31
	s_waitcnt lgkmcnt(0)
	v_cmp_lt_i32_e64 s1, v32, v28
	s_delay_alu instid0(VALU_DEP_1) | instskip(SKIP_2) | instid1(SALU_CYCLE_1)
	s_and_b32 s0, s0, s1
	s_and_not1_b32 s1, s3, exec_lo
	s_and_b32 s0, s0, exec_lo
	s_or_b32 s3, s1, s0
.LBB349_28:                             ;   in Loop: Header=BB349_10 Depth=1
	s_or_b32 exec_lo, exec_lo, s4
	s_delay_alu instid0(VALU_DEP_2)
	s_and_saveexec_b32 s0, s3
	s_cbranch_execz .LBB349_30
; %bb.29:                               ;   in Loop: Header=BB349_10 Depth=1
	s_waitcnt lgkmcnt(1)
	v_dual_mov_b32 v29, v33 :: v_dual_mov_b32 v30, v31
	s_waitcnt lgkmcnt(0)
	v_mov_b32_e32 v28, v32
.LBB349_30:                             ;   in Loop: Header=BB349_10 Depth=1
	s_or_b32 exec_lo, exec_lo, s0
	s_waitcnt lgkmcnt(1)
	ds_bpermute_b32 v33, v26, v30
	ds_bpermute_b32 v31, v26, v29
	s_waitcnt lgkmcnt(2)
	ds_bpermute_b32 v32, v26, v28
	s_mov_b32 s4, exec_lo
	s_waitcnt lgkmcnt(2)
	v_cmp_lt_f32_e64 s3, v30, v33
	v_cmpx_nlt_f32_e32 v30, v33
	s_cbranch_execnz .LBB349_34
; %bb.31:                               ;   in Loop: Header=BB349_10 Depth=1
	s_or_b32 exec_lo, exec_lo, s4
	s_delay_alu instid0(VALU_DEP_2)
	s_and_saveexec_b32 s0, s3
	s_cbranch_execnz .LBB349_35
.LBB349_32:                             ;   in Loop: Header=BB349_10 Depth=1
	s_or_b32 exec_lo, exec_lo, s0
	s_and_saveexec_b32 s3, s2
	s_cbranch_execnz .LBB349_36
.LBB349_33:                             ;   in Loop: Header=BB349_10 Depth=1
	s_or_b32 exec_lo, exec_lo, s3
	s_add_i32 s6, s6, 1
	s_delay_alu instid0(SALU_CYCLE_1)
	s_cmp_ge_i32 s6, s8
	s_cbranch_scc1 .LBB349_9
	s_branch .LBB349_37
.LBB349_34:                             ;   in Loop: Header=BB349_10 Depth=1
	v_cmp_eq_f32_e64 s0, v30, v33
	s_waitcnt lgkmcnt(0)
	v_cmp_lt_i32_e64 s1, v32, v28
	s_delay_alu instid0(VALU_DEP_1) | instskip(SKIP_2) | instid1(SALU_CYCLE_1)
	s_and_b32 s0, s0, s1
	s_and_not1_b32 s1, s3, exec_lo
	s_and_b32 s0, s0, exec_lo
	s_or_b32 s3, s1, s0
	s_or_b32 exec_lo, exec_lo, s4
	s_and_saveexec_b32 s0, s3
	s_cbranch_execz .LBB349_32
.LBB349_35:                             ;   in Loop: Header=BB349_10 Depth=1
	s_waitcnt lgkmcnt(0)
	v_dual_mov_b32 v28, v32 :: v_dual_mov_b32 v29, v31
	s_or_b32 exec_lo, exec_lo, s0
	s_and_saveexec_b32 s3, s2
	s_cbranch_execz .LBB349_33
.LBB349_36:                             ;   in Loop: Header=BB349_10 Depth=1
	s_delay_alu instid0(VALU_DEP_1)
	v_dual_add_f32 v37, v20, v29 :: v_dual_add_nc_u32 v30, s6, v19
	v_cmp_le_i32_e64 s0, s9, v28
	v_cmp_gt_i32_e64 s1, s10, v28
	s_waitcnt lgkmcnt(0)
	v_subrev_nc_u32_e32 v32, s9, v28
	v_ashrrev_i32_e32 v31, 31, v30
	v_cndmask_b32_e32 v20, v20, v37, vcc_lo
	s_and_b32 s0, s0, s1
	s_delay_alu instid0(SALU_CYCLE_1) | instskip(NEXT) | instid1(VALU_DEP_2)
	s_and_b32 s0, s19, s0
	v_lshlrev_b64 v[30:31], 2, v[30:31]
	v_cndmask_b32_e64 v36, 0x200, v32, s0
	s_delay_alu instid0(VALU_DEP_2) | instskip(NEXT) | instid1(VALU_DEP_1)
	v_add_co_u32 v32, s0, s16, v30
	v_add_co_ci_u32_e64 v33, s0, s17, v31, s0
	v_add_co_u32 v34, s0, s12, v30
	s_delay_alu instid0(VALU_DEP_1) | instskip(SKIP_1) | instid1(VALU_DEP_1)
	v_add_co_ci_u32_e64 v35, s0, s13, v31, s0
	v_add_co_u32 v30, s0, s14, v30
	v_add_co_ci_u32_e64 v31, s0, s15, v31, s0
	global_store_b32 v[32:33], v29, off
	global_store_b32 v[34:35], v36, off
	global_store_b32 v[30:31], v27, off
	s_or_b32 exec_lo, exec_lo, s3
	s_add_i32 s6, s6, 1
	s_delay_alu instid0(SALU_CYCLE_1)
	s_cmp_ge_i32 s6, s8
	s_cbranch_scc1 .LBB349_9
.LBB349_37:                             ;   in Loop: Header=BB349_10 Depth=1
	v_ashrrev_i32_e32 v29, 31, v28
	s_mov_b32 s1, exec_lo
	s_delay_alu instid0(VALU_DEP_1) | instskip(NEXT) | instid1(VALU_DEP_1)
	v_lshrrev_b32_e32 v30, 29, v29
	v_add_nc_u32_e32 v30, v28, v30
	s_waitcnt lgkmcnt(1)
	s_delay_alu instid0(VALU_DEP_1) | instskip(SKIP_1) | instid1(VALU_DEP_2)
	v_ashrrev_i32_e32 v31, 31, v30
	v_ashrrev_i32_e32 v30, 3, v30
	v_lshrrev_b32_e32 v31, 26, v31
	s_delay_alu instid0(VALU_DEP_1) | instskip(NEXT) | instid1(VALU_DEP_1)
	v_add_nc_u32_e32 v31, v30, v31
	v_and_b32_e32 v31, 0xffffffc0, v31
	s_delay_alu instid0(VALU_DEP_1) | instskip(NEXT) | instid1(VALU_DEP_1)
	v_sub_nc_u32_e32 v31, v30, v31
	v_cmpx_eq_u32_e64 v17, v31
	s_cbranch_execz .LBB349_8
; %bb.38:                               ;   in Loop: Header=BB349_10 Depth=1
	v_lshrrev_b32_e32 v29, 23, v29
	v_lshlrev_b32_e32 v30, 3, v30
	s_delay_alu instid0(VALU_DEP_2) | instskip(NEXT) | instid1(VALU_DEP_2)
	v_add_nc_u32_e32 v29, v28, v29
	v_sub_nc_u32_e32 v28, v28, v30
	s_delay_alu instid0(VALU_DEP_2) | instskip(NEXT) | instid1(VALU_DEP_1)
	v_ashrrev_i32_e32 v29, 9, v29
	v_lshl_add_u32 v28, v29, 3, v28
	s_delay_alu instid0(VALU_DEP_1) | instskip(NEXT) | instid1(VALU_DEP_1)
	v_cmp_ne_u32_e64 s0, 7, v28
	v_cndmask_b32_e64 v15, 0xc61c4000, v15, s0
	v_cmp_ne_u32_e64 s0, 6, v28
	s_delay_alu instid0(VALU_DEP_1) | instskip(SKIP_1) | instid1(VALU_DEP_1)
	v_cndmask_b32_e64 v14, 0xc61c4000, v14, s0
	v_cmp_ne_u32_e64 s0, 5, v28
	v_cndmask_b32_e64 v13, 0xc61c4000, v13, s0
	v_cmp_ne_u32_e64 s0, 4, v28
	s_delay_alu instid0(VALU_DEP_1) | instskip(SKIP_1) | instid1(VALU_DEP_1)
	v_cndmask_b32_e64 v12, 0xc61c4000, v12, s0
	;; [unrolled: 5-line block ×3, first 2 shown]
	v_cmp_ne_u32_e64 s0, 1, v28
	v_cndmask_b32_e64 v9, 0xc61c4000, v9, s0
	v_cmp_ne_u32_e64 s0, 0, v28
	s_delay_alu instid0(VALU_DEP_1)
	v_cndmask_b32_e64 v8, 0xc61c4000, v8, s0
	s_branch .LBB349_8
.LBB349_39:
                                        ; implicit-def: $vgpr8_vgpr9_vgpr10_vgpr11_vgpr12_vgpr13_vgpr14_vgpr15
	s_and_not1_b32 vcc_lo, exec_lo, s9
	s_cbranch_vccz .LBB349_5
	s_branch .LBB349_6
.LBB349_40:
	v_mov_b32_e32 v20, 0
.LBB349_41:
	v_cmp_eq_u32_e64 s0, 0, v17
	s_delay_alu instid0(VALU_DEP_1) | instskip(NEXT) | instid1(SALU_CYCLE_1)
	s_and_b32 s0, s0, vcc_lo
	s_and_b32 exec_lo, exec_lo, s0
	s_cbranch_execz .LBB349_45
; %bb.42:
	s_and_not1_b32 vcc_lo, exec_lo, s5
	s_cbranch_vccnz .LBB349_45
; %bb.43:
	v_mul_lo_u32 v0, v16, s8
	v_cmp_lt_f32_e32 vcc_lo, 0, v20
	v_cndmask_b32_e32 v2, 1.0, v20, vcc_lo
	s_delay_alu instid0(VALU_DEP_3) | instskip(NEXT) | instid1(VALU_DEP_1)
	v_ashrrev_i32_e32 v1, 31, v0
	v_lshlrev_b64 v[0:1], 2, v[0:1]
	s_delay_alu instid0(VALU_DEP_1) | instskip(NEXT) | instid1(VALU_DEP_2)
	v_add_co_u32 v0, vcc_lo, s16, v0
	v_add_co_ci_u32_e32 v1, vcc_lo, s17, v1, vcc_lo
	.p2align	6
.LBB349_44:                             ; =>This Inner Loop Header: Depth=1
	global_load_b32 v3, v[0:1], off
	s_add_i32 s8, s8, -1
	s_delay_alu instid0(SALU_CYCLE_1) | instskip(SKIP_3) | instid1(VALU_DEP_2)
	s_cmp_lg_u32 s8, 0
	s_waitcnt vmcnt(0)
	v_div_scale_f32 v4, null, v2, v2, v3
	v_div_scale_f32 v7, vcc_lo, v3, v2, v3
	v_rcp_f32_e32 v5, v4
	s_waitcnt_depctr 0xfff
	v_fma_f32 v6, -v4, v5, 1.0
	s_delay_alu instid0(VALU_DEP_1) | instskip(NEXT) | instid1(VALU_DEP_1)
	v_fmac_f32_e32 v5, v6, v5
	v_mul_f32_e32 v6, v7, v5
	s_delay_alu instid0(VALU_DEP_1) | instskip(NEXT) | instid1(VALU_DEP_1)
	v_fma_f32 v8, -v4, v6, v7
	v_fmac_f32_e32 v6, v8, v5
	s_delay_alu instid0(VALU_DEP_1) | instskip(NEXT) | instid1(VALU_DEP_1)
	v_fma_f32 v4, -v4, v6, v7
	v_div_fmas_f32 v4, v4, v5, v6
	s_delay_alu instid0(VALU_DEP_1)
	v_div_fixup_f32 v3, v4, v2, v3
	global_store_b32 v[0:1], v3, off
	v_add_co_u32 v0, vcc_lo, v0, 4
	v_add_co_ci_u32_e32 v1, vcc_lo, 0, v1, vcc_lo
	s_cbranch_scc1 .LBB349_44
.LBB349_45:
	s_nop 0
	s_sendmsg sendmsg(MSG_DEALLOC_VGPRS)
	s_endpgm
	.section	.rodata,"a",@progbits
	.p2align	6, 0x0
	.amdhsa_kernel _ZN4vllm3moe10topkGatingILi8ELi512ELi4ELi16ELi64Ej14__hip_bfloat16LNS0_11ScoringFuncE1EEEvPKT5_PKbPfiPT4_PiiiibPKf
		.amdhsa_group_segment_fixed_size 0
		.amdhsa_private_segment_fixed_size 0
		.amdhsa_kernarg_size 72
		.amdhsa_user_sgpr_count 15
		.amdhsa_user_sgpr_dispatch_ptr 0
		.amdhsa_user_sgpr_queue_ptr 0
		.amdhsa_user_sgpr_kernarg_segment_ptr 1
		.amdhsa_user_sgpr_dispatch_id 0
		.amdhsa_user_sgpr_private_segment_size 0
		.amdhsa_wavefront_size32 1
		.amdhsa_uses_dynamic_stack 0
		.amdhsa_enable_private_segment 0
		.amdhsa_system_sgpr_workgroup_id_x 1
		.amdhsa_system_sgpr_workgroup_id_y 0
		.amdhsa_system_sgpr_workgroup_id_z 0
		.amdhsa_system_sgpr_workgroup_info 0
		.amdhsa_system_vgpr_workitem_id 1
		.amdhsa_next_free_vgpr 51
		.amdhsa_next_free_sgpr 20
		.amdhsa_reserve_vcc 1
		.amdhsa_float_round_mode_32 0
		.amdhsa_float_round_mode_16_64 0
		.amdhsa_float_denorm_mode_32 3
		.amdhsa_float_denorm_mode_16_64 3
		.amdhsa_dx10_clamp 1
		.amdhsa_ieee_mode 1
		.amdhsa_fp16_overflow 0
		.amdhsa_workgroup_processor_mode 1
		.amdhsa_memory_ordered 1
		.amdhsa_forward_progress 0
		.amdhsa_shared_vgpr_count 0
		.amdhsa_exception_fp_ieee_invalid_op 0
		.amdhsa_exception_fp_denorm_src 0
		.amdhsa_exception_fp_ieee_div_zero 0
		.amdhsa_exception_fp_ieee_overflow 0
		.amdhsa_exception_fp_ieee_underflow 0
		.amdhsa_exception_fp_ieee_inexact 0
		.amdhsa_exception_int_div_zero 0
	.end_amdhsa_kernel
	.section	.text._ZN4vllm3moe10topkGatingILi8ELi512ELi4ELi16ELi64Ej14__hip_bfloat16LNS0_11ScoringFuncE1EEEvPKT5_PKbPfiPT4_PiiiibPKf,"axG",@progbits,_ZN4vllm3moe10topkGatingILi8ELi512ELi4ELi16ELi64Ej14__hip_bfloat16LNS0_11ScoringFuncE1EEEvPKT5_PKbPfiPT4_PiiiibPKf,comdat
.Lfunc_end349:
	.size	_ZN4vllm3moe10topkGatingILi8ELi512ELi4ELi16ELi64Ej14__hip_bfloat16LNS0_11ScoringFuncE1EEEvPKT5_PKbPfiPT4_PiiiibPKf, .Lfunc_end349-_ZN4vllm3moe10topkGatingILi8ELi512ELi4ELi16ELi64Ej14__hip_bfloat16LNS0_11ScoringFuncE1EEEvPKT5_PKbPfiPT4_PiiiibPKf
                                        ; -- End function
	.section	.AMDGPU.csdata,"",@progbits
; Kernel info:
; codeLenInByte = 3444
; NumSgprs: 22
; NumVgprs: 51
; ScratchSize: 0
; MemoryBound: 0
; FloatMode: 240
; IeeeMode: 1
; LDSByteSize: 0 bytes/workgroup (compile time only)
; SGPRBlocks: 2
; VGPRBlocks: 6
; NumSGPRsForWavesPerEU: 22
; NumVGPRsForWavesPerEU: 51
; Occupancy: 16
; WaveLimiterHint : 0
; COMPUTE_PGM_RSRC2:SCRATCH_EN: 0
; COMPUTE_PGM_RSRC2:USER_SGPR: 15
; COMPUTE_PGM_RSRC2:TRAP_HANDLER: 0
; COMPUTE_PGM_RSRC2:TGID_X_EN: 1
; COMPUTE_PGM_RSRC2:TGID_Y_EN: 0
; COMPUTE_PGM_RSRC2:TGID_Z_EN: 0
; COMPUTE_PGM_RSRC2:TIDIG_COMP_CNT: 1
	.section	.text._ZN4vllm3moe10topkGatingILi16ELi512ELi4ELi16ELi32Ej14__hip_bfloat16LNS0_11ScoringFuncE1EEEvPKT5_PKbPfiPT4_PiiiibPKf,"axG",@progbits,_ZN4vllm3moe10topkGatingILi16ELi512ELi4ELi16ELi32Ej14__hip_bfloat16LNS0_11ScoringFuncE1EEEvPKT5_PKbPfiPT4_PiiiibPKf,comdat
	.protected	_ZN4vllm3moe10topkGatingILi16ELi512ELi4ELi16ELi32Ej14__hip_bfloat16LNS0_11ScoringFuncE1EEEvPKT5_PKbPfiPT4_PiiiibPKf ; -- Begin function _ZN4vllm3moe10topkGatingILi16ELi512ELi4ELi16ELi32Ej14__hip_bfloat16LNS0_11ScoringFuncE1EEEvPKT5_PKbPfiPT4_PiiiibPKf
	.globl	_ZN4vllm3moe10topkGatingILi16ELi512ELi4ELi16ELi32Ej14__hip_bfloat16LNS0_11ScoringFuncE1EEEvPKT5_PKbPfiPT4_PiiiibPKf
	.p2align	8
	.type	_ZN4vllm3moe10topkGatingILi16ELi512ELi4ELi16ELi32Ej14__hip_bfloat16LNS0_11ScoringFuncE1EEEvPKT5_PKbPfiPT4_PiiiibPKf,@function
_ZN4vllm3moe10topkGatingILi16ELi512ELi4ELi16ELi32Ej14__hip_bfloat16LNS0_11ScoringFuncE1EEEvPKT5_PKbPfiPT4_PiiiibPKf: ; @_ZN4vllm3moe10topkGatingILi16ELi512ELi4ELi16ELi32Ej14__hip_bfloat16LNS0_11ScoringFuncE1EEEvPKT5_PKbPfiPT4_PiiiibPKf
; %bb.0:
	s_load_b32 s22, s[0:1], 0x18
	v_and_b32_e32 v1, 0x3ff, v0
	v_bfe_u32 v0, v0, 10, 10
	s_lshl_b32 s2, s15, 2
	s_delay_alu instid0(VALU_DEP_2) | instskip(NEXT) | instid1(VALU_DEP_1)
	v_lshrrev_b32_e32 v2, 5, v1
	v_add3_u32 v32, s2, v0, v2
	s_mov_b32 s2, exec_lo
	s_waitcnt lgkmcnt(0)
	s_delay_alu instid0(VALU_DEP_1)
	v_cmpx_gt_i32_e64 s22, v32
	s_cbranch_execz .LBB350_41
; %bb.1:
	s_clause 0x1
	s_load_b128 s[4:7], s[0:1], 0x0
	s_load_b64 s[20:21], s[0:1], 0x10
	s_mov_b32 s17, -1
	s_mov_b32 s23, -1
	s_waitcnt lgkmcnt(0)
	s_cmp_eq_u64 s[6:7], 0
	s_cbranch_scc1 .LBB350_3
; %bb.2:
	v_ashrrev_i32_e32 v0, 31, v32
	v_add_co_u32 v2, vcc_lo, s6, v32
	s_delay_alu instid0(VALU_DEP_2) | instskip(SKIP_3) | instid1(VALU_DEP_1)
	v_add_co_ci_u32_e32 v3, vcc_lo, s7, v0, vcc_lo
	global_load_u8 v0, v[2:3], off
	s_waitcnt vmcnt(0)
	v_and_b32_e32 v0, 1, v0
	v_cmp_eq_u32_e32 vcc_lo, 1, v0
	s_xor_b32 s2, vcc_lo, -1
	s_delay_alu instid0(SALU_CYCLE_1)
	s_or_not1_b32 s23, s2, exec_lo
.LBB350_3:
	v_lshlrev_b32_e32 v2, 9, v32
	v_and_b32_e32 v33, 31, v1
	s_load_b64 s[18:19], s[0:1], 0x40
	s_delay_alu instid0(VALU_DEP_2) | instskip(NEXT) | instid1(VALU_DEP_1)
	v_ashrrev_i32_e32 v3, 31, v2
	v_lshlrev_b64 v[0:1], 1, v[2:3]
	s_delay_alu instid0(VALU_DEP_3) | instskip(NEXT) | instid1(VALU_DEP_2)
	v_lshlrev_b32_e32 v2, 4, v33
	v_add_co_u32 v0, vcc_lo, s4, v0
	s_delay_alu instid0(VALU_DEP_3) | instskip(NEXT) | instid1(VALU_DEP_2)
	v_add_co_ci_u32_e32 v1, vcc_lo, s5, v1, vcc_lo
	v_add_co_u32 v4, vcc_lo, v0, v2
	s_delay_alu instid0(VALU_DEP_2)
	v_add_co_ci_u32_e32 v5, vcc_lo, 0, v1, vcc_lo
	s_waitcnt lgkmcnt(0)
	s_cmp_eq_u64 s[18:19], 0
	s_clause 0x1
	global_load_b128 v[0:3], v[4:5], off
	global_load_b128 v[4:7], v[4:5], off offset:512
	s_waitcnt vmcnt(1)
	v_lshlrev_b32_e32 v9, 16, v1
	v_and_b32_e32 v1, 0xffff0000, v1
	v_lshlrev_b32_e32 v8, 16, v0
	s_waitcnt vmcnt(0)
	v_lshlrev_b32_e32 v13, 16, v5
	v_dual_mul_f32 v9, 0xbfb8aa3b, v9 :: v_dual_lshlrev_b32 v10, 16, v2
	s_delay_alu instid0(VALU_DEP_3) | instskip(NEXT) | instid1(VALU_DEP_2)
	v_dual_mul_f32 v1, 0xbfb8aa3b, v1 :: v_dual_mul_f32 v8, 0xbfb8aa3b, v8
	v_exp_f32_e32 v9, v9
	v_and_b32_e32 v0, 0xffff0000, v0
	s_delay_alu instid0(VALU_DEP_2)
	v_exp_f32_e32 v1, v1
	v_and_b32_e32 v2, 0xffff0000, v2
	v_exp_f32_e32 v8, v8
	s_delay_alu instid0(TRANS32_DEP_3) | instid1(VALU_DEP_2)
	v_dual_add_f32 v9, 1.0, v9 :: v_dual_mul_f32 v0, 0xbfb8aa3b, v0
	s_waitcnt_depctr 0xfff
	v_dual_add_f32 v1, 1.0, v1 :: v_dual_mul_f32 v2, 0xbfb8aa3b, v2
	v_mul_f32_e32 v13, 0xbfb8aa3b, v13
	v_dual_mul_f32 v10, 0xbfb8aa3b, v10 :: v_dual_lshlrev_b32 v11, 16, v3
	v_exp_f32_e32 v0, v0
	v_and_b32_e32 v3, 0xffff0000, v3
	v_exp_f32_e32 v2, v2
	s_delay_alu instid0(VALU_DEP_2) | instskip(SKIP_3) | instid1(VALU_DEP_2)
	v_mul_f32_e32 v11, 0xbfb8aa3b, v11
	v_exp_f32_e32 v10, v10
	v_dual_add_f32 v8, 1.0, v8 :: v_dual_and_b32 v5, 0xffff0000, v5
	v_exp_f32_e32 v13, v13
	v_exp_f32_e32 v11, v11
	v_div_scale_f32 v22, null, v1, v1, 1.0
	v_add_f32_e32 v0, 1.0, v0
	v_dual_mul_f32 v3, 0xbfb8aa3b, v3 :: v_dual_lshlrev_b32 v34, 3, v33
	s_delay_alu instid0(TRANS32_DEP_3) | instskip(SKIP_2) | instid1(VALU_DEP_4)
	v_add_f32_e32 v10, 1.0, v10
	v_dual_mul_f32 v5, 0xbfb8aa3b, v5 :: v_dual_lshlrev_b32 v12, 16, v4
	v_lshlrev_b32_e32 v15, 16, v7
	v_exp_f32_e32 v3, v3
	s_delay_alu instid0(TRANS32_DEP_2) | instskip(NEXT) | instid1(VALU_DEP_3)
	v_dual_add_f32 v11, 1.0, v11 :: v_dual_and_b32 v4, 0xffff0000, v4
	v_mul_f32_e32 v12, 0xbfb8aa3b, v12
	s_delay_alu instid0(VALU_DEP_3)
	v_dual_mul_f32 v15, 0xbfb8aa3b, v15 :: v_dual_lshlrev_b32 v14, 16, v6
	v_and_b32_e32 v6, 0xffff0000, v6
	v_exp_f32_e32 v5, v5
	v_dual_add_f32 v16, 1.0, v2 :: v_dual_and_b32 v7, 0xffff0000, v7
	s_delay_alu instid0(TRANS32_DEP_2) | instid1(VALU_DEP_2)
	v_dual_add_f32 v17, 1.0, v3 :: v_dual_mul_f32 v6, 0xbfb8aa3b, v6
	s_delay_alu instid0(VALU_DEP_2) | instskip(SKIP_3) | instid1(TRANS32_DEP_3)
	v_dual_mul_f32 v4, 0xbfb8aa3b, v4 :: v_dual_mul_f32 v7, 0xbfb8aa3b, v7
	v_exp_f32_e32 v12, v12
	v_exp_f32_e32 v15, v15
	v_div_scale_f32 v2, null, v8, v8, 1.0
	v_add_f32_e32 v19, 1.0, v5
	v_exp_f32_e32 v6, v6
	v_exp_f32_e32 v4, v4
	;; [unrolled: 1-line block ×3, first 2 shown]
	v_dual_mul_f32 v14, 0xbfb8aa3b, v14 :: v_dual_add_f32 v13, 1.0, v13
	v_dual_add_f32 v12, 1.0, v12 :: v_dual_add_f32 v15, 1.0, v15
	v_rcp_f32_e32 v51, v2
	v_div_scale_f32 v24, null, v10, v10, 1.0
	v_add_f32_e32 v20, 1.0, v6
	v_div_scale_f32 v6, null, v9, v9, 1.0
	s_delay_alu instid0(TRANS32_DEP_2) | instskip(SKIP_1) | instid1(VALU_DEP_3)
	v_dual_add_f32 v18, 1.0, v4 :: v_dual_add_f32 v21, 1.0, v7
	v_div_scale_f32 v4, null, v0, v0, 1.0
	v_rcp_f32_e32 v53, v6
	v_div_scale_f32 v26, null, v16, v16, 1.0
	v_div_scale_f32 v35, null, v12, v12, 1.0
	s_delay_alu instid0(VALU_DEP_3) | instskip(SKIP_3) | instid1(TRANS32_DEP_3)
	v_rcp_f32_e32 v52, v4
	v_div_scale_f32 v49, null, v21, v21, 1.0
	v_exp_f32_e32 v14, v14
	v_div_scale_f32 v28, null, v11, v11, 1.0
	v_fma_f32 v69, -v6, v53, 1.0
	v_rcp_f32_e32 v54, v22
	v_rcp_f32_e32 v55, v24
	;; [unrolled: 1-line block ×4, first 2 shown]
	v_fmac_f32_e32 v53, v69, v53
	v_div_scale_f32 v45, null, v20, v20, 1.0
	v_rcp_f32_e32 v66, v49
	v_fma_f32 v67, -v2, v51, 1.0
	v_rcp_f32_e32 v57, v28
	s_delay_alu instid0(VALU_DEP_2) | instskip(SKIP_1) | instid1(VALU_DEP_2)
	v_rcp_f32_e32 v64, v45
	v_fma_f32 v68, -v4, v52, 1.0
	v_dual_add_f32 v14, 1.0, v14 :: v_dual_fmac_f32 v51, v67, v51
	v_div_scale_f32 v3, vcc_lo, 1.0, v8, 1.0
	v_fma_f32 v70, -v22, v54, 1.0
	v_div_scale_f32 v5, s2, 1.0, v0, 1.0
	v_fma_f32 v71, -v24, v55, 1.0
	s_delay_alu instid0(TRANS32_DEP_1) | instskip(SKIP_2) | instid1(VALU_DEP_4)
	v_fma_f32 v80, -v45, v64, 1.0
	v_fma_f32 v72, -v26, v56, 1.0
	;; [unrolled: 1-line block ×3, first 2 shown]
	v_dual_fmac_f32 v52, v68, v52 :: v_dual_fmac_f32 v55, v71, v55
	v_div_scale_f32 v7, s3, 1.0, v9, 1.0
	v_div_scale_f32 v30, null, v17, v17, 1.0
	v_fma_f32 v82, -v49, v66, 1.0
	v_dual_fmac_f32 v64, v80, v64 :: v_dual_mul_f32 v67, v3, v51
	v_div_scale_f32 v23, s4, 1.0, v1, 1.0
	v_fma_f32 v73, -v28, v57, 1.0
	v_fmac_f32_e32 v54, v70, v54
	v_div_scale_f32 v25, s5, 1.0, v10, 1.0
	v_div_scale_f32 v36, s9, 1.0, v12, 1.0
	s_delay_alu instid0(VALU_DEP_4) | instskip(SKIP_3) | instid1(VALU_DEP_2)
	v_dual_fmac_f32 v57, v73, v57 :: v_dual_fmac_f32 v56, v72, v56
	v_dual_fmac_f32 v59, v75, v59 :: v_dual_mul_f32 v68, v5, v52
	v_div_scale_f32 v39, null, v13, v13, 1.0
	v_rcp_f32_e32 v58, v30
	v_dual_mul_f32 v75, v36, v59 :: v_dual_fmac_f32 v66, v82, v66
	v_mul_f32_e32 v69, v7, v53
	v_div_scale_f32 v27, s6, 1.0, v16, 1.0
	v_div_scale_f32 v46, s14, 1.0, v20, 1.0
	v_fma_f32 v83, -v2, v67, v3
	v_div_scale_f32 v29, s7, 1.0, v11, 1.0
	v_dual_mul_f32 v70, v23, v54 :: v_dual_mul_f32 v71, v25, v55
	v_fma_f32 v84, -v4, v68, v5
	v_div_scale_f32 v50, s16, 1.0, v21, 1.0
	v_rcp_f32_e32 v61, v39
	v_fma_f32 v85, -v6, v69, v7
	v_dual_mul_f32 v72, v27, v56 :: v_dual_mul_f32 v73, v29, v57
	v_dual_mul_f32 v80, v46, v64 :: v_dual_fmac_f32 v67, v83, v51
	v_fma_f32 v86, -v22, v70, v23
	v_fma_f32 v87, -v24, v71, v25
	v_fmac_f32_e32 v68, v84, v52
	v_div_scale_f32 v37, null, v18, v18, 1.0
	v_fma_f32 v74, -v30, v58, 1.0
	s_delay_alu instid0(VALU_DEP_4)
	v_dual_fmac_f32 v71, v87, v55 :: v_dual_mul_f32 v82, v50, v66
	v_fmac_f32_e32 v69, v85, v53
	v_fma_f32 v88, -v26, v72, v27
	v_fma_f32 v2, -v2, v67, v3
	;; [unrolled: 1-line block ×3, first 2 shown]
	v_fmac_f32_e32 v70, v86, v54
	v_fma_f32 v3, -v4, v68, v5
	v_div_scale_f32 v43, null, v14, v14, 1.0
	s_delay_alu instid0(VALU_DEP_4)
	v_fmac_f32_e32 v73, v89, v57
	v_rcp_f32_e32 v60, v37
	v_div_scale_f32 v31, s8, 1.0, v17, 1.0
	v_fma_f32 v77, -v39, v61, 1.0
	v_fmac_f32_e32 v58, v74, v58
	v_fma_f32 v4, -v6, v69, v7
	v_fma_f32 v91, -v35, v75, v36
	v_fmac_f32_e32 v72, v88, v56
	v_div_fmas_f32 v2, v2, v51, v67
	s_mov_b32 vcc_lo, s2
	v_fma_f32 v5, -v22, v70, v23
	v_fmac_f32_e32 v75, v91, v59
	v_div_fmas_f32 v3, v3, v52, v68
	s_mov_b32 vcc_lo, s3
	v_rcp_f32_e32 v63, v43
	v_fma_f32 v6, -v24, v71, v25
	v_div_scale_f32 v40, s11, 1.0, v13, 1.0
	v_dual_fmac_f32 v61, v77, v61 :: v_dual_mul_f32 v74, v31, v58
	v_div_fmas_f32 v4, v4, v53, v69
	s_mov_b32 vcc_lo, s4
	v_fma_f32 v7, -v26, v72, v27
	s_delay_alu instid0(VALU_DEP_3)
	v_mul_f32_e32 v77, v40, v61
	v_div_fixup_f32 v2, v2, v8, 1.0
	v_div_fmas_f32 v5, v5, v54, v70
	s_mov_b32 vcc_lo, s5
	v_div_scale_f32 v41, null, v19, v19, 1.0
	v_fma_f32 v76, -v37, v60, 1.0
	v_div_fmas_f32 v6, v6, v55, v71
	s_mov_b32 vcc_lo, s6
	v_fma_f32 v90, -v30, v74, v31
	v_div_fmas_f32 v7, v7, v56, v72
	v_cmp_class_f32_e64 vcc_lo, v2, 0x1f8
	v_div_scale_f32 v47, null, v15, v15, 1.0
	v_rcp_f32_e32 v62, v41
	v_fma_f32 v22, -v28, v73, v29
	v_div_fixup_f32 v3, v3, v0, 1.0
	v_div_scale_f32 v38, s10, 1.0, v18, 1.0
	v_fma_f32 v79, -v43, v63, 1.0
	v_fmac_f32_e32 v60, v76, v60
	v_fma_f32 v84, -v39, v77, v40
	v_fmac_f32_e32 v74, v90, v58
	v_div_fixup_f32 v7, v7, v16, 1.0
	v_cndmask_b32_e32 v0, 0, v2, vcc_lo
	s_mov_b32 vcc_lo, s7
	v_rcp_f32_e32 v65, v47
	v_fma_f32 v87, -v45, v80, v46
	v_div_fmas_f32 v8, v22, v57, v73
	v_cmp_class_f32_e64 vcc_lo, v3, 0x1f8
	v_div_scale_f32 v44, s13, 1.0, v14, 1.0
	v_dual_fmac_f32 v63, v79, v63 :: v_dual_mul_f32 v76, v38, v60
	v_fmac_f32_e32 v77, v84, v61
	v_fma_f32 v23, -v30, v74, v31
	v_div_fixup_f32 v4, v4, v9, 1.0
	s_delay_alu instid0(VALU_DEP_4)
	v_mul_f32_e32 v79, v44, v63
	v_fma_f32 v78, -v41, v62, 1.0
	v_fmac_f32_e32 v80, v87, v64
	v_div_fixup_f32 v5, v5, v1, 1.0
	v_cndmask_b32_e32 v1, 0, v3, vcc_lo
	s_mov_b32 vcc_lo, s8
	v_fma_f32 v83, -v37, v76, v38
	v_div_fmas_f32 v9, v23, v58, v74
	v_cmp_class_f32_e64 vcc_lo, v4, 0x1f8
	v_fma_f32 v24, -v35, v75, v36
	v_div_scale_f32 v42, s12, 1.0, v19, 1.0
	v_fma_f32 v81, -v47, v65, 1.0
	v_fmac_f32_e32 v62, v78, v62
	v_fma_f32 v86, -v43, v79, v44
	v_fmac_f32_e32 v76, v83, v60
	v_div_fixup_f32 v9, v9, v17, 1.0
	v_cndmask_b32_e32 v2, 0, v4, vcc_lo
	s_mov_b32 vcc_lo, s9
	v_fma_f32 v89, -v49, v82, v50
	v_div_fixup_f32 v6, v6, v10, 1.0
	v_div_fmas_f32 v10, v24, v59, v75
	v_cmp_class_f32_e64 vcc_lo, v5, 0x1f8
	v_div_scale_f32 v48, s15, 1.0, v15, 1.0
	v_dual_fmac_f32 v65, v81, v65 :: v_dual_mul_f32 v78, v42, v62
	v_fmac_f32_e32 v79, v86, v63
	v_fma_f32 v25, -v37, v76, v38
	v_dual_fmac_f32 v82, v89, v66 :: v_dual_cndmask_b32 v3, 0, v5
	s_mov_b32 vcc_lo, s10
	v_mul_f32_e32 v81, v48, v65
	v_fma_f32 v85, -v41, v78, v42
	v_div_fixup_f32 v8, v8, v11, 1.0
	v_div_fmas_f32 v11, v25, v60, v76
	v_cmp_class_f32_e64 vcc_lo, v6, 0x1f8
	v_fma_f32 v26, -v39, v77, v40
	v_fma_f32 v88, -v47, v81, v48
	v_fmac_f32_e32 v78, v85, v62
	v_div_fixup_f32 v11, v11, v18, 1.0
	v_cndmask_b32_e32 v4, 0, v6, vcc_lo
	s_mov_b32 vcc_lo, s11
	v_fmac_f32_e32 v81, v88, v65
	v_div_fmas_f32 v16, v26, v61, v77
	v_cmp_class_f32_e64 vcc_lo, v7, 0x1f8
	v_fma_f32 v27, -v41, v78, v42
	v_div_fixup_f32 v10, v10, v12, 1.0
	v_fma_f32 v28, -v43, v79, v44
	v_fma_f32 v29, -v45, v80, v46
	v_cndmask_b32_e32 v5, 0, v7, vcc_lo
	s_mov_b32 vcc_lo, s12
	v_div_fixup_f32 v13, v16, v13, 1.0
	v_div_fmas_f32 v12, v27, v62, v78
	v_cmp_class_f32_e64 vcc_lo, v8, 0x1f8
	v_fma_f32 v30, -v47, v81, v48
	v_fma_f32 v31, -v49, v82, v50
	s_delay_alu instid0(VALU_DEP_4) | instskip(SKIP_4) | instid1(VALU_DEP_2)
	v_div_fixup_f32 v12, v12, v19, 1.0
	v_cndmask_b32_e32 v6, 0, v8, vcc_lo
	s_mov_b32 vcc_lo, s13
	v_div_fmas_f32 v17, v28, v63, v79
	v_cmp_class_f32_e64 vcc_lo, v9, 0x1f8
	v_div_fixup_f32 v14, v17, v14, 1.0
	v_cndmask_b32_e32 v7, 0, v9, vcc_lo
	s_mov_b32 vcc_lo, s14
	v_div_fmas_f32 v16, v29, v64, v80
	v_cmp_class_f32_e64 vcc_lo, v10, 0x1f8
	v_cndmask_b32_e32 v8, 0, v10, vcc_lo
	s_mov_b32 vcc_lo, s15
	v_div_fmas_f32 v18, v30, v65, v81
	v_cmp_class_f32_e64 vcc_lo, v11, 0x1f8
	s_delay_alu instid0(VALU_DEP_2)
	v_div_fixup_f32 v15, v18, v15, 1.0
	v_cndmask_b32_e32 v9, 0, v11, vcc_lo
	s_mov_b32 vcc_lo, s16
	v_div_fmas_f32 v17, v31, v66, v82
	v_cmp_class_f32_e64 vcc_lo, v13, 0x1f8
	v_cndmask_b32_e32 v10, 0, v13, vcc_lo
	v_cmp_class_f32_e64 vcc_lo, v12, 0x1f8
	v_div_fixup_f32 v13, v16, v20, 1.0
	v_div_fixup_f32 v16, v17, v21, 1.0
	v_cndmask_b32_e32 v11, 0, v12, vcc_lo
	v_cmp_class_f32_e64 vcc_lo, v14, 0x1f8
	v_cndmask_b32_e32 v12, 0, v14, vcc_lo
	v_cmp_class_f32_e64 vcc_lo, v13, 0x1f8
	;; [unrolled: 2-line block ×4, first 2 shown]
	v_cndmask_b32_e32 v15, 0, v16, vcc_lo
	s_cbranch_scc1 .LBB350_35
; %bb.4:
	v_lshlrev_b32_e32 v28, 2, v34
	s_clause 0x3
	global_load_b128 v[16:19], v28, s[18:19]
	global_load_b128 v[20:23], v28, s[18:19] offset:16
	global_load_b128 v[24:27], v28, s[18:19] offset:1024
	;; [unrolled: 1-line block ×3, first 2 shown]
	s_waitcnt vmcnt(3)
	v_dual_add_f32 v17, v17, v1 :: v_dual_add_f32 v16, v16, v0
	v_dual_add_f32 v19, v19, v3 :: v_dual_add_f32 v18, v18, v2
	s_waitcnt vmcnt(2)
	v_dual_add_f32 v21, v21, v5 :: v_dual_add_f32 v20, v20, v4
	v_dual_add_f32 v23, v23, v7 :: v_dual_add_f32 v22, v22, v6
	;; [unrolled: 3-line block ×4, first 2 shown]
	s_cbranch_execnz .LBB350_6
.LBB350_5:
	v_dual_mov_b32 v31, v15 :: v_dual_mov_b32 v30, v14
	v_dual_mov_b32 v29, v13 :: v_dual_mov_b32 v28, v12
	;; [unrolled: 1-line block ×8, first 2 shown]
.LBB350_6:
	s_load_b128 s[12:15], s[0:1], 0x30
	v_cmp_eq_u32_e64 s2, 0, v33
	s_mov_b32 s10, 0
	s_waitcnt lgkmcnt(0)
	s_bitcmp1_b32 s15, 0
	s_cselect_b32 vcc_lo, -1, 0
	s_cmp_gt_i32 s12, 0
	s_cselect_b32 s9, -1, 0
	s_cmp_lt_i32 s12, 1
	s_cbranch_scc1 .LBB350_36
; %bb.7:
	v_mbcnt_lo_u32_b32 v36, -1, 0
	s_load_b128 s[16:19], s[0:1], 0x20
	v_mul_lo_u32 v35, v32, s12
	v_mov_b32_e32 v42, v32
	s_delay_alu instid0(VALU_DEP_3)
	v_xor_b32_e32 v37, 16, v36
	v_xor_b32_e32 v38, 8, v36
	;; [unrolled: 1-line block ×5, first 2 shown]
	v_cmp_gt_i32_e64 s0, 32, v37
	s_delay_alu instid0(VALU_DEP_1) | instskip(SKIP_1) | instid1(VALU_DEP_2)
	v_cndmask_b32_e64 v37, v36, v37, s0
	v_cmp_gt_i32_e64 s0, 32, v38
	v_lshlrev_b32_e32 v37, 2, v37
	s_delay_alu instid0(VALU_DEP_2) | instskip(SKIP_1) | instid1(VALU_DEP_2)
	v_cndmask_b32_e64 v38, v36, v38, s0
	v_cmp_gt_i32_e64 s0, 32, v39
	v_lshlrev_b32_e32 v38, 2, v38
	s_delay_alu instid0(VALU_DEP_2) | instskip(SKIP_1) | instid1(VALU_DEP_2)
	;; [unrolled: 4-line block ×3, first 2 shown]
	v_cndmask_b32_e64 v40, v36, v40, s0
	v_cmp_gt_i32_e64 s0, 32, v41
	v_lshlrev_b32_e32 v40, 2, v40
	s_delay_alu instid0(VALU_DEP_2) | instskip(NEXT) | instid1(VALU_DEP_1)
	v_cndmask_b32_e64 v36, v36, v41, s0
	v_dual_mov_b32 v36, 0 :: v_dual_lshlrev_b32 v41, 2, v36
	s_branch .LBB350_10
.LBB350_8:                              ;   in Loop: Header=BB350_10 Depth=1
	s_or_b32 exec_lo, exec_lo, s1
.LBB350_9:                              ;   in Loop: Header=BB350_10 Depth=1
	v_add_nc_u32_e32 v42, s22, v42
	s_cmp_eq_u32 s12, s10
	s_cbranch_scc1 .LBB350_37
.LBB350_10:                             ; =>This Inner Loop Header: Depth=1
	v_cmp_gt_f32_e64 s0, v17, v16
	s_delay_alu instid0(VALU_DEP_1) | instskip(SKIP_2) | instid1(VALU_DEP_3)
	v_cndmask_b32_e64 v44, v16, v17, s0
	v_cndmask_b32_e64 v43, 0, 1, s0
	;; [unrolled: 1-line block ×3, first 2 shown]
	v_cmp_gt_f32_e64 s1, v18, v44
	s_delay_alu instid0(VALU_DEP_1) | instskip(NEXT) | instid1(VALU_DEP_4)
	v_cndmask_b32_e64 v44, v44, v18, s1
	v_cndmask_b32_e64 v43, v43, 2, s1
	s_delay_alu instid0(VALU_DEP_4) | instskip(NEXT) | instid1(VALU_DEP_3)
	v_cndmask_b32_e64 v45, v45, v2, s1
	v_cmp_gt_f32_e64 s3, v19, v44
	s_delay_alu instid0(VALU_DEP_1) | instskip(NEXT) | instid1(VALU_DEP_4)
	v_cndmask_b32_e64 v44, v44, v19, s3
	v_cndmask_b32_e64 v43, v43, 3, s3
	s_delay_alu instid0(VALU_DEP_4) | instskip(NEXT) | instid1(VALU_DEP_3)
	v_cndmask_b32_e64 v45, v45, v3, s3
	;; [unrolled: 6-line block ×10, first 2 shown]
	v_cmp_gt_f32_e64 s4, v28, v44
	s_delay_alu instid0(VALU_DEP_1) | instskip(NEXT) | instid1(VALU_DEP_4)
	v_cndmask_b32_e64 v44, v44, v28, s4
	v_cndmask_b32_e64 v43, v43, 0x104, s4
	s_delay_alu instid0(VALU_DEP_4) | instskip(SKIP_1) | instid1(VALU_DEP_3)
	v_cndmask_b32_e64 v45, v45, v12, s4
	s_mov_b32 s4, exec_lo
	v_cmp_gt_f32_e64 s0, v29, v44
	s_delay_alu instid0(VALU_DEP_1) | instskip(SKIP_2) | instid1(VALU_DEP_3)
	v_cndmask_b32_e64 v44, v44, v29, s0
	v_cndmask_b32_e64 v43, v43, 0x105, s0
	;; [unrolled: 1-line block ×3, first 2 shown]
	v_cmp_gt_f32_e64 s1, v30, v44
	s_delay_alu instid0(VALU_DEP_1) | instskip(NEXT) | instid1(VALU_DEP_4)
	v_cndmask_b32_e64 v44, v44, v30, s1
	v_cndmask_b32_e64 v43, v43, 0x106, s1
	s_waitcnt lgkmcnt(0)
	v_cndmask_b32_e64 v46, v45, v14, s1
	s_delay_alu instid0(VALU_DEP_3) | instskip(NEXT) | instid1(VALU_DEP_1)
	v_cmp_gt_f32_e64 s0, v31, v44
	v_cndmask_b32_e64 v43, v43, 0x107, s0
	v_cndmask_b32_e64 v45, v44, v31, s0
	s_delay_alu instid0(VALU_DEP_4) | instskip(NEXT) | instid1(VALU_DEP_3)
	v_cndmask_b32_e64 v44, v46, v15, s0
	v_or_b32_e32 v43, v34, v43
	ds_bpermute_b32 v46, v37, v45
	ds_bpermute_b32 v48, v37, v44
	;; [unrolled: 1-line block ×3, first 2 shown]
	s_waitcnt lgkmcnt(0)
	v_cmp_lt_f32_e64 s3, v45, v46
	v_cmpx_nlt_f32_e32 v45, v46
; %bb.11:                               ;   in Loop: Header=BB350_10 Depth=1
	v_cmp_eq_f32_e64 s0, v45, v46
	v_cmp_lt_i32_e64 s1, v47, v43
	s_delay_alu instid0(VALU_DEP_1) | instskip(SKIP_2) | instid1(SALU_CYCLE_1)
	s_and_b32 s0, s0, s1
	s_and_not1_b32 s1, s3, exec_lo
	s_and_b32 s0, s0, exec_lo
	s_or_b32 s3, s1, s0
; %bb.12:                               ;   in Loop: Header=BB350_10 Depth=1
	s_or_b32 exec_lo, exec_lo, s4
	s_and_saveexec_b32 s0, s3
; %bb.13:                               ;   in Loop: Header=BB350_10 Depth=1
	v_dual_mov_b32 v44, v48 :: v_dual_mov_b32 v45, v46
	v_mov_b32_e32 v43, v47
; %bb.14:                               ;   in Loop: Header=BB350_10 Depth=1
	s_or_b32 exec_lo, exec_lo, s0
	ds_bpermute_b32 v46, v38, v45
	ds_bpermute_b32 v48, v38, v44
	;; [unrolled: 1-line block ×3, first 2 shown]
	s_mov_b32 s4, exec_lo
	s_waitcnt lgkmcnt(2)
	v_cmp_lt_f32_e64 s3, v45, v46
	v_cmpx_nlt_f32_e32 v45, v46
	s_cbranch_execz .LBB350_16
; %bb.15:                               ;   in Loop: Header=BB350_10 Depth=1
	v_cmp_eq_f32_e64 s0, v45, v46
	s_waitcnt lgkmcnt(0)
	v_cmp_lt_i32_e64 s1, v47, v43
	s_delay_alu instid0(VALU_DEP_1) | instskip(SKIP_2) | instid1(SALU_CYCLE_1)
	s_and_b32 s0, s0, s1
	s_and_not1_b32 s1, s3, exec_lo
	s_and_b32 s0, s0, exec_lo
	s_or_b32 s3, s1, s0
.LBB350_16:                             ;   in Loop: Header=BB350_10 Depth=1
	s_or_b32 exec_lo, exec_lo, s4
	s_delay_alu instid0(VALU_DEP_2)
	s_and_saveexec_b32 s0, s3
	s_cbranch_execz .LBB350_18
; %bb.17:                               ;   in Loop: Header=BB350_10 Depth=1
	s_waitcnt lgkmcnt(1)
	v_dual_mov_b32 v44, v48 :: v_dual_mov_b32 v45, v46
	s_waitcnt lgkmcnt(0)
	v_mov_b32_e32 v43, v47
.LBB350_18:                             ;   in Loop: Header=BB350_10 Depth=1
	s_or_b32 exec_lo, exec_lo, s0
	ds_bpermute_b32 v46, v39, v45
	s_waitcnt lgkmcnt(2)
	ds_bpermute_b32 v48, v39, v44
	s_waitcnt lgkmcnt(2)
	ds_bpermute_b32 v47, v39, v43
	s_mov_b32 s4, exec_lo
	s_waitcnt lgkmcnt(2)
	v_cmp_lt_f32_e64 s3, v45, v46
	v_cmpx_nlt_f32_e32 v45, v46
	s_cbranch_execz .LBB350_20
; %bb.19:                               ;   in Loop: Header=BB350_10 Depth=1
	v_cmp_eq_f32_e64 s0, v45, v46
	s_waitcnt lgkmcnt(0)
	v_cmp_lt_i32_e64 s1, v47, v43
	s_delay_alu instid0(VALU_DEP_1) | instskip(SKIP_2) | instid1(SALU_CYCLE_1)
	s_and_b32 s0, s0, s1
	s_and_not1_b32 s1, s3, exec_lo
	s_and_b32 s0, s0, exec_lo
	s_or_b32 s3, s1, s0
.LBB350_20:                             ;   in Loop: Header=BB350_10 Depth=1
	s_or_b32 exec_lo, exec_lo, s4
	s_delay_alu instid0(VALU_DEP_2)
	s_and_saveexec_b32 s0, s3
	s_cbranch_execz .LBB350_22
; %bb.21:                               ;   in Loop: Header=BB350_10 Depth=1
	s_waitcnt lgkmcnt(1)
	v_dual_mov_b32 v44, v48 :: v_dual_mov_b32 v45, v46
	s_waitcnt lgkmcnt(0)
	v_mov_b32_e32 v43, v47
.LBB350_22:                             ;   in Loop: Header=BB350_10 Depth=1
	s_or_b32 exec_lo, exec_lo, s0
	ds_bpermute_b32 v46, v40, v45
	s_waitcnt lgkmcnt(2)
	ds_bpermute_b32 v48, v40, v44
	s_waitcnt lgkmcnt(2)
	ds_bpermute_b32 v47, v40, v43
	s_mov_b32 s4, exec_lo
	s_waitcnt lgkmcnt(2)
	v_cmp_lt_f32_e64 s3, v45, v46
	v_cmpx_nlt_f32_e32 v45, v46
	s_cbranch_execz .LBB350_24
; %bb.23:                               ;   in Loop: Header=BB350_10 Depth=1
	v_cmp_eq_f32_e64 s0, v45, v46
	s_waitcnt lgkmcnt(0)
	v_cmp_lt_i32_e64 s1, v47, v43
	s_delay_alu instid0(VALU_DEP_1) | instskip(SKIP_2) | instid1(SALU_CYCLE_1)
	s_and_b32 s0, s0, s1
	s_and_not1_b32 s1, s3, exec_lo
	s_and_b32 s0, s0, exec_lo
	s_or_b32 s3, s1, s0
.LBB350_24:                             ;   in Loop: Header=BB350_10 Depth=1
	s_or_b32 exec_lo, exec_lo, s4
	s_delay_alu instid0(VALU_DEP_2)
	s_and_saveexec_b32 s0, s3
	s_cbranch_execz .LBB350_26
; %bb.25:                               ;   in Loop: Header=BB350_10 Depth=1
	s_waitcnt lgkmcnt(1)
	v_dual_mov_b32 v44, v48 :: v_dual_mov_b32 v45, v46
	s_waitcnt lgkmcnt(0)
	v_mov_b32_e32 v43, v47
.LBB350_26:                             ;   in Loop: Header=BB350_10 Depth=1
	s_or_b32 exec_lo, exec_lo, s0
	s_waitcnt lgkmcnt(1)
	ds_bpermute_b32 v48, v41, v45
	ds_bpermute_b32 v46, v41, v44
	s_waitcnt lgkmcnt(2)
	ds_bpermute_b32 v47, v41, v43
	s_mov_b32 s4, exec_lo
	s_waitcnt lgkmcnt(2)
	v_cmp_lt_f32_e64 s3, v45, v48
	v_cmpx_nlt_f32_e32 v45, v48
	s_cbranch_execnz .LBB350_30
; %bb.27:                               ;   in Loop: Header=BB350_10 Depth=1
	s_or_b32 exec_lo, exec_lo, s4
	s_delay_alu instid0(VALU_DEP_2)
	s_and_saveexec_b32 s0, s3
	s_cbranch_execnz .LBB350_31
.LBB350_28:                             ;   in Loop: Header=BB350_10 Depth=1
	s_or_b32 exec_lo, exec_lo, s0
	s_and_saveexec_b32 s3, s2
	s_cbranch_execnz .LBB350_32
.LBB350_29:                             ;   in Loop: Header=BB350_10 Depth=1
	s_or_b32 exec_lo, exec_lo, s3
	s_add_i32 s10, s10, 1
	s_delay_alu instid0(SALU_CYCLE_1)
	s_cmp_ge_i32 s10, s12
	s_cbranch_scc1 .LBB350_9
	s_branch .LBB350_33
.LBB350_30:                             ;   in Loop: Header=BB350_10 Depth=1
	v_cmp_eq_f32_e64 s0, v45, v48
	s_waitcnt lgkmcnt(0)
	v_cmp_lt_i32_e64 s1, v47, v43
	s_delay_alu instid0(VALU_DEP_1) | instskip(SKIP_2) | instid1(SALU_CYCLE_1)
	s_and_b32 s0, s0, s1
	s_and_not1_b32 s1, s3, exec_lo
	s_and_b32 s0, s0, exec_lo
	s_or_b32 s3, s1, s0
	s_or_b32 exec_lo, exec_lo, s4
	s_and_saveexec_b32 s0, s3
	s_cbranch_execz .LBB350_28
.LBB350_31:                             ;   in Loop: Header=BB350_10 Depth=1
	s_waitcnt lgkmcnt(0)
	v_dual_mov_b32 v43, v47 :: v_dual_mov_b32 v44, v46
	s_or_b32 exec_lo, exec_lo, s0
	s_and_saveexec_b32 s3, s2
	s_cbranch_execz .LBB350_29
.LBB350_32:                             ;   in Loop: Header=BB350_10 Depth=1
	s_delay_alu instid0(VALU_DEP_1)
	v_dual_add_f32 v52, v36, v44 :: v_dual_add_nc_u32 v45, s10, v35
	v_cmp_le_i32_e64 s0, s13, v43
	v_cmp_gt_i32_e64 s1, s14, v43
	s_waitcnt lgkmcnt(0)
	v_subrev_nc_u32_e32 v47, s13, v43
	v_ashrrev_i32_e32 v46, 31, v45
	v_cndmask_b32_e32 v36, v36, v52, vcc_lo
	s_and_b32 s0, s0, s1
	s_delay_alu instid0(SALU_CYCLE_1) | instskip(NEXT) | instid1(VALU_DEP_2)
	s_and_b32 s0, s23, s0
	v_lshlrev_b64 v[45:46], 2, v[45:46]
	v_cndmask_b32_e64 v51, 0x200, v47, s0
	s_delay_alu instid0(VALU_DEP_2) | instskip(NEXT) | instid1(VALU_DEP_1)
	v_add_co_u32 v47, s0, s20, v45
	v_add_co_ci_u32_e64 v48, s0, s21, v46, s0
	v_add_co_u32 v49, s0, s16, v45
	s_delay_alu instid0(VALU_DEP_1) | instskip(SKIP_1) | instid1(VALU_DEP_1)
	v_add_co_ci_u32_e64 v50, s0, s17, v46, s0
	v_add_co_u32 v45, s0, s18, v45
	v_add_co_ci_u32_e64 v46, s0, s19, v46, s0
	global_store_b32 v[47:48], v44, off
	global_store_b32 v[49:50], v51, off
	;; [unrolled: 1-line block ×3, first 2 shown]
	s_or_b32 exec_lo, exec_lo, s3
	s_add_i32 s10, s10, 1
	s_delay_alu instid0(SALU_CYCLE_1)
	s_cmp_ge_i32 s10, s12
	s_cbranch_scc1 .LBB350_9
.LBB350_33:                             ;   in Loop: Header=BB350_10 Depth=1
	v_ashrrev_i32_e32 v44, 31, v43
	s_mov_b32 s1, exec_lo
	s_delay_alu instid0(VALU_DEP_1) | instskip(NEXT) | instid1(VALU_DEP_1)
	v_lshrrev_b32_e32 v45, 29, v44
	v_add_nc_u32_e32 v45, v43, v45
	s_waitcnt lgkmcnt(1)
	s_delay_alu instid0(VALU_DEP_1) | instskip(SKIP_1) | instid1(VALU_DEP_2)
	v_ashrrev_i32_e32 v46, 31, v45
	v_ashrrev_i32_e32 v45, 3, v45
	v_lshrrev_b32_e32 v46, 27, v46
	s_delay_alu instid0(VALU_DEP_1) | instskip(NEXT) | instid1(VALU_DEP_1)
	v_add_nc_u32_e32 v46, v45, v46
	v_and_b32_e32 v46, 0xffffffe0, v46
	s_delay_alu instid0(VALU_DEP_1) | instskip(NEXT) | instid1(VALU_DEP_1)
	v_sub_nc_u32_e32 v46, v45, v46
	v_cmpx_eq_u32_e64 v33, v46
	s_cbranch_execz .LBB350_8
; %bb.34:                               ;   in Loop: Header=BB350_10 Depth=1
	v_lshrrev_b32_e32 v44, 24, v44
	v_lshlrev_b32_e32 v45, 3, v45
	s_delay_alu instid0(VALU_DEP_2) | instskip(NEXT) | instid1(VALU_DEP_2)
	v_add_nc_u32_e32 v44, v43, v44
	v_sub_nc_u32_e32 v43, v43, v45
	s_delay_alu instid0(VALU_DEP_2) | instskip(NEXT) | instid1(VALU_DEP_1)
	v_ashrrev_i32_e32 v44, 8, v44
	v_lshl_add_u32 v43, v44, 3, v43
	s_delay_alu instid0(VALU_DEP_1) | instskip(NEXT) | instid1(VALU_DEP_1)
	v_cmp_ne_u32_e64 s0, 15, v43
	v_cndmask_b32_e64 v31, 0xc61c4000, v31, s0
	v_cmp_ne_u32_e64 s0, 14, v43
	s_delay_alu instid0(VALU_DEP_1) | instskip(SKIP_1) | instid1(VALU_DEP_1)
	v_cndmask_b32_e64 v30, 0xc61c4000, v30, s0
	v_cmp_ne_u32_e64 s0, 13, v43
	v_cndmask_b32_e64 v29, 0xc61c4000, v29, s0
	v_cmp_ne_u32_e64 s0, 12, v43
	s_delay_alu instid0(VALU_DEP_1) | instskip(SKIP_1) | instid1(VALU_DEP_1)
	v_cndmask_b32_e64 v28, 0xc61c4000, v28, s0
	;; [unrolled: 5-line block ×7, first 2 shown]
	v_cmp_ne_u32_e64 s0, 1, v43
	v_cndmask_b32_e64 v17, 0xc61c4000, v17, s0
	v_cmp_ne_u32_e64 s0, 0, v43
	s_delay_alu instid0(VALU_DEP_1)
	v_cndmask_b32_e64 v16, 0xc61c4000, v16, s0
	s_branch .LBB350_8
.LBB350_35:
                                        ; implicit-def: $vgpr16_vgpr17_vgpr18_vgpr19_vgpr20_vgpr21_vgpr22_vgpr23_vgpr24_vgpr25_vgpr26_vgpr27_vgpr28_vgpr29_vgpr30_vgpr31
	s_and_not1_b32 vcc_lo, exec_lo, s17
	s_cbranch_vccz .LBB350_5
	s_branch .LBB350_6
.LBB350_36:
	v_mov_b32_e32 v36, 0
.LBB350_37:
	v_cmp_eq_u32_e64 s0, 0, v33
	s_delay_alu instid0(VALU_DEP_1) | instskip(NEXT) | instid1(SALU_CYCLE_1)
	s_and_b32 s0, s0, vcc_lo
	s_and_b32 exec_lo, exec_lo, s0
	s_cbranch_execz .LBB350_41
; %bb.38:
	s_and_not1_b32 vcc_lo, exec_lo, s9
	s_cbranch_vccnz .LBB350_41
; %bb.39:
	v_mul_lo_u32 v0, v32, s12
	v_cmp_lt_f32_e32 vcc_lo, 0, v36
	v_cndmask_b32_e32 v2, 1.0, v36, vcc_lo
	s_delay_alu instid0(VALU_DEP_3) | instskip(NEXT) | instid1(VALU_DEP_1)
	v_ashrrev_i32_e32 v1, 31, v0
	v_lshlrev_b64 v[0:1], 2, v[0:1]
	s_delay_alu instid0(VALU_DEP_1) | instskip(NEXT) | instid1(VALU_DEP_2)
	v_add_co_u32 v0, vcc_lo, s20, v0
	v_add_co_ci_u32_e32 v1, vcc_lo, s21, v1, vcc_lo
	.p2align	6
.LBB350_40:                             ; =>This Inner Loop Header: Depth=1
	global_load_b32 v3, v[0:1], off
	s_add_i32 s12, s12, -1
	s_delay_alu instid0(SALU_CYCLE_1) | instskip(SKIP_3) | instid1(VALU_DEP_2)
	s_cmp_lg_u32 s12, 0
	s_waitcnt vmcnt(0)
	v_div_scale_f32 v4, null, v2, v2, v3
	v_div_scale_f32 v7, vcc_lo, v3, v2, v3
	v_rcp_f32_e32 v5, v4
	s_waitcnt_depctr 0xfff
	v_fma_f32 v6, -v4, v5, 1.0
	s_delay_alu instid0(VALU_DEP_1) | instskip(NEXT) | instid1(VALU_DEP_1)
	v_fmac_f32_e32 v5, v6, v5
	v_mul_f32_e32 v6, v7, v5
	s_delay_alu instid0(VALU_DEP_1) | instskip(NEXT) | instid1(VALU_DEP_1)
	v_fma_f32 v8, -v4, v6, v7
	v_fmac_f32_e32 v6, v8, v5
	s_delay_alu instid0(VALU_DEP_1) | instskip(NEXT) | instid1(VALU_DEP_1)
	v_fma_f32 v4, -v4, v6, v7
	v_div_fmas_f32 v4, v4, v5, v6
	s_delay_alu instid0(VALU_DEP_1)
	v_div_fixup_f32 v3, v4, v2, v3
	global_store_b32 v[0:1], v3, off
	v_add_co_u32 v0, vcc_lo, v0, 4
	v_add_co_ci_u32_e32 v1, vcc_lo, 0, v1, vcc_lo
	s_cbranch_scc1 .LBB350_40
.LBB350_41:
	s_nop 0
	s_sendmsg sendmsg(MSG_DEALLOC_VGPRS)
	s_endpgm
	.section	.rodata,"a",@progbits
	.p2align	6, 0x0
	.amdhsa_kernel _ZN4vllm3moe10topkGatingILi16ELi512ELi4ELi16ELi32Ej14__hip_bfloat16LNS0_11ScoringFuncE1EEEvPKT5_PKbPfiPT4_PiiiibPKf
		.amdhsa_group_segment_fixed_size 0
		.amdhsa_private_segment_fixed_size 0
		.amdhsa_kernarg_size 72
		.amdhsa_user_sgpr_count 15
		.amdhsa_user_sgpr_dispatch_ptr 0
		.amdhsa_user_sgpr_queue_ptr 0
		.amdhsa_user_sgpr_kernarg_segment_ptr 1
		.amdhsa_user_sgpr_dispatch_id 0
		.amdhsa_user_sgpr_private_segment_size 0
		.amdhsa_wavefront_size32 1
		.amdhsa_uses_dynamic_stack 0
		.amdhsa_enable_private_segment 0
		.amdhsa_system_sgpr_workgroup_id_x 1
		.amdhsa_system_sgpr_workgroup_id_y 0
		.amdhsa_system_sgpr_workgroup_id_z 0
		.amdhsa_system_sgpr_workgroup_info 0
		.amdhsa_system_vgpr_workitem_id 1
		.amdhsa_next_free_vgpr 92
		.amdhsa_next_free_sgpr 24
		.amdhsa_reserve_vcc 1
		.amdhsa_float_round_mode_32 0
		.amdhsa_float_round_mode_16_64 0
		.amdhsa_float_denorm_mode_32 3
		.amdhsa_float_denorm_mode_16_64 3
		.amdhsa_dx10_clamp 1
		.amdhsa_ieee_mode 1
		.amdhsa_fp16_overflow 0
		.amdhsa_workgroup_processor_mode 1
		.amdhsa_memory_ordered 1
		.amdhsa_forward_progress 0
		.amdhsa_shared_vgpr_count 0
		.amdhsa_exception_fp_ieee_invalid_op 0
		.amdhsa_exception_fp_denorm_src 0
		.amdhsa_exception_fp_ieee_div_zero 0
		.amdhsa_exception_fp_ieee_overflow 0
		.amdhsa_exception_fp_ieee_underflow 0
		.amdhsa_exception_fp_ieee_inexact 0
		.amdhsa_exception_int_div_zero 0
	.end_amdhsa_kernel
	.section	.text._ZN4vllm3moe10topkGatingILi16ELi512ELi4ELi16ELi32Ej14__hip_bfloat16LNS0_11ScoringFuncE1EEEvPKT5_PKbPfiPT4_PiiiibPKf,"axG",@progbits,_ZN4vllm3moe10topkGatingILi16ELi512ELi4ELi16ELi32Ej14__hip_bfloat16LNS0_11ScoringFuncE1EEEvPKT5_PKbPfiPT4_PiiiibPKf,comdat
.Lfunc_end350:
	.size	_ZN4vllm3moe10topkGatingILi16ELi512ELi4ELi16ELi32Ej14__hip_bfloat16LNS0_11ScoringFuncE1EEEvPKT5_PKbPfiPT4_PiiiibPKf, .Lfunc_end350-_ZN4vllm3moe10topkGatingILi16ELi512ELi4ELi16ELi32Ej14__hip_bfloat16LNS0_11ScoringFuncE1EEEvPKT5_PKbPfiPT4_PiiiibPKf
                                        ; -- End function
	.section	.AMDGPU.csdata,"",@progbits
; Kernel info:
; codeLenInByte = 4816
; NumSgprs: 26
; NumVgprs: 92
; ScratchSize: 0
; MemoryBound: 0
; FloatMode: 240
; IeeeMode: 1
; LDSByteSize: 0 bytes/workgroup (compile time only)
; SGPRBlocks: 3
; VGPRBlocks: 11
; NumSGPRsForWavesPerEU: 26
; NumVGPRsForWavesPerEU: 92
; Occupancy: 16
; WaveLimiterHint : 1
; COMPUTE_PGM_RSRC2:SCRATCH_EN: 0
; COMPUTE_PGM_RSRC2:USER_SGPR: 15
; COMPUTE_PGM_RSRC2:TRAP_HANDLER: 0
; COMPUTE_PGM_RSRC2:TGID_X_EN: 1
; COMPUTE_PGM_RSRC2:TGID_Y_EN: 0
; COMPUTE_PGM_RSRC2:TGID_Z_EN: 0
; COMPUTE_PGM_RSRC2:TIDIG_COMP_CNT: 1
	.section	.text._ZN4vllm3moe10topkGatingILi1ELi1ELi4ELi2ELi64El14__hip_bfloat16LNS0_11ScoringFuncE1EEEvPKT5_PKbPfiPT4_PiiiibPKf,"axG",@progbits,_ZN4vllm3moe10topkGatingILi1ELi1ELi4ELi2ELi64El14__hip_bfloat16LNS0_11ScoringFuncE1EEEvPKT5_PKbPfiPT4_PiiiibPKf,comdat
	.protected	_ZN4vllm3moe10topkGatingILi1ELi1ELi4ELi2ELi64El14__hip_bfloat16LNS0_11ScoringFuncE1EEEvPKT5_PKbPfiPT4_PiiiibPKf ; -- Begin function _ZN4vllm3moe10topkGatingILi1ELi1ELi4ELi2ELi64El14__hip_bfloat16LNS0_11ScoringFuncE1EEEvPKT5_PKbPfiPT4_PiiiibPKf
	.globl	_ZN4vllm3moe10topkGatingILi1ELi1ELi4ELi2ELi64El14__hip_bfloat16LNS0_11ScoringFuncE1EEEvPKT5_PKbPfiPT4_PiiiibPKf
	.p2align	8
	.type	_ZN4vllm3moe10topkGatingILi1ELi1ELi4ELi2ELi64El14__hip_bfloat16LNS0_11ScoringFuncE1EEEvPKT5_PKbPfiPT4_PiiiibPKf,@function
_ZN4vllm3moe10topkGatingILi1ELi1ELi4ELi2ELi64El14__hip_bfloat16LNS0_11ScoringFuncE1EEEvPKT5_PKbPfiPT4_PiiiibPKf: ; @_ZN4vllm3moe10topkGatingILi1ELi1ELi4ELi2ELi64El14__hip_bfloat16LNS0_11ScoringFuncE1EEEvPKT5_PKbPfiPT4_PiiiibPKf
; %bb.0:
	s_load_b32 s3, s[0:1], 0x18
	v_bfe_u32 v1, v0, 10, 10
	v_and_b32_e32 v0, 0x3ff, v0
	s_lshl_b32 s2, s15, 8
	s_delay_alu instid0(VALU_DEP_2) | instskip(NEXT) | instid1(VALU_DEP_1)
	v_lshlrev_b32_e32 v1, 6, v1
	v_add3_u32 v0, v1, v0, s2
	s_mov_b32 s2, exec_lo
	s_waitcnt lgkmcnt(0)
	s_delay_alu instid0(VALU_DEP_1)
	v_cmpx_gt_i32_e64 s3, v0
	s_cbranch_execz .LBB351_12
; %bb.1:
	s_clause 0x1
	s_load_b128 s[8:11], s[0:1], 0x0
	s_load_b64 s[12:13], s[0:1], 0x10
	v_ashrrev_i32_e32 v1, 31, v0
	s_waitcnt lgkmcnt(0)
	s_cmp_eq_u64 s[10:11], 0
	s_cbranch_scc1 .LBB351_3
; %bb.2:
	v_add_co_u32 v2, vcc_lo, s10, v0
	v_add_co_ci_u32_e32 v3, vcc_lo, s11, v1, vcc_lo
	global_load_u8 v2, v[2:3], off
	s_waitcnt vmcnt(0)
	v_and_b32_e32 v2, 1, v2
	s_delay_alu instid0(VALU_DEP_1) | instskip(SKIP_1) | instid1(SALU_CYCLE_1)
	v_cmp_eq_u32_e32 vcc_lo, 1, v2
	s_xor_b32 s2, vcc_lo, -1
	s_or_not1_b32 s14, s2, exec_lo
	s_branch .LBB351_4
.LBB351_3:
	s_mov_b32 s14, -1
.LBB351_4:
	s_load_b128 s[4:7], s[0:1], 0x30
	s_waitcnt lgkmcnt(0)
	s_bitcmp1_b32 s7, 0
	s_cselect_b32 s2, -1, 0
	s_cmp_gt_i32 s4, 0
	s_cselect_b32 s7, -1, 0
	s_cmp_lt_i32 s4, 1
	s_cbranch_scc1 .LBB351_8
; %bb.5:
	v_lshlrev_b64 v[1:2], 1, v[0:1]
	v_mul_lo_u32 v3, v0, s4
	s_cmp_lt_i32 s5, 1
	v_mov_b32_e32 v9, 0
	s_delay_alu instid0(VALU_DEP_3) | instskip(NEXT) | instid1(VALU_DEP_4)
	v_add_co_u32 v1, vcc_lo, s8, v1
	v_add_co_ci_u32_e32 v2, vcc_lo, s9, v2, vcc_lo
	s_load_b128 s[8:11], s[0:1], 0x20
	s_delay_alu instid0(VALU_DEP_4)
	v_ashrrev_i32_e32 v4, 31, v3
	s_cselect_b32 s0, -1, 0
	global_load_u16 v1, v[1:2], off
	s_cmp_gt_i32 s6, 0
	v_lshlrev_b64 v[5:6], 3, v[3:4]
	s_cselect_b32 s1, -1, 0
	v_lshlrev_b64 v[7:8], 2, v[3:4]
	s_sub_i32 s5, 0, s5
	s_and_b32 s0, s0, s1
	s_ashr_i32 s1, s5, 31
	s_and_b32 s0, s14, s0
	s_delay_alu instid0(SALU_CYCLE_1) | instskip(SKIP_2) | instid1(VALU_DEP_1)
	v_cndmask_b32_e64 v2, 0, s1, s0
	s_waitcnt vmcnt(0)
	v_lshlrev_b32_e32 v1, 16, v1
	v_mul_f32_e32 v1, 0xbfb8aa3b, v1
	s_delay_alu instid0(VALU_DEP_1) | instskip(SKIP_2) | instid1(VALU_DEP_1)
	v_exp_f32_e32 v1, v1
	s_waitcnt_depctr 0xfff
	v_add_f32_e32 v10, 1.0, v1
	v_div_scale_f32 v11, null, v10, v10, 1.0
	v_div_scale_f32 v13, vcc_lo, 1.0, v10, 1.0
	s_delay_alu instid0(VALU_DEP_2) | instskip(SKIP_2) | instid1(VALU_DEP_1)
	v_rcp_f32_e32 v12, v11
	s_waitcnt_depctr 0xfff
	v_fma_f32 v1, -v11, v12, 1.0
	v_fmac_f32_e32 v12, v1, v12
	s_delay_alu instid0(VALU_DEP_1) | instskip(NEXT) | instid1(VALU_DEP_1)
	v_mul_f32_e32 v14, v13, v12
	v_fma_f32 v1, -v11, v14, v13
	s_delay_alu instid0(VALU_DEP_1) | instskip(SKIP_2) | instid1(VALU_DEP_1)
	v_fmac_f32_e32 v14, v1, v12
	v_cndmask_b32_e64 v1, 1, s5, s0
	v_add_co_u32 v3, s0, s12, v7
	v_add_co_ci_u32_e64 v4, s0, s13, v8, s0
	s_delay_alu instid0(VALU_DEP_4) | instskip(SKIP_1) | instid1(VALU_DEP_1)
	v_fma_f32 v11, -v11, v14, v13
	s_mov_b32 s0, s4
	v_div_fmas_f32 v11, v11, v12, v14
	s_waitcnt lgkmcnt(0)
	v_add_co_u32 v5, vcc_lo, s8, v5
	v_add_co_ci_u32_e32 v6, vcc_lo, s9, v6, vcc_lo
	s_delay_alu instid0(VALU_DEP_3) | instskip(SKIP_3) | instid1(VALU_DEP_4)
	v_div_fixup_f32 v10, v11, v10, 1.0
	v_mov_b32_e32 v11, v0
	v_add_co_u32 v7, vcc_lo, s10, v7
	v_add_co_ci_u32_e32 v8, vcc_lo, s11, v8, vcc_lo
	v_cmp_class_f32_e64 vcc_lo, v10, 0x1f8
	v_cndmask_b32_e32 v10, 0, v10, vcc_lo
	.p2align	6
.LBB351_6:                              ; =>This Inner Loop Header: Depth=1
	global_store_b32 v[3:4], v10, off
	global_store_b64 v[5:6], v[1:2], off
	global_store_b32 v[7:8], v11, off
	v_add_co_u32 v3, vcc_lo, v3, 4
	v_add_co_ci_u32_e32 v4, vcc_lo, 0, v4, vcc_lo
	v_dual_add_f32 v12, v9, v10 :: v_dual_add_nc_u32 v11, s3, v11
	v_add_co_u32 v5, vcc_lo, v5, 8
	v_add_co_ci_u32_e32 v6, vcc_lo, 0, v6, vcc_lo
	v_add_co_u32 v7, vcc_lo, v7, 4
	s_delay_alu instid0(VALU_DEP_4) | instskip(SKIP_2) | instid1(SALU_CYCLE_1)
	v_cndmask_b32_e64 v9, v9, v12, s2
	v_add_co_ci_u32_e32 v8, vcc_lo, 0, v8, vcc_lo
	s_add_i32 s0, s0, -1
	s_cmp_lg_u32 s0, 0
	s_cbranch_scc1 .LBB351_6
; %bb.7:
	s_and_not1_b32 vcc_lo, exec_lo, s2
	s_cbranch_vccz .LBB351_9
	s_branch .LBB351_12
.LBB351_8:
	v_mov_b32_e32 v9, 0
	s_and_not1_b32 vcc_lo, exec_lo, s2
	s_cbranch_vccnz .LBB351_12
.LBB351_9:
	s_and_not1_b32 vcc_lo, exec_lo, s7
	s_cbranch_vccnz .LBB351_12
; %bb.10:
	v_mul_lo_u32 v0, v0, s4
	v_cmp_lt_f32_e32 vcc_lo, 0, v9
	v_cndmask_b32_e32 v2, 1.0, v9, vcc_lo
	s_delay_alu instid0(VALU_DEP_3) | instskip(NEXT) | instid1(VALU_DEP_1)
	v_ashrrev_i32_e32 v1, 31, v0
	v_lshlrev_b64 v[0:1], 2, v[0:1]
	s_delay_alu instid0(VALU_DEP_1) | instskip(NEXT) | instid1(VALU_DEP_2)
	v_add_co_u32 v0, vcc_lo, s12, v0
	v_add_co_ci_u32_e32 v1, vcc_lo, s13, v1, vcc_lo
	.p2align	6
.LBB351_11:                             ; =>This Inner Loop Header: Depth=1
	global_load_b32 v3, v[0:1], off
	s_add_i32 s4, s4, -1
	s_delay_alu instid0(SALU_CYCLE_1) | instskip(SKIP_3) | instid1(VALU_DEP_2)
	s_cmp_lg_u32 s4, 0
	s_waitcnt vmcnt(0)
	v_div_scale_f32 v4, null, v2, v2, v3
	v_div_scale_f32 v7, vcc_lo, v3, v2, v3
	v_rcp_f32_e32 v5, v4
	s_waitcnt_depctr 0xfff
	v_fma_f32 v6, -v4, v5, 1.0
	s_delay_alu instid0(VALU_DEP_1) | instskip(NEXT) | instid1(VALU_DEP_1)
	v_fmac_f32_e32 v5, v6, v5
	v_mul_f32_e32 v6, v7, v5
	s_delay_alu instid0(VALU_DEP_1) | instskip(NEXT) | instid1(VALU_DEP_1)
	v_fma_f32 v8, -v4, v6, v7
	v_fmac_f32_e32 v6, v8, v5
	s_delay_alu instid0(VALU_DEP_1) | instskip(NEXT) | instid1(VALU_DEP_1)
	v_fma_f32 v4, -v4, v6, v7
	v_div_fmas_f32 v4, v4, v5, v6
	s_delay_alu instid0(VALU_DEP_1)
	v_div_fixup_f32 v3, v4, v2, v3
	global_store_b32 v[0:1], v3, off
	v_add_co_u32 v0, vcc_lo, v0, 4
	v_add_co_ci_u32_e32 v1, vcc_lo, 0, v1, vcc_lo
	s_cbranch_scc1 .LBB351_11
.LBB351_12:
	s_nop 0
	s_sendmsg sendmsg(MSG_DEALLOC_VGPRS)
	s_endpgm
	.section	.rodata,"a",@progbits
	.p2align	6, 0x0
	.amdhsa_kernel _ZN4vllm3moe10topkGatingILi1ELi1ELi4ELi2ELi64El14__hip_bfloat16LNS0_11ScoringFuncE1EEEvPKT5_PKbPfiPT4_PiiiibPKf
		.amdhsa_group_segment_fixed_size 0
		.amdhsa_private_segment_fixed_size 0
		.amdhsa_kernarg_size 72
		.amdhsa_user_sgpr_count 15
		.amdhsa_user_sgpr_dispatch_ptr 0
		.amdhsa_user_sgpr_queue_ptr 0
		.amdhsa_user_sgpr_kernarg_segment_ptr 1
		.amdhsa_user_sgpr_dispatch_id 0
		.amdhsa_user_sgpr_private_segment_size 0
		.amdhsa_wavefront_size32 1
		.amdhsa_uses_dynamic_stack 0
		.amdhsa_enable_private_segment 0
		.amdhsa_system_sgpr_workgroup_id_x 1
		.amdhsa_system_sgpr_workgroup_id_y 0
		.amdhsa_system_sgpr_workgroup_id_z 0
		.amdhsa_system_sgpr_workgroup_info 0
		.amdhsa_system_vgpr_workitem_id 1
		.amdhsa_next_free_vgpr 15
		.amdhsa_next_free_sgpr 16
		.amdhsa_reserve_vcc 1
		.amdhsa_float_round_mode_32 0
		.amdhsa_float_round_mode_16_64 0
		.amdhsa_float_denorm_mode_32 3
		.amdhsa_float_denorm_mode_16_64 3
		.amdhsa_dx10_clamp 1
		.amdhsa_ieee_mode 1
		.amdhsa_fp16_overflow 0
		.amdhsa_workgroup_processor_mode 1
		.amdhsa_memory_ordered 1
		.amdhsa_forward_progress 0
		.amdhsa_shared_vgpr_count 0
		.amdhsa_exception_fp_ieee_invalid_op 0
		.amdhsa_exception_fp_denorm_src 0
		.amdhsa_exception_fp_ieee_div_zero 0
		.amdhsa_exception_fp_ieee_overflow 0
		.amdhsa_exception_fp_ieee_underflow 0
		.amdhsa_exception_fp_ieee_inexact 0
		.amdhsa_exception_int_div_zero 0
	.end_amdhsa_kernel
	.section	.text._ZN4vllm3moe10topkGatingILi1ELi1ELi4ELi2ELi64El14__hip_bfloat16LNS0_11ScoringFuncE1EEEvPKT5_PKbPfiPT4_PiiiibPKf,"axG",@progbits,_ZN4vllm3moe10topkGatingILi1ELi1ELi4ELi2ELi64El14__hip_bfloat16LNS0_11ScoringFuncE1EEEvPKT5_PKbPfiPT4_PiiiibPKf,comdat
.Lfunc_end351:
	.size	_ZN4vllm3moe10topkGatingILi1ELi1ELi4ELi2ELi64El14__hip_bfloat16LNS0_11ScoringFuncE1EEEvPKT5_PKbPfiPT4_PiiiibPKf, .Lfunc_end351-_ZN4vllm3moe10topkGatingILi1ELi1ELi4ELi2ELi64El14__hip_bfloat16LNS0_11ScoringFuncE1EEEvPKT5_PKbPfiPT4_PiiiibPKf
                                        ; -- End function
	.section	.AMDGPU.csdata,"",@progbits
; Kernel info:
; codeLenInByte = 840
; NumSgprs: 18
; NumVgprs: 15
; ScratchSize: 0
; MemoryBound: 0
; FloatMode: 240
; IeeeMode: 1
; LDSByteSize: 0 bytes/workgroup (compile time only)
; SGPRBlocks: 2
; VGPRBlocks: 1
; NumSGPRsForWavesPerEU: 18
; NumVGPRsForWavesPerEU: 15
; Occupancy: 16
; WaveLimiterHint : 0
; COMPUTE_PGM_RSRC2:SCRATCH_EN: 0
; COMPUTE_PGM_RSRC2:USER_SGPR: 15
; COMPUTE_PGM_RSRC2:TRAP_HANDLER: 0
; COMPUTE_PGM_RSRC2:TGID_X_EN: 1
; COMPUTE_PGM_RSRC2:TGID_Y_EN: 0
; COMPUTE_PGM_RSRC2:TGID_Z_EN: 0
; COMPUTE_PGM_RSRC2:TIDIG_COMP_CNT: 1
	.section	.text._ZN4vllm3moe10topkGatingILi1ELi1ELi4ELi2ELi32El14__hip_bfloat16LNS0_11ScoringFuncE1EEEvPKT5_PKbPfiPT4_PiiiibPKf,"axG",@progbits,_ZN4vllm3moe10topkGatingILi1ELi1ELi4ELi2ELi32El14__hip_bfloat16LNS0_11ScoringFuncE1EEEvPKT5_PKbPfiPT4_PiiiibPKf,comdat
	.protected	_ZN4vllm3moe10topkGatingILi1ELi1ELi4ELi2ELi32El14__hip_bfloat16LNS0_11ScoringFuncE1EEEvPKT5_PKbPfiPT4_PiiiibPKf ; -- Begin function _ZN4vllm3moe10topkGatingILi1ELi1ELi4ELi2ELi32El14__hip_bfloat16LNS0_11ScoringFuncE1EEEvPKT5_PKbPfiPT4_PiiiibPKf
	.globl	_ZN4vllm3moe10topkGatingILi1ELi1ELi4ELi2ELi32El14__hip_bfloat16LNS0_11ScoringFuncE1EEEvPKT5_PKbPfiPT4_PiiiibPKf
	.p2align	8
	.type	_ZN4vllm3moe10topkGatingILi1ELi1ELi4ELi2ELi32El14__hip_bfloat16LNS0_11ScoringFuncE1EEEvPKT5_PKbPfiPT4_PiiiibPKf,@function
_ZN4vllm3moe10topkGatingILi1ELi1ELi4ELi2ELi32El14__hip_bfloat16LNS0_11ScoringFuncE1EEEvPKT5_PKbPfiPT4_PiiiibPKf: ; @_ZN4vllm3moe10topkGatingILi1ELi1ELi4ELi2ELi32El14__hip_bfloat16LNS0_11ScoringFuncE1EEEvPKT5_PKbPfiPT4_PiiiibPKf
; %bb.0:
	s_load_b32 s3, s[0:1], 0x18
	v_bfe_u32 v1, v0, 10, 10
	v_and_b32_e32 v0, 0x3ff, v0
	s_lshl_b32 s2, s15, 7
	s_delay_alu instid0(VALU_DEP_2) | instskip(NEXT) | instid1(VALU_DEP_1)
	v_lshlrev_b32_e32 v1, 5, v1
	v_add3_u32 v0, v1, v0, s2
	s_mov_b32 s2, exec_lo
	s_waitcnt lgkmcnt(0)
	s_delay_alu instid0(VALU_DEP_1)
	v_cmpx_gt_i32_e64 s3, v0
	s_cbranch_execz .LBB352_12
; %bb.1:
	s_clause 0x1
	s_load_b128 s[8:11], s[0:1], 0x0
	s_load_b64 s[12:13], s[0:1], 0x10
	v_ashrrev_i32_e32 v1, 31, v0
	s_waitcnt lgkmcnt(0)
	s_cmp_eq_u64 s[10:11], 0
	s_cbranch_scc1 .LBB352_3
; %bb.2:
	v_add_co_u32 v2, vcc_lo, s10, v0
	v_add_co_ci_u32_e32 v3, vcc_lo, s11, v1, vcc_lo
	global_load_u8 v2, v[2:3], off
	s_waitcnt vmcnt(0)
	v_and_b32_e32 v2, 1, v2
	s_delay_alu instid0(VALU_DEP_1) | instskip(SKIP_1) | instid1(SALU_CYCLE_1)
	v_cmp_eq_u32_e32 vcc_lo, 1, v2
	s_xor_b32 s2, vcc_lo, -1
	s_or_not1_b32 s14, s2, exec_lo
	s_branch .LBB352_4
.LBB352_3:
	s_mov_b32 s14, -1
.LBB352_4:
	s_load_b128 s[4:7], s[0:1], 0x30
	s_waitcnt lgkmcnt(0)
	s_bitcmp1_b32 s7, 0
	s_cselect_b32 s2, -1, 0
	s_cmp_gt_i32 s4, 0
	s_cselect_b32 s7, -1, 0
	s_cmp_lt_i32 s4, 1
	s_cbranch_scc1 .LBB352_8
; %bb.5:
	v_lshlrev_b64 v[1:2], 1, v[0:1]
	v_mul_lo_u32 v3, v0, s4
	s_cmp_lt_i32 s5, 1
	v_mov_b32_e32 v9, 0
	s_delay_alu instid0(VALU_DEP_3) | instskip(NEXT) | instid1(VALU_DEP_4)
	v_add_co_u32 v1, vcc_lo, s8, v1
	v_add_co_ci_u32_e32 v2, vcc_lo, s9, v2, vcc_lo
	s_load_b128 s[8:11], s[0:1], 0x20
	s_delay_alu instid0(VALU_DEP_4)
	v_ashrrev_i32_e32 v4, 31, v3
	s_cselect_b32 s0, -1, 0
	global_load_u16 v1, v[1:2], off
	s_cmp_gt_i32 s6, 0
	v_lshlrev_b64 v[5:6], 3, v[3:4]
	s_cselect_b32 s1, -1, 0
	v_lshlrev_b64 v[7:8], 2, v[3:4]
	s_sub_i32 s5, 0, s5
	s_and_b32 s0, s0, s1
	s_ashr_i32 s1, s5, 31
	s_and_b32 s0, s14, s0
	s_delay_alu instid0(SALU_CYCLE_1) | instskip(SKIP_2) | instid1(VALU_DEP_1)
	v_cndmask_b32_e64 v2, 0, s1, s0
	s_waitcnt vmcnt(0)
	v_lshlrev_b32_e32 v1, 16, v1
	v_mul_f32_e32 v1, 0xbfb8aa3b, v1
	s_delay_alu instid0(VALU_DEP_1) | instskip(SKIP_2) | instid1(VALU_DEP_1)
	v_exp_f32_e32 v1, v1
	s_waitcnt_depctr 0xfff
	v_add_f32_e32 v10, 1.0, v1
	v_div_scale_f32 v11, null, v10, v10, 1.0
	v_div_scale_f32 v13, vcc_lo, 1.0, v10, 1.0
	s_delay_alu instid0(VALU_DEP_2) | instskip(SKIP_2) | instid1(VALU_DEP_1)
	v_rcp_f32_e32 v12, v11
	s_waitcnt_depctr 0xfff
	v_fma_f32 v1, -v11, v12, 1.0
	v_fmac_f32_e32 v12, v1, v12
	s_delay_alu instid0(VALU_DEP_1) | instskip(NEXT) | instid1(VALU_DEP_1)
	v_mul_f32_e32 v14, v13, v12
	v_fma_f32 v1, -v11, v14, v13
	s_delay_alu instid0(VALU_DEP_1) | instskip(SKIP_2) | instid1(VALU_DEP_1)
	v_fmac_f32_e32 v14, v1, v12
	v_cndmask_b32_e64 v1, 1, s5, s0
	v_add_co_u32 v3, s0, s12, v7
	v_add_co_ci_u32_e64 v4, s0, s13, v8, s0
	s_delay_alu instid0(VALU_DEP_4) | instskip(SKIP_1) | instid1(VALU_DEP_1)
	v_fma_f32 v11, -v11, v14, v13
	s_mov_b32 s0, s4
	v_div_fmas_f32 v11, v11, v12, v14
	s_waitcnt lgkmcnt(0)
	v_add_co_u32 v5, vcc_lo, s8, v5
	v_add_co_ci_u32_e32 v6, vcc_lo, s9, v6, vcc_lo
	s_delay_alu instid0(VALU_DEP_3) | instskip(SKIP_3) | instid1(VALU_DEP_4)
	v_div_fixup_f32 v10, v11, v10, 1.0
	v_mov_b32_e32 v11, v0
	v_add_co_u32 v7, vcc_lo, s10, v7
	v_add_co_ci_u32_e32 v8, vcc_lo, s11, v8, vcc_lo
	v_cmp_class_f32_e64 vcc_lo, v10, 0x1f8
	v_cndmask_b32_e32 v10, 0, v10, vcc_lo
	.p2align	6
.LBB352_6:                              ; =>This Inner Loop Header: Depth=1
	global_store_b32 v[3:4], v10, off
	global_store_b64 v[5:6], v[1:2], off
	global_store_b32 v[7:8], v11, off
	v_add_co_u32 v3, vcc_lo, v3, 4
	v_add_co_ci_u32_e32 v4, vcc_lo, 0, v4, vcc_lo
	v_dual_add_f32 v12, v9, v10 :: v_dual_add_nc_u32 v11, s3, v11
	v_add_co_u32 v5, vcc_lo, v5, 8
	v_add_co_ci_u32_e32 v6, vcc_lo, 0, v6, vcc_lo
	v_add_co_u32 v7, vcc_lo, v7, 4
	s_delay_alu instid0(VALU_DEP_4) | instskip(SKIP_2) | instid1(SALU_CYCLE_1)
	v_cndmask_b32_e64 v9, v9, v12, s2
	v_add_co_ci_u32_e32 v8, vcc_lo, 0, v8, vcc_lo
	s_add_i32 s0, s0, -1
	s_cmp_lg_u32 s0, 0
	s_cbranch_scc1 .LBB352_6
; %bb.7:
	s_and_not1_b32 vcc_lo, exec_lo, s2
	s_cbranch_vccz .LBB352_9
	s_branch .LBB352_12
.LBB352_8:
	v_mov_b32_e32 v9, 0
	s_and_not1_b32 vcc_lo, exec_lo, s2
	s_cbranch_vccnz .LBB352_12
.LBB352_9:
	s_and_not1_b32 vcc_lo, exec_lo, s7
	s_cbranch_vccnz .LBB352_12
; %bb.10:
	v_mul_lo_u32 v0, v0, s4
	v_cmp_lt_f32_e32 vcc_lo, 0, v9
	v_cndmask_b32_e32 v2, 1.0, v9, vcc_lo
	s_delay_alu instid0(VALU_DEP_3) | instskip(NEXT) | instid1(VALU_DEP_1)
	v_ashrrev_i32_e32 v1, 31, v0
	v_lshlrev_b64 v[0:1], 2, v[0:1]
	s_delay_alu instid0(VALU_DEP_1) | instskip(NEXT) | instid1(VALU_DEP_2)
	v_add_co_u32 v0, vcc_lo, s12, v0
	v_add_co_ci_u32_e32 v1, vcc_lo, s13, v1, vcc_lo
	.p2align	6
.LBB352_11:                             ; =>This Inner Loop Header: Depth=1
	global_load_b32 v3, v[0:1], off
	s_add_i32 s4, s4, -1
	s_delay_alu instid0(SALU_CYCLE_1) | instskip(SKIP_3) | instid1(VALU_DEP_2)
	s_cmp_lg_u32 s4, 0
	s_waitcnt vmcnt(0)
	v_div_scale_f32 v4, null, v2, v2, v3
	v_div_scale_f32 v7, vcc_lo, v3, v2, v3
	v_rcp_f32_e32 v5, v4
	s_waitcnt_depctr 0xfff
	v_fma_f32 v6, -v4, v5, 1.0
	s_delay_alu instid0(VALU_DEP_1) | instskip(NEXT) | instid1(VALU_DEP_1)
	v_fmac_f32_e32 v5, v6, v5
	v_mul_f32_e32 v6, v7, v5
	s_delay_alu instid0(VALU_DEP_1) | instskip(NEXT) | instid1(VALU_DEP_1)
	v_fma_f32 v8, -v4, v6, v7
	v_fmac_f32_e32 v6, v8, v5
	s_delay_alu instid0(VALU_DEP_1) | instskip(NEXT) | instid1(VALU_DEP_1)
	v_fma_f32 v4, -v4, v6, v7
	v_div_fmas_f32 v4, v4, v5, v6
	s_delay_alu instid0(VALU_DEP_1)
	v_div_fixup_f32 v3, v4, v2, v3
	global_store_b32 v[0:1], v3, off
	v_add_co_u32 v0, vcc_lo, v0, 4
	v_add_co_ci_u32_e32 v1, vcc_lo, 0, v1, vcc_lo
	s_cbranch_scc1 .LBB352_11
.LBB352_12:
	s_nop 0
	s_sendmsg sendmsg(MSG_DEALLOC_VGPRS)
	s_endpgm
	.section	.rodata,"a",@progbits
	.p2align	6, 0x0
	.amdhsa_kernel _ZN4vllm3moe10topkGatingILi1ELi1ELi4ELi2ELi32El14__hip_bfloat16LNS0_11ScoringFuncE1EEEvPKT5_PKbPfiPT4_PiiiibPKf
		.amdhsa_group_segment_fixed_size 0
		.amdhsa_private_segment_fixed_size 0
		.amdhsa_kernarg_size 72
		.amdhsa_user_sgpr_count 15
		.amdhsa_user_sgpr_dispatch_ptr 0
		.amdhsa_user_sgpr_queue_ptr 0
		.amdhsa_user_sgpr_kernarg_segment_ptr 1
		.amdhsa_user_sgpr_dispatch_id 0
		.amdhsa_user_sgpr_private_segment_size 0
		.amdhsa_wavefront_size32 1
		.amdhsa_uses_dynamic_stack 0
		.amdhsa_enable_private_segment 0
		.amdhsa_system_sgpr_workgroup_id_x 1
		.amdhsa_system_sgpr_workgroup_id_y 0
		.amdhsa_system_sgpr_workgroup_id_z 0
		.amdhsa_system_sgpr_workgroup_info 0
		.amdhsa_system_vgpr_workitem_id 1
		.amdhsa_next_free_vgpr 15
		.amdhsa_next_free_sgpr 16
		.amdhsa_reserve_vcc 1
		.amdhsa_float_round_mode_32 0
		.amdhsa_float_round_mode_16_64 0
		.amdhsa_float_denorm_mode_32 3
		.amdhsa_float_denorm_mode_16_64 3
		.amdhsa_dx10_clamp 1
		.amdhsa_ieee_mode 1
		.amdhsa_fp16_overflow 0
		.amdhsa_workgroup_processor_mode 1
		.amdhsa_memory_ordered 1
		.amdhsa_forward_progress 0
		.amdhsa_shared_vgpr_count 0
		.amdhsa_exception_fp_ieee_invalid_op 0
		.amdhsa_exception_fp_denorm_src 0
		.amdhsa_exception_fp_ieee_div_zero 0
		.amdhsa_exception_fp_ieee_overflow 0
		.amdhsa_exception_fp_ieee_underflow 0
		.amdhsa_exception_fp_ieee_inexact 0
		.amdhsa_exception_int_div_zero 0
	.end_amdhsa_kernel
	.section	.text._ZN4vllm3moe10topkGatingILi1ELi1ELi4ELi2ELi32El14__hip_bfloat16LNS0_11ScoringFuncE1EEEvPKT5_PKbPfiPT4_PiiiibPKf,"axG",@progbits,_ZN4vllm3moe10topkGatingILi1ELi1ELi4ELi2ELi32El14__hip_bfloat16LNS0_11ScoringFuncE1EEEvPKT5_PKbPfiPT4_PiiiibPKf,comdat
.Lfunc_end352:
	.size	_ZN4vllm3moe10topkGatingILi1ELi1ELi4ELi2ELi32El14__hip_bfloat16LNS0_11ScoringFuncE1EEEvPKT5_PKbPfiPT4_PiiiibPKf, .Lfunc_end352-_ZN4vllm3moe10topkGatingILi1ELi1ELi4ELi2ELi32El14__hip_bfloat16LNS0_11ScoringFuncE1EEEvPKT5_PKbPfiPT4_PiiiibPKf
                                        ; -- End function
	.section	.AMDGPU.csdata,"",@progbits
; Kernel info:
; codeLenInByte = 840
; NumSgprs: 18
; NumVgprs: 15
; ScratchSize: 0
; MemoryBound: 0
; FloatMode: 240
; IeeeMode: 1
; LDSByteSize: 0 bytes/workgroup (compile time only)
; SGPRBlocks: 2
; VGPRBlocks: 1
; NumSGPRsForWavesPerEU: 18
; NumVGPRsForWavesPerEU: 15
; Occupancy: 16
; WaveLimiterHint : 0
; COMPUTE_PGM_RSRC2:SCRATCH_EN: 0
; COMPUTE_PGM_RSRC2:USER_SGPR: 15
; COMPUTE_PGM_RSRC2:TRAP_HANDLER: 0
; COMPUTE_PGM_RSRC2:TGID_X_EN: 1
; COMPUTE_PGM_RSRC2:TGID_Y_EN: 0
; COMPUTE_PGM_RSRC2:TGID_Z_EN: 0
; COMPUTE_PGM_RSRC2:TIDIG_COMP_CNT: 1
	.section	.text._ZN4vllm3moe10topkGatingILi2ELi2ELi4ELi4ELi64El14__hip_bfloat16LNS0_11ScoringFuncE1EEEvPKT5_PKbPfiPT4_PiiiibPKf,"axG",@progbits,_ZN4vllm3moe10topkGatingILi2ELi2ELi4ELi4ELi64El14__hip_bfloat16LNS0_11ScoringFuncE1EEEvPKT5_PKbPfiPT4_PiiiibPKf,comdat
	.protected	_ZN4vllm3moe10topkGatingILi2ELi2ELi4ELi4ELi64El14__hip_bfloat16LNS0_11ScoringFuncE1EEEvPKT5_PKbPfiPT4_PiiiibPKf ; -- Begin function _ZN4vllm3moe10topkGatingILi2ELi2ELi4ELi4ELi64El14__hip_bfloat16LNS0_11ScoringFuncE1EEEvPKT5_PKbPfiPT4_PiiiibPKf
	.globl	_ZN4vllm3moe10topkGatingILi2ELi2ELi4ELi4ELi64El14__hip_bfloat16LNS0_11ScoringFuncE1EEEvPKT5_PKbPfiPT4_PiiiibPKf
	.p2align	8
	.type	_ZN4vllm3moe10topkGatingILi2ELi2ELi4ELi4ELi64El14__hip_bfloat16LNS0_11ScoringFuncE1EEEvPKT5_PKbPfiPT4_PiiiibPKf,@function
_ZN4vllm3moe10topkGatingILi2ELi2ELi4ELi4ELi64El14__hip_bfloat16LNS0_11ScoringFuncE1EEEvPKT5_PKbPfiPT4_PiiiibPKf: ; @_ZN4vllm3moe10topkGatingILi2ELi2ELi4ELi4ELi64El14__hip_bfloat16LNS0_11ScoringFuncE1EEEvPKT5_PKbPfiPT4_PiiiibPKf
; %bb.0:
	s_load_b32 s3, s[0:1], 0x18
	v_bfe_u32 v1, v0, 10, 10
	v_and_b32_e32 v0, 0x3ff, v0
	s_lshl_b32 s2, s15, 8
	s_delay_alu instid0(VALU_DEP_2) | instskip(NEXT) | instid1(VALU_DEP_1)
	v_lshlrev_b32_e32 v1, 6, v1
	v_add3_u32 v10, v1, v0, s2
	s_mov_b32 s2, exec_lo
	s_waitcnt lgkmcnt(0)
	s_delay_alu instid0(VALU_DEP_1)
	v_cmpx_gt_i32_e64 s3, v10
	s_cbranch_execz .LBB353_14
; %bb.1:
	s_clause 0x1
	s_load_b128 s[4:7], s[0:1], 0x0
	s_load_b64 s[8:9], s[0:1], 0x10
	s_waitcnt lgkmcnt(0)
	s_cmp_eq_u64 s[6:7], 0
	s_cbranch_scc1 .LBB353_3
; %bb.2:
	v_ashrrev_i32_e32 v1, 31, v10
	v_add_co_u32 v0, vcc_lo, s6, v10
	s_delay_alu instid0(VALU_DEP_2) | instskip(SKIP_3) | instid1(VALU_DEP_1)
	v_add_co_ci_u32_e32 v1, vcc_lo, s7, v1, vcc_lo
	global_load_u8 v0, v[0:1], off
	s_waitcnt vmcnt(0)
	v_and_b32_e32 v0, 1, v0
	v_cmp_eq_u32_e32 vcc_lo, 1, v0
	s_xor_b32 s2, vcc_lo, -1
	s_delay_alu instid0(SALU_CYCLE_1)
	s_or_not1_b32 s10, s2, exec_lo
	s_branch .LBB353_4
.LBB353_3:
	s_mov_b32 s10, -1
.LBB353_4:
	v_lshlrev_b32_e32 v0, 1, v10
	s_delay_alu instid0(VALU_DEP_1) | instskip(NEXT) | instid1(VALU_DEP_1)
	v_ashrrev_i32_e32 v1, 31, v0
	v_lshlrev_b64 v[0:1], 1, v[0:1]
	s_delay_alu instid0(VALU_DEP_1) | instskip(NEXT) | instid1(VALU_DEP_2)
	v_add_co_u32 v0, vcc_lo, s4, v0
	v_add_co_ci_u32_e32 v1, vcc_lo, s5, v1, vcc_lo
	s_load_b64 s[4:5], s[0:1], 0x40
	global_load_b32 v0, v[0:1], off
	s_waitcnt lgkmcnt(0)
	s_cmp_eq_u64 s[4:5], 0
	s_waitcnt vmcnt(0)
	v_lshlrev_b32_e32 v1, 16, v0
	s_delay_alu instid0(VALU_DEP_1) | instskip(NEXT) | instid1(VALU_DEP_1)
	v_mul_f32_e32 v1, 0xbfb8aa3b, v1
	v_exp_f32_e32 v1, v1
	s_waitcnt_depctr 0xfff
	v_dual_add_f32 v1, 1.0, v1 :: v_dual_and_b32 v0, 0xffff0000, v0
	s_delay_alu instid0(VALU_DEP_1) | instskip(NEXT) | instid1(VALU_DEP_2)
	v_mul_f32_e32 v0, 0xbfb8aa3b, v0
	v_div_scale_f32 v2, null, v1, v1, 1.0
	s_delay_alu instid0(VALU_DEP_2) | instskip(SKIP_1) | instid1(VALU_DEP_2)
	v_exp_f32_e32 v0, v0
	v_div_scale_f32 v8, vcc_lo, 1.0, v1, 1.0
	v_rcp_f32_e32 v4, v2
	s_waitcnt_depctr 0xfff
	v_add_f32_e32 v0, 1.0, v0
	v_fma_f32 v6, -v2, v4, 1.0
	s_delay_alu instid0(VALU_DEP_2) | instskip(NEXT) | instid1(VALU_DEP_1)
	v_div_scale_f32 v3, null, v0, v0, 1.0
	v_rcp_f32_e32 v5, v3
	s_waitcnt_depctr 0xfff
	v_fma_f32 v7, -v3, v5, 1.0
	s_delay_alu instid0(VALU_DEP_1) | instskip(SKIP_1) | instid1(VALU_DEP_1)
	v_dual_fmac_f32 v5, v7, v5 :: v_dual_fmac_f32 v4, v6, v4
	v_div_scale_f32 v6, s2, 1.0, v0, 1.0
	v_mul_f32_e32 v9, v6, v5
	s_delay_alu instid0(VALU_DEP_1) | instskip(NEXT) | instid1(VALU_DEP_1)
	v_fma_f32 v12, -v3, v9, v6
	v_fmac_f32_e32 v9, v12, v5
	v_mul_f32_e32 v7, v8, v4
	s_delay_alu instid0(VALU_DEP_2) | instskip(NEXT) | instid1(VALU_DEP_2)
	v_fma_f32 v3, -v3, v9, v6
	v_fma_f32 v11, -v2, v7, v8
	s_delay_alu instid0(VALU_DEP_1) | instskip(NEXT) | instid1(VALU_DEP_1)
	v_fmac_f32_e32 v7, v11, v4
	v_fma_f32 v2, -v2, v7, v8
	s_delay_alu instid0(VALU_DEP_1) | instskip(SKIP_2) | instid1(VALU_DEP_2)
	v_div_fmas_f32 v2, v2, v4, v7
	s_mov_b32 vcc_lo, s2
	v_div_fmas_f32 v3, v3, v5, v9
	v_div_fixup_f32 v1, v2, v1, 1.0
	s_delay_alu instid0(VALU_DEP_2) | instskip(NEXT) | instid1(VALU_DEP_2)
	v_div_fixup_f32 v2, v3, v0, 1.0
	v_cmp_class_f32_e64 vcc_lo, v1, 0x1f8
	v_cndmask_b32_e32 v0, 0, v1, vcc_lo
	s_delay_alu instid0(VALU_DEP_3) | instskip(SKIP_1) | instid1(VALU_DEP_1)
	v_cmp_class_f32_e64 vcc_lo, v2, 0x1f8
	v_cndmask_b32_e32 v1, 0, v2, vcc_lo
	v_dual_mov_b32 v3, v1 :: v_dual_mov_b32 v2, v0
	s_cbranch_scc1 .LBB353_6
; %bb.5:
	s_load_b64 s[4:5], s[4:5], 0x0
	s_waitcnt lgkmcnt(0)
	v_dual_add_f32 v2, s4, v0 :: v_dual_add_f32 v3, s5, v1
.LBB353_6:
	s_load_b128 s[4:7], s[0:1], 0x30
	s_waitcnt lgkmcnt(0)
	s_bitcmp1_b32 s7, 0
	s_cselect_b32 vcc_lo, -1, 0
	s_cmp_gt_i32 s4, 0
	s_cselect_b32 s7, -1, 0
	s_cmp_lt_i32 s4, 1
	s_cbranch_scc1 .LBB353_10
; %bb.7:
	v_mul_lo_u32 v4, v10, s4
	s_load_b128 s[12:15], s[0:1], 0x20
	v_dual_mov_b32 v11, 0 :: v_dual_mov_b32 v12, v10
	s_mov_b32 s11, 0
	s_delay_alu instid0(VALU_DEP_2) | instskip(NEXT) | instid1(VALU_DEP_1)
	v_ashrrev_i32_e32 v5, 31, v4
	v_lshlrev_b64 v[8:9], 2, v[4:5]
	v_lshlrev_b64 v[6:7], 3, v[4:5]
	s_delay_alu instid0(VALU_DEP_2) | instskip(NEXT) | instid1(VALU_DEP_1)
	v_add_co_u32 v4, s0, s8, v8
	v_add_co_ci_u32_e64 v5, s0, s9, v9, s0
	s_waitcnt lgkmcnt(0)
	s_delay_alu instid0(VALU_DEP_3) | instskip(NEXT) | instid1(VALU_DEP_1)
	v_add_co_u32 v6, s0, s12, v6
	v_add_co_ci_u32_e64 v7, s0, s13, v7, s0
	v_add_co_u32 v8, s0, s14, v8
	s_delay_alu instid0(VALU_DEP_1)
	v_add_co_ci_u32_e64 v9, s0, s15, v9, s0
.LBB353_8:                              ; =>This Inner Loop Header: Depth=1
	v_cmp_gt_f32_e64 s0, v3, v2
	global_store_b32 v[8:9], v12, off
	v_add_co_u32 v8, s1, v8, 4
	s_delay_alu instid0(VALU_DEP_1)
	v_add_co_ci_u32_e64 v9, s1, 0, v9, s1
	v_cndmask_b32_e64 v13, 0, 1, s0
	v_cndmask_b32_e64 v14, v0, v1, s0
	;; [unrolled: 1-line block ×4, first 2 shown]
	s_add_i32 s11, s11, 1
	v_cmp_le_i32_e64 s1, s5, v13
	v_cmp_gt_i32_e64 s2, s6, v13
	v_subrev_nc_u32_e32 v13, s5, v13
	global_store_b32 v[4:5], v14, off
	v_add_co_u32 v4, s0, v4, 4
	s_and_b32 s1, s1, s2
	v_ashrrev_i32_e32 v17, 31, v13
	v_add_co_ci_u32_e64 v5, s0, 0, v5, s0
	s_and_b32 s0, s10, s1
	v_add_f32_e32 v18, v11, v14
	s_delay_alu instid0(VALU_DEP_3) | instskip(SKIP_2) | instid1(VALU_DEP_3)
	v_cndmask_b32_e64 v14, 0, v17, s0
	v_cndmask_b32_e64 v13, 2, v13, s0
	s_cmp_lt_i32 s11, s4
	v_dual_cndmask_b32 v11, v11, v18 :: v_dual_add_nc_u32 v12, s3, v12
	s_cselect_b32 s0, -1, 0
	global_store_b64 v[6:7], v[13:14], off
	v_cndmask_b32_e64 v3, v3, v16, s0
	v_cndmask_b32_e64 v2, v2, v15, s0
	v_add_co_u32 v6, s0, v6, 8
	s_delay_alu instid0(VALU_DEP_1)
	v_add_co_ci_u32_e64 v7, s0, 0, v7, s0
	s_cmp_eq_u32 s4, s11
	s_cbranch_scc0 .LBB353_8
; %bb.9:
	s_and_b32 vcc_lo, exec_lo, vcc_lo
	s_cbranch_vccnz .LBB353_11
	s_branch .LBB353_14
.LBB353_10:
	v_mov_b32_e32 v11, 0
	s_and_b32 vcc_lo, exec_lo, vcc_lo
	s_cbranch_vccz .LBB353_14
.LBB353_11:
	s_and_not1_b32 vcc_lo, exec_lo, s7
	s_cbranch_vccnz .LBB353_14
; %bb.12:
	v_mul_lo_u32 v0, v10, s4
	v_cmp_lt_f32_e32 vcc_lo, 0, v11
	v_cndmask_b32_e32 v2, 1.0, v11, vcc_lo
	s_delay_alu instid0(VALU_DEP_3) | instskip(NEXT) | instid1(VALU_DEP_1)
	v_ashrrev_i32_e32 v1, 31, v0
	v_lshlrev_b64 v[0:1], 2, v[0:1]
	s_delay_alu instid0(VALU_DEP_1) | instskip(NEXT) | instid1(VALU_DEP_2)
	v_add_co_u32 v0, vcc_lo, s8, v0
	v_add_co_ci_u32_e32 v1, vcc_lo, s9, v1, vcc_lo
	.p2align	6
.LBB353_13:                             ; =>This Inner Loop Header: Depth=1
	global_load_b32 v3, v[0:1], off
	s_add_i32 s4, s4, -1
	s_delay_alu instid0(SALU_CYCLE_1) | instskip(SKIP_3) | instid1(VALU_DEP_2)
	s_cmp_lg_u32 s4, 0
	s_waitcnt vmcnt(0)
	v_div_scale_f32 v4, null, v2, v2, v3
	v_div_scale_f32 v7, vcc_lo, v3, v2, v3
	v_rcp_f32_e32 v5, v4
	s_waitcnt_depctr 0xfff
	v_fma_f32 v6, -v4, v5, 1.0
	s_delay_alu instid0(VALU_DEP_1) | instskip(NEXT) | instid1(VALU_DEP_1)
	v_fmac_f32_e32 v5, v6, v5
	v_mul_f32_e32 v6, v7, v5
	s_delay_alu instid0(VALU_DEP_1) | instskip(NEXT) | instid1(VALU_DEP_1)
	v_fma_f32 v8, -v4, v6, v7
	v_fmac_f32_e32 v6, v8, v5
	s_delay_alu instid0(VALU_DEP_1) | instskip(NEXT) | instid1(VALU_DEP_1)
	v_fma_f32 v4, -v4, v6, v7
	v_div_fmas_f32 v4, v4, v5, v6
	s_delay_alu instid0(VALU_DEP_1)
	v_div_fixup_f32 v3, v4, v2, v3
	global_store_b32 v[0:1], v3, off
	v_add_co_u32 v0, vcc_lo, v0, 4
	v_add_co_ci_u32_e32 v1, vcc_lo, 0, v1, vcc_lo
	s_cbranch_scc1 .LBB353_13
.LBB353_14:
	s_nop 0
	s_sendmsg sendmsg(MSG_DEALLOC_VGPRS)
	s_endpgm
	.section	.rodata,"a",@progbits
	.p2align	6, 0x0
	.amdhsa_kernel _ZN4vllm3moe10topkGatingILi2ELi2ELi4ELi4ELi64El14__hip_bfloat16LNS0_11ScoringFuncE1EEEvPKT5_PKbPfiPT4_PiiiibPKf
		.amdhsa_group_segment_fixed_size 0
		.amdhsa_private_segment_fixed_size 0
		.amdhsa_kernarg_size 72
		.amdhsa_user_sgpr_count 15
		.amdhsa_user_sgpr_dispatch_ptr 0
		.amdhsa_user_sgpr_queue_ptr 0
		.amdhsa_user_sgpr_kernarg_segment_ptr 1
		.amdhsa_user_sgpr_dispatch_id 0
		.amdhsa_user_sgpr_private_segment_size 0
		.amdhsa_wavefront_size32 1
		.amdhsa_uses_dynamic_stack 0
		.amdhsa_enable_private_segment 0
		.amdhsa_system_sgpr_workgroup_id_x 1
		.amdhsa_system_sgpr_workgroup_id_y 0
		.amdhsa_system_sgpr_workgroup_id_z 0
		.amdhsa_system_sgpr_workgroup_info 0
		.amdhsa_system_vgpr_workitem_id 1
		.amdhsa_next_free_vgpr 19
		.amdhsa_next_free_sgpr 16
		.amdhsa_reserve_vcc 1
		.amdhsa_float_round_mode_32 0
		.amdhsa_float_round_mode_16_64 0
		.amdhsa_float_denorm_mode_32 3
		.amdhsa_float_denorm_mode_16_64 3
		.amdhsa_dx10_clamp 1
		.amdhsa_ieee_mode 1
		.amdhsa_fp16_overflow 0
		.amdhsa_workgroup_processor_mode 1
		.amdhsa_memory_ordered 1
		.amdhsa_forward_progress 0
		.amdhsa_shared_vgpr_count 0
		.amdhsa_exception_fp_ieee_invalid_op 0
		.amdhsa_exception_fp_denorm_src 0
		.amdhsa_exception_fp_ieee_div_zero 0
		.amdhsa_exception_fp_ieee_overflow 0
		.amdhsa_exception_fp_ieee_underflow 0
		.amdhsa_exception_fp_ieee_inexact 0
		.amdhsa_exception_int_div_zero 0
	.end_amdhsa_kernel
	.section	.text._ZN4vllm3moe10topkGatingILi2ELi2ELi4ELi4ELi64El14__hip_bfloat16LNS0_11ScoringFuncE1EEEvPKT5_PKbPfiPT4_PiiiibPKf,"axG",@progbits,_ZN4vllm3moe10topkGatingILi2ELi2ELi4ELi4ELi64El14__hip_bfloat16LNS0_11ScoringFuncE1EEEvPKT5_PKbPfiPT4_PiiiibPKf,comdat
.Lfunc_end353:
	.size	_ZN4vllm3moe10topkGatingILi2ELi2ELi4ELi4ELi64El14__hip_bfloat16LNS0_11ScoringFuncE1EEEvPKT5_PKbPfiPT4_PiiiibPKf, .Lfunc_end353-_ZN4vllm3moe10topkGatingILi2ELi2ELi4ELi4ELi64El14__hip_bfloat16LNS0_11ScoringFuncE1EEEvPKT5_PKbPfiPT4_PiiiibPKf
                                        ; -- End function
	.section	.AMDGPU.csdata,"",@progbits
; Kernel info:
; codeLenInByte = 1148
; NumSgprs: 18
; NumVgprs: 19
; ScratchSize: 0
; MemoryBound: 0
; FloatMode: 240
; IeeeMode: 1
; LDSByteSize: 0 bytes/workgroup (compile time only)
; SGPRBlocks: 2
; VGPRBlocks: 2
; NumSGPRsForWavesPerEU: 18
; NumVGPRsForWavesPerEU: 19
; Occupancy: 16
; WaveLimiterHint : 0
; COMPUTE_PGM_RSRC2:SCRATCH_EN: 0
; COMPUTE_PGM_RSRC2:USER_SGPR: 15
; COMPUTE_PGM_RSRC2:TRAP_HANDLER: 0
; COMPUTE_PGM_RSRC2:TGID_X_EN: 1
; COMPUTE_PGM_RSRC2:TGID_Y_EN: 0
; COMPUTE_PGM_RSRC2:TGID_Z_EN: 0
; COMPUTE_PGM_RSRC2:TIDIG_COMP_CNT: 1
	.section	.text._ZN4vllm3moe10topkGatingILi2ELi2ELi4ELi4ELi32El14__hip_bfloat16LNS0_11ScoringFuncE1EEEvPKT5_PKbPfiPT4_PiiiibPKf,"axG",@progbits,_ZN4vllm3moe10topkGatingILi2ELi2ELi4ELi4ELi32El14__hip_bfloat16LNS0_11ScoringFuncE1EEEvPKT5_PKbPfiPT4_PiiiibPKf,comdat
	.protected	_ZN4vllm3moe10topkGatingILi2ELi2ELi4ELi4ELi32El14__hip_bfloat16LNS0_11ScoringFuncE1EEEvPKT5_PKbPfiPT4_PiiiibPKf ; -- Begin function _ZN4vllm3moe10topkGatingILi2ELi2ELi4ELi4ELi32El14__hip_bfloat16LNS0_11ScoringFuncE1EEEvPKT5_PKbPfiPT4_PiiiibPKf
	.globl	_ZN4vllm3moe10topkGatingILi2ELi2ELi4ELi4ELi32El14__hip_bfloat16LNS0_11ScoringFuncE1EEEvPKT5_PKbPfiPT4_PiiiibPKf
	.p2align	8
	.type	_ZN4vllm3moe10topkGatingILi2ELi2ELi4ELi4ELi32El14__hip_bfloat16LNS0_11ScoringFuncE1EEEvPKT5_PKbPfiPT4_PiiiibPKf,@function
_ZN4vllm3moe10topkGatingILi2ELi2ELi4ELi4ELi32El14__hip_bfloat16LNS0_11ScoringFuncE1EEEvPKT5_PKbPfiPT4_PiiiibPKf: ; @_ZN4vllm3moe10topkGatingILi2ELi2ELi4ELi4ELi32El14__hip_bfloat16LNS0_11ScoringFuncE1EEEvPKT5_PKbPfiPT4_PiiiibPKf
; %bb.0:
	s_load_b32 s3, s[0:1], 0x18
	v_bfe_u32 v1, v0, 10, 10
	v_and_b32_e32 v0, 0x3ff, v0
	s_lshl_b32 s2, s15, 7
	s_delay_alu instid0(VALU_DEP_2) | instskip(NEXT) | instid1(VALU_DEP_1)
	v_lshlrev_b32_e32 v1, 5, v1
	v_add3_u32 v10, v1, v0, s2
	s_mov_b32 s2, exec_lo
	s_waitcnt lgkmcnt(0)
	s_delay_alu instid0(VALU_DEP_1)
	v_cmpx_gt_i32_e64 s3, v10
	s_cbranch_execz .LBB354_14
; %bb.1:
	s_clause 0x1
	s_load_b128 s[4:7], s[0:1], 0x0
	s_load_b64 s[8:9], s[0:1], 0x10
	s_waitcnt lgkmcnt(0)
	s_cmp_eq_u64 s[6:7], 0
	s_cbranch_scc1 .LBB354_3
; %bb.2:
	v_ashrrev_i32_e32 v1, 31, v10
	v_add_co_u32 v0, vcc_lo, s6, v10
	s_delay_alu instid0(VALU_DEP_2) | instskip(SKIP_3) | instid1(VALU_DEP_1)
	v_add_co_ci_u32_e32 v1, vcc_lo, s7, v1, vcc_lo
	global_load_u8 v0, v[0:1], off
	s_waitcnt vmcnt(0)
	v_and_b32_e32 v0, 1, v0
	v_cmp_eq_u32_e32 vcc_lo, 1, v0
	s_xor_b32 s2, vcc_lo, -1
	s_delay_alu instid0(SALU_CYCLE_1)
	s_or_not1_b32 s10, s2, exec_lo
	s_branch .LBB354_4
.LBB354_3:
	s_mov_b32 s10, -1
.LBB354_4:
	v_lshlrev_b32_e32 v0, 1, v10
	s_delay_alu instid0(VALU_DEP_1) | instskip(NEXT) | instid1(VALU_DEP_1)
	v_ashrrev_i32_e32 v1, 31, v0
	v_lshlrev_b64 v[0:1], 1, v[0:1]
	s_delay_alu instid0(VALU_DEP_1) | instskip(NEXT) | instid1(VALU_DEP_2)
	v_add_co_u32 v0, vcc_lo, s4, v0
	v_add_co_ci_u32_e32 v1, vcc_lo, s5, v1, vcc_lo
	s_load_b64 s[4:5], s[0:1], 0x40
	global_load_b32 v0, v[0:1], off
	s_waitcnt lgkmcnt(0)
	s_cmp_eq_u64 s[4:5], 0
	s_waitcnt vmcnt(0)
	v_lshlrev_b32_e32 v1, 16, v0
	s_delay_alu instid0(VALU_DEP_1) | instskip(NEXT) | instid1(VALU_DEP_1)
	v_mul_f32_e32 v1, 0xbfb8aa3b, v1
	v_exp_f32_e32 v1, v1
	s_waitcnt_depctr 0xfff
	v_dual_add_f32 v1, 1.0, v1 :: v_dual_and_b32 v0, 0xffff0000, v0
	s_delay_alu instid0(VALU_DEP_1) | instskip(NEXT) | instid1(VALU_DEP_2)
	v_mul_f32_e32 v0, 0xbfb8aa3b, v0
	v_div_scale_f32 v2, null, v1, v1, 1.0
	s_delay_alu instid0(VALU_DEP_2) | instskip(SKIP_1) | instid1(VALU_DEP_2)
	v_exp_f32_e32 v0, v0
	v_div_scale_f32 v8, vcc_lo, 1.0, v1, 1.0
	v_rcp_f32_e32 v4, v2
	s_waitcnt_depctr 0xfff
	v_add_f32_e32 v0, 1.0, v0
	v_fma_f32 v6, -v2, v4, 1.0
	s_delay_alu instid0(VALU_DEP_2) | instskip(NEXT) | instid1(VALU_DEP_1)
	v_div_scale_f32 v3, null, v0, v0, 1.0
	v_rcp_f32_e32 v5, v3
	s_waitcnt_depctr 0xfff
	v_fma_f32 v7, -v3, v5, 1.0
	s_delay_alu instid0(VALU_DEP_1) | instskip(SKIP_1) | instid1(VALU_DEP_1)
	v_dual_fmac_f32 v5, v7, v5 :: v_dual_fmac_f32 v4, v6, v4
	v_div_scale_f32 v6, s2, 1.0, v0, 1.0
	v_mul_f32_e32 v9, v6, v5
	s_delay_alu instid0(VALU_DEP_1) | instskip(NEXT) | instid1(VALU_DEP_1)
	v_fma_f32 v12, -v3, v9, v6
	v_fmac_f32_e32 v9, v12, v5
	v_mul_f32_e32 v7, v8, v4
	s_delay_alu instid0(VALU_DEP_2) | instskip(NEXT) | instid1(VALU_DEP_2)
	v_fma_f32 v3, -v3, v9, v6
	v_fma_f32 v11, -v2, v7, v8
	s_delay_alu instid0(VALU_DEP_1) | instskip(NEXT) | instid1(VALU_DEP_1)
	v_fmac_f32_e32 v7, v11, v4
	v_fma_f32 v2, -v2, v7, v8
	s_delay_alu instid0(VALU_DEP_1) | instskip(SKIP_2) | instid1(VALU_DEP_2)
	v_div_fmas_f32 v2, v2, v4, v7
	s_mov_b32 vcc_lo, s2
	v_div_fmas_f32 v3, v3, v5, v9
	v_div_fixup_f32 v1, v2, v1, 1.0
	s_delay_alu instid0(VALU_DEP_2) | instskip(NEXT) | instid1(VALU_DEP_2)
	v_div_fixup_f32 v2, v3, v0, 1.0
	v_cmp_class_f32_e64 vcc_lo, v1, 0x1f8
	v_cndmask_b32_e32 v0, 0, v1, vcc_lo
	s_delay_alu instid0(VALU_DEP_3) | instskip(SKIP_1) | instid1(VALU_DEP_1)
	v_cmp_class_f32_e64 vcc_lo, v2, 0x1f8
	v_cndmask_b32_e32 v1, 0, v2, vcc_lo
	v_dual_mov_b32 v3, v1 :: v_dual_mov_b32 v2, v0
	s_cbranch_scc1 .LBB354_6
; %bb.5:
	s_load_b64 s[4:5], s[4:5], 0x0
	s_waitcnt lgkmcnt(0)
	v_dual_add_f32 v2, s4, v0 :: v_dual_add_f32 v3, s5, v1
.LBB354_6:
	s_load_b128 s[4:7], s[0:1], 0x30
	s_waitcnt lgkmcnt(0)
	s_bitcmp1_b32 s7, 0
	s_cselect_b32 vcc_lo, -1, 0
	s_cmp_gt_i32 s4, 0
	s_cselect_b32 s7, -1, 0
	s_cmp_lt_i32 s4, 1
	s_cbranch_scc1 .LBB354_10
; %bb.7:
	v_mul_lo_u32 v4, v10, s4
	s_load_b128 s[12:15], s[0:1], 0x20
	v_dual_mov_b32 v11, 0 :: v_dual_mov_b32 v12, v10
	s_mov_b32 s11, 0
	s_delay_alu instid0(VALU_DEP_2) | instskip(NEXT) | instid1(VALU_DEP_1)
	v_ashrrev_i32_e32 v5, 31, v4
	v_lshlrev_b64 v[8:9], 2, v[4:5]
	v_lshlrev_b64 v[6:7], 3, v[4:5]
	s_delay_alu instid0(VALU_DEP_2) | instskip(NEXT) | instid1(VALU_DEP_1)
	v_add_co_u32 v4, s0, s8, v8
	v_add_co_ci_u32_e64 v5, s0, s9, v9, s0
	s_waitcnt lgkmcnt(0)
	s_delay_alu instid0(VALU_DEP_3) | instskip(NEXT) | instid1(VALU_DEP_1)
	v_add_co_u32 v6, s0, s12, v6
	v_add_co_ci_u32_e64 v7, s0, s13, v7, s0
	v_add_co_u32 v8, s0, s14, v8
	s_delay_alu instid0(VALU_DEP_1)
	v_add_co_ci_u32_e64 v9, s0, s15, v9, s0
.LBB354_8:                              ; =>This Inner Loop Header: Depth=1
	v_cmp_gt_f32_e64 s0, v3, v2
	global_store_b32 v[8:9], v12, off
	v_add_co_u32 v8, s1, v8, 4
	s_delay_alu instid0(VALU_DEP_1)
	v_add_co_ci_u32_e64 v9, s1, 0, v9, s1
	v_cndmask_b32_e64 v13, 0, 1, s0
	v_cndmask_b32_e64 v14, v0, v1, s0
	;; [unrolled: 1-line block ×4, first 2 shown]
	s_add_i32 s11, s11, 1
	v_cmp_le_i32_e64 s1, s5, v13
	v_cmp_gt_i32_e64 s2, s6, v13
	v_subrev_nc_u32_e32 v13, s5, v13
	global_store_b32 v[4:5], v14, off
	v_add_co_u32 v4, s0, v4, 4
	s_and_b32 s1, s1, s2
	v_ashrrev_i32_e32 v17, 31, v13
	v_add_co_ci_u32_e64 v5, s0, 0, v5, s0
	s_and_b32 s0, s10, s1
	v_add_f32_e32 v18, v11, v14
	s_delay_alu instid0(VALU_DEP_3) | instskip(SKIP_2) | instid1(VALU_DEP_3)
	v_cndmask_b32_e64 v14, 0, v17, s0
	v_cndmask_b32_e64 v13, 2, v13, s0
	s_cmp_lt_i32 s11, s4
	v_dual_cndmask_b32 v11, v11, v18 :: v_dual_add_nc_u32 v12, s3, v12
	s_cselect_b32 s0, -1, 0
	global_store_b64 v[6:7], v[13:14], off
	v_cndmask_b32_e64 v3, v3, v16, s0
	v_cndmask_b32_e64 v2, v2, v15, s0
	v_add_co_u32 v6, s0, v6, 8
	s_delay_alu instid0(VALU_DEP_1)
	v_add_co_ci_u32_e64 v7, s0, 0, v7, s0
	s_cmp_eq_u32 s4, s11
	s_cbranch_scc0 .LBB354_8
; %bb.9:
	s_and_b32 vcc_lo, exec_lo, vcc_lo
	s_cbranch_vccnz .LBB354_11
	s_branch .LBB354_14
.LBB354_10:
	v_mov_b32_e32 v11, 0
	s_and_b32 vcc_lo, exec_lo, vcc_lo
	s_cbranch_vccz .LBB354_14
.LBB354_11:
	s_and_not1_b32 vcc_lo, exec_lo, s7
	s_cbranch_vccnz .LBB354_14
; %bb.12:
	v_mul_lo_u32 v0, v10, s4
	v_cmp_lt_f32_e32 vcc_lo, 0, v11
	v_cndmask_b32_e32 v2, 1.0, v11, vcc_lo
	s_delay_alu instid0(VALU_DEP_3) | instskip(NEXT) | instid1(VALU_DEP_1)
	v_ashrrev_i32_e32 v1, 31, v0
	v_lshlrev_b64 v[0:1], 2, v[0:1]
	s_delay_alu instid0(VALU_DEP_1) | instskip(NEXT) | instid1(VALU_DEP_2)
	v_add_co_u32 v0, vcc_lo, s8, v0
	v_add_co_ci_u32_e32 v1, vcc_lo, s9, v1, vcc_lo
	.p2align	6
.LBB354_13:                             ; =>This Inner Loop Header: Depth=1
	global_load_b32 v3, v[0:1], off
	s_add_i32 s4, s4, -1
	s_delay_alu instid0(SALU_CYCLE_1) | instskip(SKIP_3) | instid1(VALU_DEP_2)
	s_cmp_lg_u32 s4, 0
	s_waitcnt vmcnt(0)
	v_div_scale_f32 v4, null, v2, v2, v3
	v_div_scale_f32 v7, vcc_lo, v3, v2, v3
	v_rcp_f32_e32 v5, v4
	s_waitcnt_depctr 0xfff
	v_fma_f32 v6, -v4, v5, 1.0
	s_delay_alu instid0(VALU_DEP_1) | instskip(NEXT) | instid1(VALU_DEP_1)
	v_fmac_f32_e32 v5, v6, v5
	v_mul_f32_e32 v6, v7, v5
	s_delay_alu instid0(VALU_DEP_1) | instskip(NEXT) | instid1(VALU_DEP_1)
	v_fma_f32 v8, -v4, v6, v7
	v_fmac_f32_e32 v6, v8, v5
	s_delay_alu instid0(VALU_DEP_1) | instskip(NEXT) | instid1(VALU_DEP_1)
	v_fma_f32 v4, -v4, v6, v7
	v_div_fmas_f32 v4, v4, v5, v6
	s_delay_alu instid0(VALU_DEP_1)
	v_div_fixup_f32 v3, v4, v2, v3
	global_store_b32 v[0:1], v3, off
	v_add_co_u32 v0, vcc_lo, v0, 4
	v_add_co_ci_u32_e32 v1, vcc_lo, 0, v1, vcc_lo
	s_cbranch_scc1 .LBB354_13
.LBB354_14:
	s_nop 0
	s_sendmsg sendmsg(MSG_DEALLOC_VGPRS)
	s_endpgm
	.section	.rodata,"a",@progbits
	.p2align	6, 0x0
	.amdhsa_kernel _ZN4vllm3moe10topkGatingILi2ELi2ELi4ELi4ELi32El14__hip_bfloat16LNS0_11ScoringFuncE1EEEvPKT5_PKbPfiPT4_PiiiibPKf
		.amdhsa_group_segment_fixed_size 0
		.amdhsa_private_segment_fixed_size 0
		.amdhsa_kernarg_size 72
		.amdhsa_user_sgpr_count 15
		.amdhsa_user_sgpr_dispatch_ptr 0
		.amdhsa_user_sgpr_queue_ptr 0
		.amdhsa_user_sgpr_kernarg_segment_ptr 1
		.amdhsa_user_sgpr_dispatch_id 0
		.amdhsa_user_sgpr_private_segment_size 0
		.amdhsa_wavefront_size32 1
		.amdhsa_uses_dynamic_stack 0
		.amdhsa_enable_private_segment 0
		.amdhsa_system_sgpr_workgroup_id_x 1
		.amdhsa_system_sgpr_workgroup_id_y 0
		.amdhsa_system_sgpr_workgroup_id_z 0
		.amdhsa_system_sgpr_workgroup_info 0
		.amdhsa_system_vgpr_workitem_id 1
		.amdhsa_next_free_vgpr 19
		.amdhsa_next_free_sgpr 16
		.amdhsa_reserve_vcc 1
		.amdhsa_float_round_mode_32 0
		.amdhsa_float_round_mode_16_64 0
		.amdhsa_float_denorm_mode_32 3
		.amdhsa_float_denorm_mode_16_64 3
		.amdhsa_dx10_clamp 1
		.amdhsa_ieee_mode 1
		.amdhsa_fp16_overflow 0
		.amdhsa_workgroup_processor_mode 1
		.amdhsa_memory_ordered 1
		.amdhsa_forward_progress 0
		.amdhsa_shared_vgpr_count 0
		.amdhsa_exception_fp_ieee_invalid_op 0
		.amdhsa_exception_fp_denorm_src 0
		.amdhsa_exception_fp_ieee_div_zero 0
		.amdhsa_exception_fp_ieee_overflow 0
		.amdhsa_exception_fp_ieee_underflow 0
		.amdhsa_exception_fp_ieee_inexact 0
		.amdhsa_exception_int_div_zero 0
	.end_amdhsa_kernel
	.section	.text._ZN4vllm3moe10topkGatingILi2ELi2ELi4ELi4ELi32El14__hip_bfloat16LNS0_11ScoringFuncE1EEEvPKT5_PKbPfiPT4_PiiiibPKf,"axG",@progbits,_ZN4vllm3moe10topkGatingILi2ELi2ELi4ELi4ELi32El14__hip_bfloat16LNS0_11ScoringFuncE1EEEvPKT5_PKbPfiPT4_PiiiibPKf,comdat
.Lfunc_end354:
	.size	_ZN4vllm3moe10topkGatingILi2ELi2ELi4ELi4ELi32El14__hip_bfloat16LNS0_11ScoringFuncE1EEEvPKT5_PKbPfiPT4_PiiiibPKf, .Lfunc_end354-_ZN4vllm3moe10topkGatingILi2ELi2ELi4ELi4ELi32El14__hip_bfloat16LNS0_11ScoringFuncE1EEEvPKT5_PKbPfiPT4_PiiiibPKf
                                        ; -- End function
	.section	.AMDGPU.csdata,"",@progbits
; Kernel info:
; codeLenInByte = 1148
; NumSgprs: 18
; NumVgprs: 19
; ScratchSize: 0
; MemoryBound: 0
; FloatMode: 240
; IeeeMode: 1
; LDSByteSize: 0 bytes/workgroup (compile time only)
; SGPRBlocks: 2
; VGPRBlocks: 2
; NumSGPRsForWavesPerEU: 18
; NumVGPRsForWavesPerEU: 19
; Occupancy: 16
; WaveLimiterHint : 0
; COMPUTE_PGM_RSRC2:SCRATCH_EN: 0
; COMPUTE_PGM_RSRC2:USER_SGPR: 15
; COMPUTE_PGM_RSRC2:TRAP_HANDLER: 0
; COMPUTE_PGM_RSRC2:TGID_X_EN: 1
; COMPUTE_PGM_RSRC2:TGID_Y_EN: 0
; COMPUTE_PGM_RSRC2:TGID_Z_EN: 0
; COMPUTE_PGM_RSRC2:TIDIG_COMP_CNT: 1
	.section	.text._ZN4vllm3moe10topkGatingILi4ELi4ELi4ELi8ELi64El14__hip_bfloat16LNS0_11ScoringFuncE1EEEvPKT5_PKbPfiPT4_PiiiibPKf,"axG",@progbits,_ZN4vllm3moe10topkGatingILi4ELi4ELi4ELi8ELi64El14__hip_bfloat16LNS0_11ScoringFuncE1EEEvPKT5_PKbPfiPT4_PiiiibPKf,comdat
	.protected	_ZN4vllm3moe10topkGatingILi4ELi4ELi4ELi8ELi64El14__hip_bfloat16LNS0_11ScoringFuncE1EEEvPKT5_PKbPfiPT4_PiiiibPKf ; -- Begin function _ZN4vllm3moe10topkGatingILi4ELi4ELi4ELi8ELi64El14__hip_bfloat16LNS0_11ScoringFuncE1EEEvPKT5_PKbPfiPT4_PiiiibPKf
	.globl	_ZN4vllm3moe10topkGatingILi4ELi4ELi4ELi8ELi64El14__hip_bfloat16LNS0_11ScoringFuncE1EEEvPKT5_PKbPfiPT4_PiiiibPKf
	.p2align	8
	.type	_ZN4vllm3moe10topkGatingILi4ELi4ELi4ELi8ELi64El14__hip_bfloat16LNS0_11ScoringFuncE1EEEvPKT5_PKbPfiPT4_PiiiibPKf,@function
_ZN4vllm3moe10topkGatingILi4ELi4ELi4ELi8ELi64El14__hip_bfloat16LNS0_11ScoringFuncE1EEEvPKT5_PKbPfiPT4_PiiiibPKf: ; @_ZN4vllm3moe10topkGatingILi4ELi4ELi4ELi8ELi64El14__hip_bfloat16LNS0_11ScoringFuncE1EEEvPKT5_PKbPfiPT4_PiiiibPKf
; %bb.0:
	s_load_b32 s10, s[0:1], 0x18
	v_bfe_u32 v1, v0, 10, 10
	v_and_b32_e32 v0, 0x3ff, v0
	s_lshl_b32 s2, s15, 8
	s_delay_alu instid0(VALU_DEP_2) | instskip(NEXT) | instid1(VALU_DEP_1)
	v_lshlrev_b32_e32 v1, 6, v1
	v_add3_u32 v14, v1, v0, s2
	s_mov_b32 s2, exec_lo
	s_waitcnt lgkmcnt(0)
	s_delay_alu instid0(VALU_DEP_1)
	v_cmpx_gt_i32_e64 s10, v14
	s_cbranch_execz .LBB355_15
; %bb.1:
	s_clause 0x1
	s_load_b128 s[4:7], s[0:1], 0x0
	s_load_b64 s[8:9], s[0:1], 0x10
	s_mov_b32 s12, -1
	s_mov_b32 s11, -1
	s_waitcnt lgkmcnt(0)
	s_cmp_eq_u64 s[6:7], 0
	s_cbranch_scc1 .LBB355_3
; %bb.2:
	v_ashrrev_i32_e32 v1, 31, v14
	v_add_co_u32 v0, vcc_lo, s6, v14
	s_delay_alu instid0(VALU_DEP_2) | instskip(SKIP_3) | instid1(VALU_DEP_1)
	v_add_co_ci_u32_e32 v1, vcc_lo, s7, v1, vcc_lo
	global_load_u8 v0, v[0:1], off
	s_waitcnt vmcnt(0)
	v_and_b32_e32 v0, 1, v0
	v_cmp_eq_u32_e32 vcc_lo, 1, v0
	s_xor_b32 s2, vcc_lo, -1
	s_delay_alu instid0(SALU_CYCLE_1)
	s_or_not1_b32 s11, s2, exec_lo
.LBB355_3:
	v_lshlrev_b32_e32 v0, 2, v14
	s_load_b64 s[6:7], s[0:1], 0x40
	s_delay_alu instid0(VALU_DEP_1) | instskip(NEXT) | instid1(VALU_DEP_1)
	v_ashrrev_i32_e32 v1, 31, v0
	v_lshlrev_b64 v[0:1], 1, v[0:1]
	s_delay_alu instid0(VALU_DEP_1) | instskip(NEXT) | instid1(VALU_DEP_2)
	v_add_co_u32 v0, vcc_lo, s4, v0
	v_add_co_ci_u32_e32 v1, vcc_lo, s5, v1, vcc_lo
	s_waitcnt lgkmcnt(0)
	s_cmp_eq_u64 s[6:7], 0
	global_load_b64 v[0:1], v[0:1], off
	s_waitcnt vmcnt(0)
	v_lshlrev_b32_e32 v2, 16, v0
	v_and_b32_e32 v3, 0xffff0000, v0
	v_alignbit_b32 v0, v1, v0, 16
	s_delay_alu instid0(VALU_DEP_1) | instskip(NEXT) | instid1(VALU_DEP_1)
	v_and_b32_e32 v0, 0xffff0000, v0
	v_mul_f32_e32 v0, 0xbfb8aa3b, v0
	s_delay_alu instid0(VALU_DEP_1) | instskip(SKIP_2) | instid1(VALU_DEP_1)
	v_exp_f32_e32 v0, v0
	s_waitcnt_depctr 0xfff
	v_dual_add_f32 v0, 1.0, v0 :: v_dual_and_b32 v1, 0xffff0000, v1
	v_dual_mul_f32 v1, 0xbfb8aa3b, v1 :: v_dual_mul_f32 v2, 0xbfb8aa3b, v2
	s_delay_alu instid0(VALU_DEP_2) | instskip(NEXT) | instid1(VALU_DEP_2)
	v_div_scale_f32 v9, null, v0, v0, 1.0
	v_exp_f32_e32 v2, v2
	s_delay_alu instid0(VALU_DEP_2) | instskip(NEXT) | instid1(VALU_DEP_1)
	v_exp_f32_e32 v1, v1
	v_rcp_f32_e32 v12, v9
	s_delay_alu instid0(TRANS32_DEP_3) | instskip(SKIP_4) | instid1(VALU_DEP_2)
	v_dual_add_f32 v2, 1.0, v2 :: v_dual_mul_f32 v3, 0xbfb8aa3b, v3
	s_waitcnt_depctr 0xfff
	v_add_f32_e32 v1, 1.0, v1
	v_div_scale_f32 v4, null, v2, v2, 1.0
	v_exp_f32_e32 v3, v3
	v_div_scale_f32 v6, null, v1, v1, 1.0
	s_delay_alu instid0(VALU_DEP_2) | instskip(SKIP_1) | instid1(VALU_DEP_2)
	v_rcp_f32_e32 v7, v4
	v_div_scale_f32 v11, vcc_lo, 1.0, v2, 1.0
	v_rcp_f32_e32 v10, v6
	v_div_scale_f32 v18, s3, 1.0, v1, 1.0
	s_delay_alu instid0(TRANS32_DEP_3) | instskip(SKIP_4) | instid1(VALU_DEP_3)
	v_add_f32_e32 v3, 1.0, v3
	s_waitcnt_depctr 0xfff
	v_fma_f32 v15, -v4, v7, 1.0
	v_div_scale_f32 v5, null, v3, v3, 1.0
	v_fma_f32 v17, -v6, v10, 1.0
	v_fmac_f32_e32 v7, v15, v7
	v_div_scale_f32 v13, s2, 1.0, v3, 1.0
	s_delay_alu instid0(VALU_DEP_4) | instskip(NEXT) | instid1(VALU_DEP_3)
	v_rcp_f32_e32 v8, v5
	v_fmac_f32_e32 v10, v17, v10
	v_fma_f32 v15, -v9, v12, 1.0
	v_mul_f32_e32 v17, v11, v7
	s_delay_alu instid0(VALU_DEP_1) | instskip(SKIP_3) | instid1(VALU_DEP_2)
	v_fma_f32 v20, -v4, v17, v11
	s_waitcnt_depctr 0xfff
	v_fma_f32 v16, -v5, v8, 1.0
	v_dual_fmac_f32 v17, v20, v7 :: v_dual_fmac_f32 v12, v15, v12
	v_dual_mul_f32 v15, v18, v10 :: v_dual_fmac_f32 v8, v16, v8
	v_div_scale_f32 v16, s4, 1.0, v0, 1.0
	s_delay_alu instid0(VALU_DEP_3) | instskip(NEXT) | instid1(VALU_DEP_3)
	v_fma_f32 v4, -v4, v17, v11
	v_fma_f32 v23, -v6, v15, v18
	s_delay_alu instid0(VALU_DEP_3) | instskip(NEXT) | instid1(VALU_DEP_3)
	v_mul_f32_e32 v22, v16, v12
	v_div_fmas_f32 v4, v4, v7, v17
	s_delay_alu instid0(VALU_DEP_3) | instskip(SKIP_1) | instid1(VALU_DEP_3)
	v_fmac_f32_e32 v15, v23, v10
	s_mov_b32 vcc_lo, s2
	v_fma_f32 v20, -v9, v22, v16
	s_delay_alu instid0(VALU_DEP_3) | instskip(SKIP_2) | instid1(VALU_DEP_2)
	v_div_fixup_f32 v2, v4, v2, 1.0
	v_mul_f32_e32 v19, v13, v8
	v_fma_f32 v6, -v6, v15, v18
	v_fma_f32 v21, -v5, v19, v13
	s_delay_alu instid0(VALU_DEP_1) | instskip(NEXT) | instid1(VALU_DEP_1)
	v_fmac_f32_e32 v19, v21, v8
	v_fma_f32 v5, -v5, v19, v13
	s_delay_alu instid0(VALU_DEP_1) | instskip(SKIP_1) | instid1(VALU_DEP_1)
	v_div_fmas_f32 v5, v5, v8, v19
	s_mov_b32 vcc_lo, s4
	v_div_fixup_f32 v3, v5, v3, 1.0
	v_fmac_f32_e32 v22, v20, v12
	s_delay_alu instid0(VALU_DEP_1) | instskip(NEXT) | instid1(VALU_DEP_1)
	v_fma_f32 v7, -v9, v22, v16
	v_div_fmas_f32 v4, v7, v12, v22
	s_mov_b32 vcc_lo, s3
	v_div_fmas_f32 v6, v6, v10, v15
	v_cmp_class_f32_e64 vcc_lo, v2, 0x1f8
	s_delay_alu instid0(VALU_DEP_3) | instskip(NEXT) | instid1(VALU_DEP_3)
	v_div_fixup_f32 v4, v4, v0, 1.0
	v_div_fixup_f32 v5, v6, v1, 1.0
	v_cndmask_b32_e32 v0, 0, v2, vcc_lo
	v_cmp_class_f32_e64 vcc_lo, v3, 0x1f8
	v_cndmask_b32_e32 v1, 0, v3, vcc_lo
	v_cmp_class_f32_e64 vcc_lo, v4, 0x1f8
	;; [unrolled: 2-line block ×3, first 2 shown]
	v_cndmask_b32_e32 v3, 0, v5, vcc_lo
	s_cbranch_scc1 .LBB355_10
; %bb.4:
	s_load_b128 s[4:7], s[6:7], 0x0
	s_waitcnt lgkmcnt(0)
	v_dual_add_f32 v4, s4, v0 :: v_dual_add_f32 v5, s5, v1
	v_dual_add_f32 v6, s6, v2 :: v_dual_add_f32 v7, s7, v3
	s_cbranch_execnz .LBB355_6
.LBB355_5:
	v_dual_mov_b32 v7, v3 :: v_dual_mov_b32 v6, v2
	v_dual_mov_b32 v5, v1 :: v_dual_mov_b32 v4, v0
.LBB355_6:
	s_load_b128 s[4:7], s[0:1], 0x30
	s_waitcnt lgkmcnt(0)
	s_bitcmp1_b32 s7, 0
	s_mov_b32 s7, 0
	s_cselect_b32 vcc_lo, -1, 0
	s_cmp_gt_i32 s4, 0
	s_cselect_b32 s3, -1, 0
	s_cmp_lt_i32 s4, 1
	s_cbranch_scc1 .LBB355_11
; %bb.7:
	v_mul_lo_u32 v8, v14, s4
	s_load_b128 s[12:15], s[0:1], 0x20
	v_dual_mov_b32 v15, 0 :: v_dual_mov_b32 v16, v14
	s_delay_alu instid0(VALU_DEP_2) | instskip(NEXT) | instid1(VALU_DEP_1)
	v_ashrrev_i32_e32 v9, 31, v8
	v_lshlrev_b64 v[12:13], 2, v[8:9]
	v_lshlrev_b64 v[10:11], 3, v[8:9]
	s_delay_alu instid0(VALU_DEP_2) | instskip(NEXT) | instid1(VALU_DEP_1)
	v_add_co_u32 v8, s0, s8, v12
	v_add_co_ci_u32_e64 v9, s0, s9, v13, s0
	s_waitcnt lgkmcnt(0)
	s_delay_alu instid0(VALU_DEP_3) | instskip(NEXT) | instid1(VALU_DEP_1)
	v_add_co_u32 v10, s0, s12, v10
	v_add_co_ci_u32_e64 v11, s0, s13, v11, s0
	v_add_co_u32 v12, s0, s14, v12
	s_delay_alu instid0(VALU_DEP_1)
	v_add_co_ci_u32_e64 v13, s0, s15, v13, s0
.LBB355_8:                              ; =>This Inner Loop Header: Depth=1
	v_cmp_gt_f32_e64 s0, v5, v4
	global_store_b32 v[12:13], v16, off
	v_add_co_u32 v12, s1, v12, 4
	s_delay_alu instid0(VALU_DEP_1)
	v_add_co_ci_u32_e64 v13, s1, 0, v13, s1
	v_cndmask_b32_e64 v18, v4, v5, s0
	v_cndmask_b32_e64 v17, 0, 1, s0
	;; [unrolled: 1-line block ×3, first 2 shown]
	s_add_i32 s7, s7, 1
	v_add_nc_u32_e32 v16, s10, v16
	v_cmp_gt_f32_e64 s0, v6, v18
	s_delay_alu instid0(VALU_DEP_1) | instskip(SKIP_2) | instid1(VALU_DEP_3)
	v_cndmask_b32_e64 v18, v18, v6, s0
	v_cndmask_b32_e64 v17, v17, 2, s0
	;; [unrolled: 1-line block ×3, first 2 shown]
	v_cmp_gt_f32_e64 s0, v7, v18
	s_delay_alu instid0(VALU_DEP_1) | instskip(NEXT) | instid1(VALU_DEP_3)
	v_cndmask_b32_e64 v17, v17, 3, s0
	v_cndmask_b32_e64 v18, v19, v3, s0
	s_delay_alu instid0(VALU_DEP_2)
	v_cmp_ne_u32_e64 s2, 0, v17
	v_cmp_le_i32_e64 s0, s5, v17
	v_cmp_gt_i32_e64 s1, s6, v17
	v_subrev_nc_u32_e32 v19, s5, v17
	global_store_b32 v[8:9], v18, off
	v_cndmask_b32_e64 v20, 0xc61c4000, v4, s2
	v_cmp_ne_u32_e64 s2, 1, v17
	s_and_b32 s1, s0, s1
	v_add_co_u32 v8, s0, v8, 4
	s_delay_alu instid0(VALU_DEP_1) | instskip(NEXT) | instid1(VALU_DEP_3)
	v_add_co_ci_u32_e64 v9, s0, 0, v9, s0
	v_cndmask_b32_e64 v21, 0xc61c4000, v5, s2
	v_cmp_ne_u32_e64 s2, 2, v17
	s_and_b32 s0, s11, s1
	v_add_f32_e32 v24, v15, v18
	s_cmp_lt_i32 s7, s4
	s_delay_alu instid0(VALU_DEP_2) | instskip(SKIP_3) | instid1(VALU_DEP_3)
	v_cndmask_b32_e64 v22, 0xc61c4000, v6, s2
	v_cmp_ne_u32_e64 s2, 3, v17
	v_ashrrev_i32_e32 v17, 31, v19
	v_cndmask_b32_e32 v15, v15, v24, vcc_lo
	v_cndmask_b32_e64 v23, 0xc61c4000, v7, s2
	s_delay_alu instid0(VALU_DEP_3)
	v_cndmask_b32_e64 v18, 0, v17, s0
	v_cndmask_b32_e64 v17, 4, v19, s0
	s_cselect_b32 s0, -1, 0
	s_cmp_eq_u32 s4, s7
	v_cndmask_b32_e64 v7, v7, v23, s0
	v_cndmask_b32_e64 v6, v6, v22, s0
	;; [unrolled: 1-line block ×4, first 2 shown]
	global_store_b64 v[10:11], v[17:18], off
	v_add_co_u32 v10, s0, v10, 8
	s_delay_alu instid0(VALU_DEP_1)
	v_add_co_ci_u32_e64 v11, s0, 0, v11, s0
	s_cbranch_scc0 .LBB355_8
; %bb.9:
	s_and_b32 vcc_lo, exec_lo, vcc_lo
	s_cbranch_vccnz .LBB355_12
	s_branch .LBB355_15
.LBB355_10:
                                        ; implicit-def: $vgpr4_vgpr5_vgpr6_vgpr7
	s_and_not1_b32 vcc_lo, exec_lo, s12
	s_cbranch_vccz .LBB355_5
	s_branch .LBB355_6
.LBB355_11:
	v_mov_b32_e32 v15, 0
	s_and_b32 vcc_lo, exec_lo, vcc_lo
	s_cbranch_vccz .LBB355_15
.LBB355_12:
	s_and_not1_b32 vcc_lo, exec_lo, s3
	s_cbranch_vccnz .LBB355_15
; %bb.13:
	v_mul_lo_u32 v0, v14, s4
	v_cmp_lt_f32_e32 vcc_lo, 0, v15
	v_cndmask_b32_e32 v2, 1.0, v15, vcc_lo
	s_delay_alu instid0(VALU_DEP_3) | instskip(NEXT) | instid1(VALU_DEP_1)
	v_ashrrev_i32_e32 v1, 31, v0
	v_lshlrev_b64 v[0:1], 2, v[0:1]
	s_delay_alu instid0(VALU_DEP_1) | instskip(NEXT) | instid1(VALU_DEP_2)
	v_add_co_u32 v0, vcc_lo, s8, v0
	v_add_co_ci_u32_e32 v1, vcc_lo, s9, v1, vcc_lo
	.p2align	6
.LBB355_14:                             ; =>This Inner Loop Header: Depth=1
	global_load_b32 v3, v[0:1], off
	s_add_i32 s4, s4, -1
	s_delay_alu instid0(SALU_CYCLE_1) | instskip(SKIP_3) | instid1(VALU_DEP_2)
	s_cmp_lg_u32 s4, 0
	s_waitcnt vmcnt(0)
	v_div_scale_f32 v4, null, v2, v2, v3
	v_div_scale_f32 v7, vcc_lo, v3, v2, v3
	v_rcp_f32_e32 v5, v4
	s_waitcnt_depctr 0xfff
	v_fma_f32 v6, -v4, v5, 1.0
	s_delay_alu instid0(VALU_DEP_1) | instskip(NEXT) | instid1(VALU_DEP_1)
	v_fmac_f32_e32 v5, v6, v5
	v_mul_f32_e32 v6, v7, v5
	s_delay_alu instid0(VALU_DEP_1) | instskip(NEXT) | instid1(VALU_DEP_1)
	v_fma_f32 v8, -v4, v6, v7
	v_fmac_f32_e32 v6, v8, v5
	s_delay_alu instid0(VALU_DEP_1) | instskip(NEXT) | instid1(VALU_DEP_1)
	v_fma_f32 v4, -v4, v6, v7
	v_div_fmas_f32 v4, v4, v5, v6
	s_delay_alu instid0(VALU_DEP_1)
	v_div_fixup_f32 v3, v4, v2, v3
	global_store_b32 v[0:1], v3, off
	v_add_co_u32 v0, vcc_lo, v0, 4
	v_add_co_ci_u32_e32 v1, vcc_lo, 0, v1, vcc_lo
	s_cbranch_scc1 .LBB355_14
.LBB355_15:
	s_nop 0
	s_sendmsg sendmsg(MSG_DEALLOC_VGPRS)
	s_endpgm
	.section	.rodata,"a",@progbits
	.p2align	6, 0x0
	.amdhsa_kernel _ZN4vllm3moe10topkGatingILi4ELi4ELi4ELi8ELi64El14__hip_bfloat16LNS0_11ScoringFuncE1EEEvPKT5_PKbPfiPT4_PiiiibPKf
		.amdhsa_group_segment_fixed_size 0
		.amdhsa_private_segment_fixed_size 0
		.amdhsa_kernarg_size 72
		.amdhsa_user_sgpr_count 15
		.amdhsa_user_sgpr_dispatch_ptr 0
		.amdhsa_user_sgpr_queue_ptr 0
		.amdhsa_user_sgpr_kernarg_segment_ptr 1
		.amdhsa_user_sgpr_dispatch_id 0
		.amdhsa_user_sgpr_private_segment_size 0
		.amdhsa_wavefront_size32 1
		.amdhsa_uses_dynamic_stack 0
		.amdhsa_enable_private_segment 0
		.amdhsa_system_sgpr_workgroup_id_x 1
		.amdhsa_system_sgpr_workgroup_id_y 0
		.amdhsa_system_sgpr_workgroup_id_z 0
		.amdhsa_system_sgpr_workgroup_info 0
		.amdhsa_system_vgpr_workitem_id 1
		.amdhsa_next_free_vgpr 25
		.amdhsa_next_free_sgpr 16
		.amdhsa_reserve_vcc 1
		.amdhsa_float_round_mode_32 0
		.amdhsa_float_round_mode_16_64 0
		.amdhsa_float_denorm_mode_32 3
		.amdhsa_float_denorm_mode_16_64 3
		.amdhsa_dx10_clamp 1
		.amdhsa_ieee_mode 1
		.amdhsa_fp16_overflow 0
		.amdhsa_workgroup_processor_mode 1
		.amdhsa_memory_ordered 1
		.amdhsa_forward_progress 0
		.amdhsa_shared_vgpr_count 0
		.amdhsa_exception_fp_ieee_invalid_op 0
		.amdhsa_exception_fp_denorm_src 0
		.amdhsa_exception_fp_ieee_div_zero 0
		.amdhsa_exception_fp_ieee_overflow 0
		.amdhsa_exception_fp_ieee_underflow 0
		.amdhsa_exception_fp_ieee_inexact 0
		.amdhsa_exception_int_div_zero 0
	.end_amdhsa_kernel
	.section	.text._ZN4vllm3moe10topkGatingILi4ELi4ELi4ELi8ELi64El14__hip_bfloat16LNS0_11ScoringFuncE1EEEvPKT5_PKbPfiPT4_PiiiibPKf,"axG",@progbits,_ZN4vllm3moe10topkGatingILi4ELi4ELi4ELi8ELi64El14__hip_bfloat16LNS0_11ScoringFuncE1EEEvPKT5_PKbPfiPT4_PiiiibPKf,comdat
.Lfunc_end355:
	.size	_ZN4vllm3moe10topkGatingILi4ELi4ELi4ELi8ELi64El14__hip_bfloat16LNS0_11ScoringFuncE1EEEvPKT5_PKbPfiPT4_PiiiibPKf, .Lfunc_end355-_ZN4vllm3moe10topkGatingILi4ELi4ELi4ELi8ELi64El14__hip_bfloat16LNS0_11ScoringFuncE1EEEvPKT5_PKbPfiPT4_PiiiibPKf
                                        ; -- End function
	.section	.AMDGPU.csdata,"",@progbits
; Kernel info:
; codeLenInByte = 1600
; NumSgprs: 18
; NumVgprs: 25
; ScratchSize: 0
; MemoryBound: 0
; FloatMode: 240
; IeeeMode: 1
; LDSByteSize: 0 bytes/workgroup (compile time only)
; SGPRBlocks: 2
; VGPRBlocks: 3
; NumSGPRsForWavesPerEU: 18
; NumVGPRsForWavesPerEU: 25
; Occupancy: 16
; WaveLimiterHint : 0
; COMPUTE_PGM_RSRC2:SCRATCH_EN: 0
; COMPUTE_PGM_RSRC2:USER_SGPR: 15
; COMPUTE_PGM_RSRC2:TRAP_HANDLER: 0
; COMPUTE_PGM_RSRC2:TGID_X_EN: 1
; COMPUTE_PGM_RSRC2:TGID_Y_EN: 0
; COMPUTE_PGM_RSRC2:TGID_Z_EN: 0
; COMPUTE_PGM_RSRC2:TIDIG_COMP_CNT: 1
	.section	.text._ZN4vllm3moe10topkGatingILi4ELi4ELi4ELi8ELi32El14__hip_bfloat16LNS0_11ScoringFuncE1EEEvPKT5_PKbPfiPT4_PiiiibPKf,"axG",@progbits,_ZN4vllm3moe10topkGatingILi4ELi4ELi4ELi8ELi32El14__hip_bfloat16LNS0_11ScoringFuncE1EEEvPKT5_PKbPfiPT4_PiiiibPKf,comdat
	.protected	_ZN4vllm3moe10topkGatingILi4ELi4ELi4ELi8ELi32El14__hip_bfloat16LNS0_11ScoringFuncE1EEEvPKT5_PKbPfiPT4_PiiiibPKf ; -- Begin function _ZN4vllm3moe10topkGatingILi4ELi4ELi4ELi8ELi32El14__hip_bfloat16LNS0_11ScoringFuncE1EEEvPKT5_PKbPfiPT4_PiiiibPKf
	.globl	_ZN4vllm3moe10topkGatingILi4ELi4ELi4ELi8ELi32El14__hip_bfloat16LNS0_11ScoringFuncE1EEEvPKT5_PKbPfiPT4_PiiiibPKf
	.p2align	8
	.type	_ZN4vllm3moe10topkGatingILi4ELi4ELi4ELi8ELi32El14__hip_bfloat16LNS0_11ScoringFuncE1EEEvPKT5_PKbPfiPT4_PiiiibPKf,@function
_ZN4vllm3moe10topkGatingILi4ELi4ELi4ELi8ELi32El14__hip_bfloat16LNS0_11ScoringFuncE1EEEvPKT5_PKbPfiPT4_PiiiibPKf: ; @_ZN4vllm3moe10topkGatingILi4ELi4ELi4ELi8ELi32El14__hip_bfloat16LNS0_11ScoringFuncE1EEEvPKT5_PKbPfiPT4_PiiiibPKf
; %bb.0:
	s_load_b32 s10, s[0:1], 0x18
	v_bfe_u32 v1, v0, 10, 10
	v_and_b32_e32 v0, 0x3ff, v0
	s_lshl_b32 s2, s15, 7
	s_delay_alu instid0(VALU_DEP_2) | instskip(NEXT) | instid1(VALU_DEP_1)
	v_lshlrev_b32_e32 v1, 5, v1
	v_add3_u32 v14, v1, v0, s2
	s_mov_b32 s2, exec_lo
	s_waitcnt lgkmcnt(0)
	s_delay_alu instid0(VALU_DEP_1)
	v_cmpx_gt_i32_e64 s10, v14
	s_cbranch_execz .LBB356_15
; %bb.1:
	s_clause 0x1
	s_load_b128 s[4:7], s[0:1], 0x0
	s_load_b64 s[8:9], s[0:1], 0x10
	s_mov_b32 s12, -1
	s_mov_b32 s11, -1
	s_waitcnt lgkmcnt(0)
	s_cmp_eq_u64 s[6:7], 0
	s_cbranch_scc1 .LBB356_3
; %bb.2:
	v_ashrrev_i32_e32 v1, 31, v14
	v_add_co_u32 v0, vcc_lo, s6, v14
	s_delay_alu instid0(VALU_DEP_2) | instskip(SKIP_3) | instid1(VALU_DEP_1)
	v_add_co_ci_u32_e32 v1, vcc_lo, s7, v1, vcc_lo
	global_load_u8 v0, v[0:1], off
	s_waitcnt vmcnt(0)
	v_and_b32_e32 v0, 1, v0
	v_cmp_eq_u32_e32 vcc_lo, 1, v0
	s_xor_b32 s2, vcc_lo, -1
	s_delay_alu instid0(SALU_CYCLE_1)
	s_or_not1_b32 s11, s2, exec_lo
.LBB356_3:
	v_lshlrev_b32_e32 v0, 2, v14
	s_load_b64 s[6:7], s[0:1], 0x40
	s_delay_alu instid0(VALU_DEP_1) | instskip(NEXT) | instid1(VALU_DEP_1)
	v_ashrrev_i32_e32 v1, 31, v0
	v_lshlrev_b64 v[0:1], 1, v[0:1]
	s_delay_alu instid0(VALU_DEP_1) | instskip(NEXT) | instid1(VALU_DEP_2)
	v_add_co_u32 v0, vcc_lo, s4, v0
	v_add_co_ci_u32_e32 v1, vcc_lo, s5, v1, vcc_lo
	s_waitcnt lgkmcnt(0)
	s_cmp_eq_u64 s[6:7], 0
	global_load_b64 v[0:1], v[0:1], off
	s_waitcnt vmcnt(0)
	v_lshlrev_b32_e32 v2, 16, v0
	v_and_b32_e32 v3, 0xffff0000, v0
	v_alignbit_b32 v0, v1, v0, 16
	s_delay_alu instid0(VALU_DEP_1) | instskip(NEXT) | instid1(VALU_DEP_1)
	v_and_b32_e32 v0, 0xffff0000, v0
	v_mul_f32_e32 v0, 0xbfb8aa3b, v0
	s_delay_alu instid0(VALU_DEP_1) | instskip(SKIP_2) | instid1(VALU_DEP_1)
	v_exp_f32_e32 v0, v0
	s_waitcnt_depctr 0xfff
	v_dual_add_f32 v0, 1.0, v0 :: v_dual_and_b32 v1, 0xffff0000, v1
	v_dual_mul_f32 v1, 0xbfb8aa3b, v1 :: v_dual_mul_f32 v2, 0xbfb8aa3b, v2
	s_delay_alu instid0(VALU_DEP_2) | instskip(NEXT) | instid1(VALU_DEP_2)
	v_div_scale_f32 v9, null, v0, v0, 1.0
	v_exp_f32_e32 v2, v2
	s_delay_alu instid0(VALU_DEP_2) | instskip(NEXT) | instid1(VALU_DEP_1)
	v_exp_f32_e32 v1, v1
	v_rcp_f32_e32 v12, v9
	s_delay_alu instid0(TRANS32_DEP_3) | instskip(SKIP_4) | instid1(VALU_DEP_2)
	v_dual_add_f32 v2, 1.0, v2 :: v_dual_mul_f32 v3, 0xbfb8aa3b, v3
	s_waitcnt_depctr 0xfff
	v_add_f32_e32 v1, 1.0, v1
	v_div_scale_f32 v4, null, v2, v2, 1.0
	v_exp_f32_e32 v3, v3
	v_div_scale_f32 v6, null, v1, v1, 1.0
	s_delay_alu instid0(VALU_DEP_2) | instskip(SKIP_1) | instid1(VALU_DEP_2)
	v_rcp_f32_e32 v7, v4
	v_div_scale_f32 v11, vcc_lo, 1.0, v2, 1.0
	v_rcp_f32_e32 v10, v6
	v_div_scale_f32 v18, s3, 1.0, v1, 1.0
	s_delay_alu instid0(TRANS32_DEP_3) | instskip(SKIP_4) | instid1(VALU_DEP_3)
	v_add_f32_e32 v3, 1.0, v3
	s_waitcnt_depctr 0xfff
	v_fma_f32 v15, -v4, v7, 1.0
	v_div_scale_f32 v5, null, v3, v3, 1.0
	v_fma_f32 v17, -v6, v10, 1.0
	v_fmac_f32_e32 v7, v15, v7
	v_div_scale_f32 v13, s2, 1.0, v3, 1.0
	s_delay_alu instid0(VALU_DEP_4) | instskip(NEXT) | instid1(VALU_DEP_3)
	v_rcp_f32_e32 v8, v5
	v_fmac_f32_e32 v10, v17, v10
	v_fma_f32 v15, -v9, v12, 1.0
	v_mul_f32_e32 v17, v11, v7
	s_delay_alu instid0(VALU_DEP_1) | instskip(SKIP_3) | instid1(VALU_DEP_2)
	v_fma_f32 v20, -v4, v17, v11
	s_waitcnt_depctr 0xfff
	v_fma_f32 v16, -v5, v8, 1.0
	v_dual_fmac_f32 v17, v20, v7 :: v_dual_fmac_f32 v12, v15, v12
	v_dual_mul_f32 v15, v18, v10 :: v_dual_fmac_f32 v8, v16, v8
	v_div_scale_f32 v16, s4, 1.0, v0, 1.0
	s_delay_alu instid0(VALU_DEP_3) | instskip(NEXT) | instid1(VALU_DEP_3)
	v_fma_f32 v4, -v4, v17, v11
	v_fma_f32 v23, -v6, v15, v18
	s_delay_alu instid0(VALU_DEP_3) | instskip(NEXT) | instid1(VALU_DEP_3)
	v_mul_f32_e32 v22, v16, v12
	v_div_fmas_f32 v4, v4, v7, v17
	s_delay_alu instid0(VALU_DEP_3) | instskip(SKIP_1) | instid1(VALU_DEP_3)
	v_fmac_f32_e32 v15, v23, v10
	s_mov_b32 vcc_lo, s2
	v_fma_f32 v20, -v9, v22, v16
	s_delay_alu instid0(VALU_DEP_3) | instskip(SKIP_2) | instid1(VALU_DEP_2)
	v_div_fixup_f32 v2, v4, v2, 1.0
	v_mul_f32_e32 v19, v13, v8
	v_fma_f32 v6, -v6, v15, v18
	v_fma_f32 v21, -v5, v19, v13
	s_delay_alu instid0(VALU_DEP_1) | instskip(NEXT) | instid1(VALU_DEP_1)
	v_fmac_f32_e32 v19, v21, v8
	v_fma_f32 v5, -v5, v19, v13
	s_delay_alu instid0(VALU_DEP_1) | instskip(SKIP_1) | instid1(VALU_DEP_1)
	v_div_fmas_f32 v5, v5, v8, v19
	s_mov_b32 vcc_lo, s4
	v_div_fixup_f32 v3, v5, v3, 1.0
	v_fmac_f32_e32 v22, v20, v12
	s_delay_alu instid0(VALU_DEP_1) | instskip(NEXT) | instid1(VALU_DEP_1)
	v_fma_f32 v7, -v9, v22, v16
	v_div_fmas_f32 v4, v7, v12, v22
	s_mov_b32 vcc_lo, s3
	v_div_fmas_f32 v6, v6, v10, v15
	v_cmp_class_f32_e64 vcc_lo, v2, 0x1f8
	s_delay_alu instid0(VALU_DEP_3) | instskip(NEXT) | instid1(VALU_DEP_3)
	v_div_fixup_f32 v4, v4, v0, 1.0
	v_div_fixup_f32 v5, v6, v1, 1.0
	v_cndmask_b32_e32 v0, 0, v2, vcc_lo
	v_cmp_class_f32_e64 vcc_lo, v3, 0x1f8
	v_cndmask_b32_e32 v1, 0, v3, vcc_lo
	v_cmp_class_f32_e64 vcc_lo, v4, 0x1f8
	;; [unrolled: 2-line block ×3, first 2 shown]
	v_cndmask_b32_e32 v3, 0, v5, vcc_lo
	s_cbranch_scc1 .LBB356_10
; %bb.4:
	s_load_b128 s[4:7], s[6:7], 0x0
	s_waitcnt lgkmcnt(0)
	v_dual_add_f32 v4, s4, v0 :: v_dual_add_f32 v5, s5, v1
	v_dual_add_f32 v6, s6, v2 :: v_dual_add_f32 v7, s7, v3
	s_cbranch_execnz .LBB356_6
.LBB356_5:
	v_dual_mov_b32 v7, v3 :: v_dual_mov_b32 v6, v2
	v_dual_mov_b32 v5, v1 :: v_dual_mov_b32 v4, v0
.LBB356_6:
	s_load_b128 s[4:7], s[0:1], 0x30
	s_waitcnt lgkmcnt(0)
	s_bitcmp1_b32 s7, 0
	s_mov_b32 s7, 0
	s_cselect_b32 vcc_lo, -1, 0
	s_cmp_gt_i32 s4, 0
	s_cselect_b32 s3, -1, 0
	s_cmp_lt_i32 s4, 1
	s_cbranch_scc1 .LBB356_11
; %bb.7:
	v_mul_lo_u32 v8, v14, s4
	s_load_b128 s[12:15], s[0:1], 0x20
	v_dual_mov_b32 v15, 0 :: v_dual_mov_b32 v16, v14
	s_delay_alu instid0(VALU_DEP_2) | instskip(NEXT) | instid1(VALU_DEP_1)
	v_ashrrev_i32_e32 v9, 31, v8
	v_lshlrev_b64 v[12:13], 2, v[8:9]
	v_lshlrev_b64 v[10:11], 3, v[8:9]
	s_delay_alu instid0(VALU_DEP_2) | instskip(NEXT) | instid1(VALU_DEP_1)
	v_add_co_u32 v8, s0, s8, v12
	v_add_co_ci_u32_e64 v9, s0, s9, v13, s0
	s_waitcnt lgkmcnt(0)
	s_delay_alu instid0(VALU_DEP_3) | instskip(NEXT) | instid1(VALU_DEP_1)
	v_add_co_u32 v10, s0, s12, v10
	v_add_co_ci_u32_e64 v11, s0, s13, v11, s0
	v_add_co_u32 v12, s0, s14, v12
	s_delay_alu instid0(VALU_DEP_1)
	v_add_co_ci_u32_e64 v13, s0, s15, v13, s0
.LBB356_8:                              ; =>This Inner Loop Header: Depth=1
	v_cmp_gt_f32_e64 s0, v5, v4
	global_store_b32 v[12:13], v16, off
	v_add_co_u32 v12, s1, v12, 4
	s_delay_alu instid0(VALU_DEP_1)
	v_add_co_ci_u32_e64 v13, s1, 0, v13, s1
	v_cndmask_b32_e64 v18, v4, v5, s0
	v_cndmask_b32_e64 v17, 0, 1, s0
	;; [unrolled: 1-line block ×3, first 2 shown]
	s_add_i32 s7, s7, 1
	v_add_nc_u32_e32 v16, s10, v16
	v_cmp_gt_f32_e64 s0, v6, v18
	s_delay_alu instid0(VALU_DEP_1) | instskip(SKIP_2) | instid1(VALU_DEP_3)
	v_cndmask_b32_e64 v18, v18, v6, s0
	v_cndmask_b32_e64 v17, v17, 2, s0
	;; [unrolled: 1-line block ×3, first 2 shown]
	v_cmp_gt_f32_e64 s0, v7, v18
	s_delay_alu instid0(VALU_DEP_1) | instskip(NEXT) | instid1(VALU_DEP_3)
	v_cndmask_b32_e64 v17, v17, 3, s0
	v_cndmask_b32_e64 v18, v19, v3, s0
	s_delay_alu instid0(VALU_DEP_2)
	v_cmp_ne_u32_e64 s2, 0, v17
	v_cmp_le_i32_e64 s0, s5, v17
	v_cmp_gt_i32_e64 s1, s6, v17
	v_subrev_nc_u32_e32 v19, s5, v17
	global_store_b32 v[8:9], v18, off
	v_cndmask_b32_e64 v20, 0xc61c4000, v4, s2
	v_cmp_ne_u32_e64 s2, 1, v17
	s_and_b32 s1, s0, s1
	v_add_co_u32 v8, s0, v8, 4
	s_delay_alu instid0(VALU_DEP_1) | instskip(NEXT) | instid1(VALU_DEP_3)
	v_add_co_ci_u32_e64 v9, s0, 0, v9, s0
	v_cndmask_b32_e64 v21, 0xc61c4000, v5, s2
	v_cmp_ne_u32_e64 s2, 2, v17
	s_and_b32 s0, s11, s1
	v_add_f32_e32 v24, v15, v18
	s_cmp_lt_i32 s7, s4
	s_delay_alu instid0(VALU_DEP_2) | instskip(SKIP_3) | instid1(VALU_DEP_3)
	v_cndmask_b32_e64 v22, 0xc61c4000, v6, s2
	v_cmp_ne_u32_e64 s2, 3, v17
	v_ashrrev_i32_e32 v17, 31, v19
	v_cndmask_b32_e32 v15, v15, v24, vcc_lo
	v_cndmask_b32_e64 v23, 0xc61c4000, v7, s2
	s_delay_alu instid0(VALU_DEP_3)
	v_cndmask_b32_e64 v18, 0, v17, s0
	v_cndmask_b32_e64 v17, 4, v19, s0
	s_cselect_b32 s0, -1, 0
	s_cmp_eq_u32 s4, s7
	v_cndmask_b32_e64 v7, v7, v23, s0
	v_cndmask_b32_e64 v6, v6, v22, s0
	;; [unrolled: 1-line block ×4, first 2 shown]
	global_store_b64 v[10:11], v[17:18], off
	v_add_co_u32 v10, s0, v10, 8
	s_delay_alu instid0(VALU_DEP_1)
	v_add_co_ci_u32_e64 v11, s0, 0, v11, s0
	s_cbranch_scc0 .LBB356_8
; %bb.9:
	s_and_b32 vcc_lo, exec_lo, vcc_lo
	s_cbranch_vccnz .LBB356_12
	s_branch .LBB356_15
.LBB356_10:
                                        ; implicit-def: $vgpr4_vgpr5_vgpr6_vgpr7
	s_and_not1_b32 vcc_lo, exec_lo, s12
	s_cbranch_vccz .LBB356_5
	s_branch .LBB356_6
.LBB356_11:
	v_mov_b32_e32 v15, 0
	s_and_b32 vcc_lo, exec_lo, vcc_lo
	s_cbranch_vccz .LBB356_15
.LBB356_12:
	s_and_not1_b32 vcc_lo, exec_lo, s3
	s_cbranch_vccnz .LBB356_15
; %bb.13:
	v_mul_lo_u32 v0, v14, s4
	v_cmp_lt_f32_e32 vcc_lo, 0, v15
	v_cndmask_b32_e32 v2, 1.0, v15, vcc_lo
	s_delay_alu instid0(VALU_DEP_3) | instskip(NEXT) | instid1(VALU_DEP_1)
	v_ashrrev_i32_e32 v1, 31, v0
	v_lshlrev_b64 v[0:1], 2, v[0:1]
	s_delay_alu instid0(VALU_DEP_1) | instskip(NEXT) | instid1(VALU_DEP_2)
	v_add_co_u32 v0, vcc_lo, s8, v0
	v_add_co_ci_u32_e32 v1, vcc_lo, s9, v1, vcc_lo
	.p2align	6
.LBB356_14:                             ; =>This Inner Loop Header: Depth=1
	global_load_b32 v3, v[0:1], off
	s_add_i32 s4, s4, -1
	s_delay_alu instid0(SALU_CYCLE_1) | instskip(SKIP_3) | instid1(VALU_DEP_2)
	s_cmp_lg_u32 s4, 0
	s_waitcnt vmcnt(0)
	v_div_scale_f32 v4, null, v2, v2, v3
	v_div_scale_f32 v7, vcc_lo, v3, v2, v3
	v_rcp_f32_e32 v5, v4
	s_waitcnt_depctr 0xfff
	v_fma_f32 v6, -v4, v5, 1.0
	s_delay_alu instid0(VALU_DEP_1) | instskip(NEXT) | instid1(VALU_DEP_1)
	v_fmac_f32_e32 v5, v6, v5
	v_mul_f32_e32 v6, v7, v5
	s_delay_alu instid0(VALU_DEP_1) | instskip(NEXT) | instid1(VALU_DEP_1)
	v_fma_f32 v8, -v4, v6, v7
	v_fmac_f32_e32 v6, v8, v5
	s_delay_alu instid0(VALU_DEP_1) | instskip(NEXT) | instid1(VALU_DEP_1)
	v_fma_f32 v4, -v4, v6, v7
	v_div_fmas_f32 v4, v4, v5, v6
	s_delay_alu instid0(VALU_DEP_1)
	v_div_fixup_f32 v3, v4, v2, v3
	global_store_b32 v[0:1], v3, off
	v_add_co_u32 v0, vcc_lo, v0, 4
	v_add_co_ci_u32_e32 v1, vcc_lo, 0, v1, vcc_lo
	s_cbranch_scc1 .LBB356_14
.LBB356_15:
	s_nop 0
	s_sendmsg sendmsg(MSG_DEALLOC_VGPRS)
	s_endpgm
	.section	.rodata,"a",@progbits
	.p2align	6, 0x0
	.amdhsa_kernel _ZN4vllm3moe10topkGatingILi4ELi4ELi4ELi8ELi32El14__hip_bfloat16LNS0_11ScoringFuncE1EEEvPKT5_PKbPfiPT4_PiiiibPKf
		.amdhsa_group_segment_fixed_size 0
		.amdhsa_private_segment_fixed_size 0
		.amdhsa_kernarg_size 72
		.amdhsa_user_sgpr_count 15
		.amdhsa_user_sgpr_dispatch_ptr 0
		.amdhsa_user_sgpr_queue_ptr 0
		.amdhsa_user_sgpr_kernarg_segment_ptr 1
		.amdhsa_user_sgpr_dispatch_id 0
		.amdhsa_user_sgpr_private_segment_size 0
		.amdhsa_wavefront_size32 1
		.amdhsa_uses_dynamic_stack 0
		.amdhsa_enable_private_segment 0
		.amdhsa_system_sgpr_workgroup_id_x 1
		.amdhsa_system_sgpr_workgroup_id_y 0
		.amdhsa_system_sgpr_workgroup_id_z 0
		.amdhsa_system_sgpr_workgroup_info 0
		.amdhsa_system_vgpr_workitem_id 1
		.amdhsa_next_free_vgpr 25
		.amdhsa_next_free_sgpr 16
		.amdhsa_reserve_vcc 1
		.amdhsa_float_round_mode_32 0
		.amdhsa_float_round_mode_16_64 0
		.amdhsa_float_denorm_mode_32 3
		.amdhsa_float_denorm_mode_16_64 3
		.amdhsa_dx10_clamp 1
		.amdhsa_ieee_mode 1
		.amdhsa_fp16_overflow 0
		.amdhsa_workgroup_processor_mode 1
		.amdhsa_memory_ordered 1
		.amdhsa_forward_progress 0
		.amdhsa_shared_vgpr_count 0
		.amdhsa_exception_fp_ieee_invalid_op 0
		.amdhsa_exception_fp_denorm_src 0
		.amdhsa_exception_fp_ieee_div_zero 0
		.amdhsa_exception_fp_ieee_overflow 0
		.amdhsa_exception_fp_ieee_underflow 0
		.amdhsa_exception_fp_ieee_inexact 0
		.amdhsa_exception_int_div_zero 0
	.end_amdhsa_kernel
	.section	.text._ZN4vllm3moe10topkGatingILi4ELi4ELi4ELi8ELi32El14__hip_bfloat16LNS0_11ScoringFuncE1EEEvPKT5_PKbPfiPT4_PiiiibPKf,"axG",@progbits,_ZN4vllm3moe10topkGatingILi4ELi4ELi4ELi8ELi32El14__hip_bfloat16LNS0_11ScoringFuncE1EEEvPKT5_PKbPfiPT4_PiiiibPKf,comdat
.Lfunc_end356:
	.size	_ZN4vllm3moe10topkGatingILi4ELi4ELi4ELi8ELi32El14__hip_bfloat16LNS0_11ScoringFuncE1EEEvPKT5_PKbPfiPT4_PiiiibPKf, .Lfunc_end356-_ZN4vllm3moe10topkGatingILi4ELi4ELi4ELi8ELi32El14__hip_bfloat16LNS0_11ScoringFuncE1EEEvPKT5_PKbPfiPT4_PiiiibPKf
                                        ; -- End function
	.section	.AMDGPU.csdata,"",@progbits
; Kernel info:
; codeLenInByte = 1600
; NumSgprs: 18
; NumVgprs: 25
; ScratchSize: 0
; MemoryBound: 0
; FloatMode: 240
; IeeeMode: 1
; LDSByteSize: 0 bytes/workgroup (compile time only)
; SGPRBlocks: 2
; VGPRBlocks: 3
; NumSGPRsForWavesPerEU: 18
; NumVGPRsForWavesPerEU: 25
; Occupancy: 16
; WaveLimiterHint : 0
; COMPUTE_PGM_RSRC2:SCRATCH_EN: 0
; COMPUTE_PGM_RSRC2:USER_SGPR: 15
; COMPUTE_PGM_RSRC2:TRAP_HANDLER: 0
; COMPUTE_PGM_RSRC2:TGID_X_EN: 1
; COMPUTE_PGM_RSRC2:TGID_Y_EN: 0
; COMPUTE_PGM_RSRC2:TGID_Z_EN: 0
; COMPUTE_PGM_RSRC2:TIDIG_COMP_CNT: 1
	.section	.text._ZN4vllm3moe10topkGatingILi8ELi8ELi4ELi16ELi64El14__hip_bfloat16LNS0_11ScoringFuncE1EEEvPKT5_PKbPfiPT4_PiiiibPKf,"axG",@progbits,_ZN4vllm3moe10topkGatingILi8ELi8ELi4ELi16ELi64El14__hip_bfloat16LNS0_11ScoringFuncE1EEEvPKT5_PKbPfiPT4_PiiiibPKf,comdat
	.protected	_ZN4vllm3moe10topkGatingILi8ELi8ELi4ELi16ELi64El14__hip_bfloat16LNS0_11ScoringFuncE1EEEvPKT5_PKbPfiPT4_PiiiibPKf ; -- Begin function _ZN4vllm3moe10topkGatingILi8ELi8ELi4ELi16ELi64El14__hip_bfloat16LNS0_11ScoringFuncE1EEEvPKT5_PKbPfiPT4_PiiiibPKf
	.globl	_ZN4vllm3moe10topkGatingILi8ELi8ELi4ELi16ELi64El14__hip_bfloat16LNS0_11ScoringFuncE1EEEvPKT5_PKbPfiPT4_PiiiibPKf
	.p2align	8
	.type	_ZN4vllm3moe10topkGatingILi8ELi8ELi4ELi16ELi64El14__hip_bfloat16LNS0_11ScoringFuncE1EEEvPKT5_PKbPfiPT4_PiiiibPKf,@function
_ZN4vllm3moe10topkGatingILi8ELi8ELi4ELi16ELi64El14__hip_bfloat16LNS0_11ScoringFuncE1EEEvPKT5_PKbPfiPT4_PiiiibPKf: ; @_ZN4vllm3moe10topkGatingILi8ELi8ELi4ELi16ELi64El14__hip_bfloat16LNS0_11ScoringFuncE1EEEvPKT5_PKbPfiPT4_PiiiibPKf
; %bb.0:
	s_load_b32 s14, s[0:1], 0x18
	v_bfe_u32 v1, v0, 10, 10
	v_and_b32_e32 v0, 0x3ff, v0
	s_lshl_b32 s2, s15, 8
	s_delay_alu instid0(VALU_DEP_2) | instskip(NEXT) | instid1(VALU_DEP_1)
	v_lshlrev_b32_e32 v1, 6, v1
	v_add3_u32 v16, v1, v0, s2
	s_mov_b32 s2, exec_lo
	s_waitcnt lgkmcnt(0)
	s_delay_alu instid0(VALU_DEP_1)
	v_cmpx_gt_i32_e64 s14, v16
	s_cbranch_execz .LBB357_15
; %bb.1:
	s_clause 0x1
	s_load_b128 s[4:7], s[0:1], 0x0
	s_load_b64 s[12:13], s[0:1], 0x10
	s_mov_b32 s9, -1
	s_mov_b32 s15, -1
	s_waitcnt lgkmcnt(0)
	s_cmp_eq_u64 s[6:7], 0
	s_cbranch_scc1 .LBB357_3
; %bb.2:
	v_ashrrev_i32_e32 v1, 31, v16
	v_add_co_u32 v0, vcc_lo, s6, v16
	s_delay_alu instid0(VALU_DEP_2) | instskip(SKIP_3) | instid1(VALU_DEP_1)
	v_add_co_ci_u32_e32 v1, vcc_lo, s7, v1, vcc_lo
	global_load_u8 v0, v[0:1], off
	s_waitcnt vmcnt(0)
	v_and_b32_e32 v0, 1, v0
	v_cmp_eq_u32_e32 vcc_lo, 1, v0
	s_xor_b32 s2, vcc_lo, -1
	s_delay_alu instid0(SALU_CYCLE_1)
	s_or_not1_b32 s15, s2, exec_lo
.LBB357_3:
	v_lshlrev_b32_e32 v0, 3, v16
	s_load_b64 s[10:11], s[0:1], 0x40
	s_delay_alu instid0(VALU_DEP_1) | instskip(NEXT) | instid1(VALU_DEP_1)
	v_ashrrev_i32_e32 v1, 31, v0
	v_lshlrev_b64 v[0:1], 1, v[0:1]
	s_delay_alu instid0(VALU_DEP_1) | instskip(NEXT) | instid1(VALU_DEP_2)
	v_add_co_u32 v0, vcc_lo, s4, v0
	v_add_co_ci_u32_e32 v1, vcc_lo, s5, v1, vcc_lo
	s_waitcnt lgkmcnt(0)
	s_cmp_eq_u64 s[10:11], 0
	global_load_b128 v[0:3], v[0:1], off
	s_waitcnt vmcnt(0)
	v_lshlrev_b32_e32 v5, 16, v1
	v_and_b32_e32 v1, 0xffff0000, v1
	s_delay_alu instid0(VALU_DEP_1) | instskip(NEXT) | instid1(VALU_DEP_1)
	v_dual_mul_f32 v1, 0xbfb8aa3b, v1 :: v_dual_lshlrev_b32 v4, 16, v0
	v_dual_mul_f32 v4, 0xbfb8aa3b, v4 :: v_dual_mul_f32 v5, 0xbfb8aa3b, v5
	s_delay_alu instid0(VALU_DEP_2) | instskip(NEXT) | instid1(VALU_DEP_1)
	v_exp_f32_e32 v1, v1
	v_exp_f32_e32 v4, v4
	s_delay_alu instid0(VALU_DEP_1) | instskip(NEXT) | instid1(TRANS32_DEP_3)
	v_exp_f32_e32 v5, v5
	v_dual_add_f32 v1, 1.0, v1 :: v_dual_and_b32 v0, 0xffff0000, v0
	s_waitcnt_depctr 0xfff
	v_dual_add_f32 v4, 1.0, v4 :: v_dual_add_f32 v5, 1.0, v5
	v_dual_mul_f32 v0, 0xbfb8aa3b, v0 :: v_dual_lshlrev_b32 v7, 16, v3
	v_lshlrev_b32_e32 v6, 16, v2
	v_and_b32_e32 v2, 0xffff0000, v2
	s_delay_alu instid0(VALU_DEP_4) | instskip(NEXT) | instid1(VALU_DEP_4)
	v_div_scale_f32 v12, null, v5, v5, 1.0
	v_exp_f32_e32 v0, v0
	v_mul_f32_e32 v7, 0xbfb8aa3b, v7
	v_and_b32_e32 v3, 0xffff0000, v3
	v_div_scale_f32 v14, null, v1, v1, 1.0
	v_rcp_f32_e32 v26, v12
	s_delay_alu instid0(VALU_DEP_3) | instskip(SKIP_1) | instid1(VALU_DEP_2)
	v_exp_f32_e32 v7, v7
	v_mul_f32_e32 v2, 0xbfb8aa3b, v2
	v_rcp_f32_e32 v27, v14
	v_div_scale_f32 v13, s3, 1.0, v5, 1.0
	v_add_f32_e32 v0, 1.0, v0
	v_dual_mul_f32 v6, 0xbfb8aa3b, v6 :: v_dual_mul_f32 v3, 0xbfb8aa3b, v3
	v_div_scale_f32 v15, s4, 1.0, v1, 1.0
	s_delay_alu instid0(VALU_DEP_3) | instskip(NEXT) | instid1(TRANS32_DEP_2)
	v_div_scale_f32 v10, null, v0, v0, 1.0
	v_add_f32_e32 v7, 1.0, v7
	v_exp_f32_e32 v2, v2
	v_exp_f32_e32 v6, v6
	s_delay_alu instid0(VALU_DEP_2)
	v_rcp_f32_e32 v25, v10
	v_exp_f32_e32 v3, v3
	v_div_scale_f32 v21, null, v7, v7, 1.0
	v_fma_f32 v35, -v12, v26, 1.0
	v_fma_f32 v36, -v14, v27, 1.0
	v_div_scale_f32 v11, s2, 1.0, v0, 1.0
	s_delay_alu instid0(VALU_DEP_4) | instskip(SKIP_1) | instid1(TRANS32_DEP_3)
	v_rcp_f32_e32 v30, v21
	v_add_f32_e32 v6, 1.0, v6
	v_fma_f32 v34, -v10, v25, 1.0
	s_delay_alu instid0(TRANS32_DEP_2) | instskip(SKIP_1) | instid1(VALU_DEP_3)
	v_dual_add_f32 v9, 1.0, v3 :: v_dual_add_f32 v8, 1.0, v2
	v_div_scale_f32 v2, null, v4, v4, 1.0
	v_fmac_f32_e32 v25, v34, v25
	v_div_scale_f32 v17, null, v6, v6, 1.0
	s_delay_alu instid0(VALU_DEP_4) | instskip(NEXT) | instid1(VALU_DEP_4)
	v_div_scale_f32 v19, null, v8, v8, 1.0
	v_rcp_f32_e32 v24, v2
	v_div_scale_f32 v23, null, v9, v9, 1.0
	s_delay_alu instid0(VALU_DEP_2) | instskip(SKIP_2) | instid1(VALU_DEP_2)
	v_rcp_f32_e32 v29, v19
	v_rcp_f32_e32 v28, v17
	v_div_scale_f32 v3, vcc_lo, 1.0, v4, 1.0
	v_rcp_f32_e32 v31, v23
	v_div_scale_f32 v20, s6, 1.0, v8, 1.0
	v_fma_f32 v33, -v2, v24, 1.0
	v_fmac_f32_e32 v27, v36, v27
	v_div_scale_f32 v18, s5, 1.0, v6, 1.0
	s_delay_alu instid0(TRANS32_DEP_3) | instskip(NEXT) | instid1(VALU_DEP_4)
	v_fma_f32 v38, -v19, v29, 1.0
	v_fmac_f32_e32 v24, v33, v24
	s_delay_alu instid0(TRANS32_DEP_2) | instskip(SKIP_1) | instid1(TRANS32_DEP_1)
	v_fma_f32 v37, -v17, v28, 1.0
	v_fmac_f32_e32 v26, v35, v26
	v_fma_f32 v40, -v23, v31, 1.0
	v_fmac_f32_e32 v29, v38, v29
	v_mul_f32_e32 v33, v3, v24
	v_fma_f32 v39, -v21, v30, 1.0
	s_delay_alu instid0(VALU_DEP_4)
	v_dual_fmac_f32 v28, v37, v28 :: v_dual_fmac_f32 v31, v40, v31
	v_dual_mul_f32 v34, v11, v25 :: v_dual_mul_f32 v35, v13, v26
	v_div_scale_f32 v32, s8, 1.0, v9, 1.0
	v_mul_f32_e32 v38, v20, v29
	v_fma_f32 v41, -v2, v33, v3
	v_div_scale_f32 v22, s7, 1.0, v7, 1.0
	v_dual_fmac_f32 v30, v39, v30 :: v_dual_mul_f32 v37, v18, v28
	v_mul_f32_e32 v36, v15, v27
	v_fma_f32 v42, -v10, v34, v11
	v_fma_f32 v43, -v12, v35, v13
	s_delay_alu instid0(VALU_DEP_4) | instskip(SKIP_2) | instid1(VALU_DEP_4)
	v_dual_mul_f32 v39, v22, v30 :: v_dual_mul_f32 v40, v32, v31
	v_fmac_f32_e32 v33, v41, v24
	v_fma_f32 v44, -v14, v36, v15
	v_dual_fmac_f32 v34, v42, v25 :: v_dual_fmac_f32 v35, v43, v26
	v_fma_f32 v45, -v17, v37, v18
	v_fma_f32 v46, -v19, v38, v20
	;; [unrolled: 1-line block ×3, first 2 shown]
	v_fmac_f32_e32 v36, v44, v27
	v_fma_f32 v3, -v10, v34, v11
	v_fmac_f32_e32 v37, v45, v28
	v_fma_f32 v10, -v12, v35, v13
	v_fma_f32 v47, -v21, v39, v22
	v_fmac_f32_e32 v38, v46, v29
	v_div_fmas_f32 v2, v2, v24, v33
	s_mov_b32 vcc_lo, s2
	v_fma_f32 v11, -v14, v36, v15
	v_fmac_f32_e32 v39, v47, v30
	v_div_fmas_f32 v3, v3, v25, v34
	s_mov_b32 vcc_lo, s3
	v_fma_f32 v12, -v17, v37, v18
	v_div_fmas_f32 v10, v10, v26, v35
	s_mov_b32 vcc_lo, s4
	v_fma_f32 v13, -v19, v38, v20
	v_div_fixup_f32 v2, v2, v4, 1.0
	v_div_fmas_f32 v4, v11, v27, v36
	s_mov_b32 vcc_lo, s5
	v_fma_f32 v48, -v23, v40, v32
	v_div_fmas_f32 v11, v12, v28, v37
	s_mov_b32 vcc_lo, s6
	v_div_fixup_f32 v5, v10, v5, 1.0
	v_div_fmas_f32 v10, v13, v29, v38
	v_cmp_class_f32_e64 vcc_lo, v2, 0x1f8
	v_fma_f32 v14, -v21, v39, v22
	v_div_fixup_f32 v3, v3, v0, 1.0
	v_div_fixup_f32 v4, v4, v1, 1.0
	v_fmac_f32_e32 v40, v48, v31
	v_cndmask_b32_e32 v0, 0, v2, vcc_lo
	s_mov_b32 vcc_lo, s7
	v_div_fixup_f32 v6, v11, v6, 1.0
	v_div_fmas_f32 v12, v14, v30, v39
	v_cmp_class_f32_e64 vcc_lo, v3, 0x1f8
	v_fma_f32 v15, -v23, v40, v32
	s_delay_alu instid0(VALU_DEP_3) | instskip(SKIP_2) | instid1(VALU_DEP_3)
	v_div_fixup_f32 v7, v12, v7, 1.0
	v_cndmask_b32_e32 v1, 0, v3, vcc_lo
	s_mov_b32 vcc_lo, s8
	v_div_fmas_f32 v11, v15, v31, v40
	v_cmp_class_f32_e64 vcc_lo, v5, 0x1f8
	v_cndmask_b32_e32 v2, 0, v5, vcc_lo
	v_cmp_class_f32_e64 vcc_lo, v4, 0x1f8
	v_div_fixup_f32 v5, v10, v8, 1.0
	v_div_fixup_f32 v8, v11, v9, 1.0
	v_cndmask_b32_e32 v3, 0, v4, vcc_lo
	v_cmp_class_f32_e64 vcc_lo, v6, 0x1f8
	v_cndmask_b32_e32 v4, 0, v6, vcc_lo
	v_cmp_class_f32_e64 vcc_lo, v5, 0x1f8
	;; [unrolled: 2-line block ×4, first 2 shown]
	v_cndmask_b32_e32 v7, 0, v8, vcc_lo
	s_cbranch_scc1 .LBB357_10
; %bb.4:
	s_load_b256 s[4:11], s[10:11], 0x0
	s_waitcnt lgkmcnt(0)
	v_dual_add_f32 v8, s4, v0 :: v_dual_add_f32 v9, s5, v1
	v_dual_add_f32 v10, s6, v2 :: v_dual_add_f32 v11, s7, v3
	;; [unrolled: 1-line block ×4, first 2 shown]
	s_cbranch_execnz .LBB357_6
.LBB357_5:
	v_dual_mov_b32 v15, v7 :: v_dual_mov_b32 v14, v6
	v_dual_mov_b32 v13, v5 :: v_dual_mov_b32 v12, v4
	v_dual_mov_b32 v11, v3 :: v_dual_mov_b32 v10, v2
	v_dual_mov_b32 v9, v1 :: v_dual_mov_b32 v8, v0
.LBB357_6:
	s_load_b128 s[4:7], s[0:1], 0x30
	s_mov_b32 s16, 0
	s_waitcnt lgkmcnt(0)
	s_bitcmp1_b32 s7, 0
	s_cselect_b32 vcc_lo, -1, 0
	s_cmp_gt_i32 s4, 0
	s_cselect_b32 s7, -1, 0
	s_cmp_lt_i32 s4, 1
	s_cbranch_scc1 .LBB357_11
; %bb.7:
	s_load_b128 s[8:11], s[0:1], 0x20
	v_mul_lo_u32 v18, v16, s4
	v_mov_b32_e32 v17, 0
	v_mov_b32_e32 v19, v16
.LBB357_8:                              ; =>This Inner Loop Header: Depth=1
	v_cmp_gt_f32_e64 s0, v9, v8
	s_delay_alu instid0(VALU_DEP_1) | instskip(SKIP_2) | instid1(VALU_DEP_3)
	v_cndmask_b32_e64 v21, v8, v9, s0
	v_cndmask_b32_e64 v20, 0, 1, s0
	;; [unrolled: 1-line block ×3, first 2 shown]
	v_cmp_gt_f32_e64 s1, v10, v21
	s_delay_alu instid0(VALU_DEP_1) | instskip(NEXT) | instid1(VALU_DEP_4)
	v_cndmask_b32_e64 v21, v21, v10, s1
	v_cndmask_b32_e64 v20, v20, 2, s1
	s_delay_alu instid0(VALU_DEP_4) | instskip(NEXT) | instid1(VALU_DEP_3)
	v_cndmask_b32_e64 v22, v22, v2, s1
	v_cmp_gt_f32_e64 s2, v11, v21
	s_delay_alu instid0(VALU_DEP_1) | instskip(NEXT) | instid1(VALU_DEP_4)
	v_cndmask_b32_e64 v21, v21, v11, s2
	v_cndmask_b32_e64 v20, v20, 3, s2
	s_delay_alu instid0(VALU_DEP_4) | instskip(NEXT) | instid1(VALU_DEP_3)
	v_cndmask_b32_e64 v25, v22, v3, s2
	v_cmp_gt_f32_e64 s3, v12, v21
	s_delay_alu instid0(VALU_DEP_1) | instskip(NEXT) | instid1(VALU_DEP_4)
	v_cndmask_b32_e64 v24, v21, v12, s3
	v_cndmask_b32_e64 v23, v20, 4, s3
	v_add_nc_u32_e32 v20, s16, v18
	v_cndmask_b32_e64 v28, v25, v4, s3
	s_add_i32 s16, s16, 1
	v_cmp_gt_f32_e64 s0, v13, v24
	s_delay_alu instid0(VALU_DEP_3) | instskip(NEXT) | instid1(VALU_DEP_2)
	v_ashrrev_i32_e32 v21, 31, v20
	v_cndmask_b32_e64 v27, v24, v13, s0
	v_cndmask_b32_e64 v26, v23, 5, s0
	s_delay_alu instid0(VALU_DEP_3) | instskip(SKIP_1) | instid1(VALU_DEP_4)
	v_lshlrev_b64 v[22:23], 2, v[20:21]
	v_cndmask_b32_e64 v28, v28, v5, s0
	v_cmp_gt_f32_e64 s1, v14, v27
	s_delay_alu instid0(VALU_DEP_3) | instskip(NEXT) | instid1(VALU_DEP_2)
	v_add_co_u32 v24, s2, s12, v22
	v_cndmask_b32_e64 v27, v27, v14, s1
	s_waitcnt lgkmcnt(0)
	v_add_co_u32 v22, s0, s10, v22
	v_add_co_ci_u32_e64 v25, s2, s13, v23, s2
	v_add_co_ci_u32_e64 v23, s0, s11, v23, s0
	v_cndmask_b32_e64 v26, v26, 6, s1
	v_cmp_gt_f32_e64 s0, v15, v27
	v_cndmask_b32_e64 v28, v28, v6, s1
	global_store_b32 v[22:23], v19, off
	v_add_nc_u32_e32 v19, s14, v19
	v_cndmask_b32_e64 v26, v26, 7, s0
	v_cndmask_b32_e64 v27, v28, v7, s0
	s_delay_alu instid0(VALU_DEP_2) | instskip(NEXT) | instid1(VALU_DEP_2)
	v_cmp_ne_u32_e64 s2, 0, v26
	v_add_f32_e32 v35, v17, v27
	v_lshlrev_b64 v[20:21], 3, v[20:21]
	v_cmp_le_i32_e64 s0, s5, v26
	v_subrev_nc_u32_e32 v22, s5, v26
	v_cndmask_b32_e64 v28, 0xc61c4000, v8, s2
	v_cmp_ne_u32_e64 s2, 1, v26
	v_cndmask_b32_e32 v17, v17, v35, vcc_lo
	v_add_co_u32 v20, s1, s8, v20
	s_delay_alu instid0(VALU_DEP_1) | instskip(NEXT) | instid1(VALU_DEP_4)
	v_add_co_ci_u32_e64 v21, s1, s9, v21, s1
	v_cndmask_b32_e64 v29, 0xc61c4000, v9, s2
	v_cmp_ne_u32_e64 s2, 2, v26
	v_cmp_gt_i32_e64 s1, s6, v26
	v_ashrrev_i32_e32 v23, 31, v22
	s_delay_alu instid0(VALU_DEP_3) | instskip(SKIP_1) | instid1(VALU_DEP_4)
	v_cndmask_b32_e64 v30, 0xc61c4000, v10, s2
	v_cmp_ne_u32_e64 s2, 3, v26
	s_and_b32 s0, s0, s1
	s_delay_alu instid0(SALU_CYCLE_1) | instskip(SKIP_1) | instid1(VALU_DEP_1)
	s_and_b32 s0, s15, s0
	s_cmp_lt_i32 s16, s4
	v_cndmask_b32_e64 v31, 0xc61c4000, v11, s2
	v_cmp_ne_u32_e64 s2, 4, v26
	v_cndmask_b32_e64 v23, 0, v23, s0
	v_cndmask_b32_e64 v22, 8, v22, s0
	s_cselect_b32 s0, -1, 0
	s_cmp_eq_u32 s4, s16
	v_cndmask_b32_e64 v32, 0xc61c4000, v12, s2
	v_cmp_ne_u32_e64 s2, 5, v26
	v_cndmask_b32_e64 v11, v11, v31, s0
	v_cndmask_b32_e64 v10, v10, v30, s0
	;; [unrolled: 1-line block ×5, first 2 shown]
	v_cmp_ne_u32_e64 s2, 6, v26
	v_cndmask_b32_e64 v8, v8, v28, s0
	global_store_b32 v[24:25], v27, off
	global_store_b64 v[20:21], v[22:23], off
	v_cndmask_b32_e64 v13, v13, v33, s0
	v_cndmask_b32_e64 v34, 0xc61c4000, v14, s2
	v_cmp_ne_u32_e64 s2, 7, v26
	s_delay_alu instid0(VALU_DEP_2) | instskip(NEXT) | instid1(VALU_DEP_2)
	v_cndmask_b32_e64 v14, v14, v34, s0
	v_cndmask_b32_e64 v26, 0xc61c4000, v15, s2
	s_delay_alu instid0(VALU_DEP_1)
	v_cndmask_b32_e64 v15, v15, v26, s0
	s_cbranch_scc0 .LBB357_8
; %bb.9:
	s_and_b32 vcc_lo, exec_lo, vcc_lo
	s_cbranch_vccnz .LBB357_12
	s_branch .LBB357_15
.LBB357_10:
                                        ; implicit-def: $vgpr8_vgpr9_vgpr10_vgpr11_vgpr12_vgpr13_vgpr14_vgpr15
	s_and_not1_b32 vcc_lo, exec_lo, s9
	s_cbranch_vccz .LBB357_5
	s_branch .LBB357_6
.LBB357_11:
	v_mov_b32_e32 v17, 0
	s_and_b32 vcc_lo, exec_lo, vcc_lo
	s_cbranch_vccz .LBB357_15
.LBB357_12:
	s_and_not1_b32 vcc_lo, exec_lo, s7
	s_cbranch_vccnz .LBB357_15
; %bb.13:
	v_mul_lo_u32 v0, v16, s4
	v_cmp_lt_f32_e32 vcc_lo, 0, v17
	v_cndmask_b32_e32 v2, 1.0, v17, vcc_lo
	s_delay_alu instid0(VALU_DEP_3) | instskip(NEXT) | instid1(VALU_DEP_1)
	v_ashrrev_i32_e32 v1, 31, v0
	v_lshlrev_b64 v[0:1], 2, v[0:1]
	s_delay_alu instid0(VALU_DEP_1) | instskip(NEXT) | instid1(VALU_DEP_2)
	v_add_co_u32 v0, vcc_lo, s12, v0
	v_add_co_ci_u32_e32 v1, vcc_lo, s13, v1, vcc_lo
	.p2align	6
.LBB357_14:                             ; =>This Inner Loop Header: Depth=1
	global_load_b32 v3, v[0:1], off
	s_add_i32 s4, s4, -1
	s_delay_alu instid0(SALU_CYCLE_1) | instskip(SKIP_3) | instid1(VALU_DEP_2)
	s_cmp_lg_u32 s4, 0
	s_waitcnt vmcnt(0)
	v_div_scale_f32 v4, null, v2, v2, v3
	v_div_scale_f32 v7, vcc_lo, v3, v2, v3
	v_rcp_f32_e32 v5, v4
	s_waitcnt_depctr 0xfff
	v_fma_f32 v6, -v4, v5, 1.0
	s_delay_alu instid0(VALU_DEP_1) | instskip(NEXT) | instid1(VALU_DEP_1)
	v_fmac_f32_e32 v5, v6, v5
	v_mul_f32_e32 v6, v7, v5
	s_delay_alu instid0(VALU_DEP_1) | instskip(NEXT) | instid1(VALU_DEP_1)
	v_fma_f32 v8, -v4, v6, v7
	v_fmac_f32_e32 v6, v8, v5
	s_delay_alu instid0(VALU_DEP_1) | instskip(NEXT) | instid1(VALU_DEP_1)
	v_fma_f32 v4, -v4, v6, v7
	v_div_fmas_f32 v4, v4, v5, v6
	s_delay_alu instid0(VALU_DEP_1)
	v_div_fixup_f32 v3, v4, v2, v3
	global_store_b32 v[0:1], v3, off
	v_add_co_u32 v0, vcc_lo, v0, 4
	v_add_co_ci_u32_e32 v1, vcc_lo, 0, v1, vcc_lo
	s_cbranch_scc1 .LBB357_14
.LBB357_15:
	s_nop 0
	s_sendmsg sendmsg(MSG_DEALLOC_VGPRS)
	s_endpgm
	.section	.rodata,"a",@progbits
	.p2align	6, 0x0
	.amdhsa_kernel _ZN4vllm3moe10topkGatingILi8ELi8ELi4ELi16ELi64El14__hip_bfloat16LNS0_11ScoringFuncE1EEEvPKT5_PKbPfiPT4_PiiiibPKf
		.amdhsa_group_segment_fixed_size 0
		.amdhsa_private_segment_fixed_size 0
		.amdhsa_kernarg_size 72
		.amdhsa_user_sgpr_count 15
		.amdhsa_user_sgpr_dispatch_ptr 0
		.amdhsa_user_sgpr_queue_ptr 0
		.amdhsa_user_sgpr_kernarg_segment_ptr 1
		.amdhsa_user_sgpr_dispatch_id 0
		.amdhsa_user_sgpr_private_segment_size 0
		.amdhsa_wavefront_size32 1
		.amdhsa_uses_dynamic_stack 0
		.amdhsa_enable_private_segment 0
		.amdhsa_system_sgpr_workgroup_id_x 1
		.amdhsa_system_sgpr_workgroup_id_y 0
		.amdhsa_system_sgpr_workgroup_id_z 0
		.amdhsa_system_sgpr_workgroup_info 0
		.amdhsa_system_vgpr_workitem_id 1
		.amdhsa_next_free_vgpr 49
		.amdhsa_next_free_sgpr 17
		.amdhsa_reserve_vcc 1
		.amdhsa_float_round_mode_32 0
		.amdhsa_float_round_mode_16_64 0
		.amdhsa_float_denorm_mode_32 3
		.amdhsa_float_denorm_mode_16_64 3
		.amdhsa_dx10_clamp 1
		.amdhsa_ieee_mode 1
		.amdhsa_fp16_overflow 0
		.amdhsa_workgroup_processor_mode 1
		.amdhsa_memory_ordered 1
		.amdhsa_forward_progress 0
		.amdhsa_shared_vgpr_count 0
		.amdhsa_exception_fp_ieee_invalid_op 0
		.amdhsa_exception_fp_denorm_src 0
		.amdhsa_exception_fp_ieee_div_zero 0
		.amdhsa_exception_fp_ieee_overflow 0
		.amdhsa_exception_fp_ieee_underflow 0
		.amdhsa_exception_fp_ieee_inexact 0
		.amdhsa_exception_int_div_zero 0
	.end_amdhsa_kernel
	.section	.text._ZN4vllm3moe10topkGatingILi8ELi8ELi4ELi16ELi64El14__hip_bfloat16LNS0_11ScoringFuncE1EEEvPKT5_PKbPfiPT4_PiiiibPKf,"axG",@progbits,_ZN4vllm3moe10topkGatingILi8ELi8ELi4ELi16ELi64El14__hip_bfloat16LNS0_11ScoringFuncE1EEEvPKT5_PKbPfiPT4_PiiiibPKf,comdat
.Lfunc_end357:
	.size	_ZN4vllm3moe10topkGatingILi8ELi8ELi4ELi16ELi64El14__hip_bfloat16LNS0_11ScoringFuncE1EEEvPKT5_PKbPfiPT4_PiiiibPKf, .Lfunc_end357-_ZN4vllm3moe10topkGatingILi8ELi8ELi4ELi16ELi64El14__hip_bfloat16LNS0_11ScoringFuncE1EEEvPKT5_PKbPfiPT4_PiiiibPKf
                                        ; -- End function
	.section	.AMDGPU.csdata,"",@progbits
; Kernel info:
; codeLenInByte = 2264
; NumSgprs: 19
; NumVgprs: 49
; ScratchSize: 0
; MemoryBound: 0
; FloatMode: 240
; IeeeMode: 1
; LDSByteSize: 0 bytes/workgroup (compile time only)
; SGPRBlocks: 2
; VGPRBlocks: 6
; NumSGPRsForWavesPerEU: 19
; NumVGPRsForWavesPerEU: 49
; Occupancy: 16
; WaveLimiterHint : 0
; COMPUTE_PGM_RSRC2:SCRATCH_EN: 0
; COMPUTE_PGM_RSRC2:USER_SGPR: 15
; COMPUTE_PGM_RSRC2:TRAP_HANDLER: 0
; COMPUTE_PGM_RSRC2:TGID_X_EN: 1
; COMPUTE_PGM_RSRC2:TGID_Y_EN: 0
; COMPUTE_PGM_RSRC2:TGID_Z_EN: 0
; COMPUTE_PGM_RSRC2:TIDIG_COMP_CNT: 1
	.section	.text._ZN4vllm3moe10topkGatingILi8ELi8ELi4ELi16ELi32El14__hip_bfloat16LNS0_11ScoringFuncE1EEEvPKT5_PKbPfiPT4_PiiiibPKf,"axG",@progbits,_ZN4vllm3moe10topkGatingILi8ELi8ELi4ELi16ELi32El14__hip_bfloat16LNS0_11ScoringFuncE1EEEvPKT5_PKbPfiPT4_PiiiibPKf,comdat
	.protected	_ZN4vllm3moe10topkGatingILi8ELi8ELi4ELi16ELi32El14__hip_bfloat16LNS0_11ScoringFuncE1EEEvPKT5_PKbPfiPT4_PiiiibPKf ; -- Begin function _ZN4vllm3moe10topkGatingILi8ELi8ELi4ELi16ELi32El14__hip_bfloat16LNS0_11ScoringFuncE1EEEvPKT5_PKbPfiPT4_PiiiibPKf
	.globl	_ZN4vllm3moe10topkGatingILi8ELi8ELi4ELi16ELi32El14__hip_bfloat16LNS0_11ScoringFuncE1EEEvPKT5_PKbPfiPT4_PiiiibPKf
	.p2align	8
	.type	_ZN4vllm3moe10topkGatingILi8ELi8ELi4ELi16ELi32El14__hip_bfloat16LNS0_11ScoringFuncE1EEEvPKT5_PKbPfiPT4_PiiiibPKf,@function
_ZN4vllm3moe10topkGatingILi8ELi8ELi4ELi16ELi32El14__hip_bfloat16LNS0_11ScoringFuncE1EEEvPKT5_PKbPfiPT4_PiiiibPKf: ; @_ZN4vllm3moe10topkGatingILi8ELi8ELi4ELi16ELi32El14__hip_bfloat16LNS0_11ScoringFuncE1EEEvPKT5_PKbPfiPT4_PiiiibPKf
; %bb.0:
	s_load_b32 s14, s[0:1], 0x18
	v_bfe_u32 v1, v0, 10, 10
	v_and_b32_e32 v0, 0x3ff, v0
	s_lshl_b32 s2, s15, 7
	s_delay_alu instid0(VALU_DEP_2) | instskip(NEXT) | instid1(VALU_DEP_1)
	v_lshlrev_b32_e32 v1, 5, v1
	v_add3_u32 v16, v1, v0, s2
	s_mov_b32 s2, exec_lo
	s_waitcnt lgkmcnt(0)
	s_delay_alu instid0(VALU_DEP_1)
	v_cmpx_gt_i32_e64 s14, v16
	s_cbranch_execz .LBB358_15
; %bb.1:
	s_clause 0x1
	s_load_b128 s[4:7], s[0:1], 0x0
	s_load_b64 s[12:13], s[0:1], 0x10
	s_mov_b32 s9, -1
	s_mov_b32 s15, -1
	s_waitcnt lgkmcnt(0)
	s_cmp_eq_u64 s[6:7], 0
	s_cbranch_scc1 .LBB358_3
; %bb.2:
	v_ashrrev_i32_e32 v1, 31, v16
	v_add_co_u32 v0, vcc_lo, s6, v16
	s_delay_alu instid0(VALU_DEP_2) | instskip(SKIP_3) | instid1(VALU_DEP_1)
	v_add_co_ci_u32_e32 v1, vcc_lo, s7, v1, vcc_lo
	global_load_u8 v0, v[0:1], off
	s_waitcnt vmcnt(0)
	v_and_b32_e32 v0, 1, v0
	v_cmp_eq_u32_e32 vcc_lo, 1, v0
	s_xor_b32 s2, vcc_lo, -1
	s_delay_alu instid0(SALU_CYCLE_1)
	s_or_not1_b32 s15, s2, exec_lo
.LBB358_3:
	v_lshlrev_b32_e32 v0, 3, v16
	s_load_b64 s[10:11], s[0:1], 0x40
	s_delay_alu instid0(VALU_DEP_1) | instskip(NEXT) | instid1(VALU_DEP_1)
	v_ashrrev_i32_e32 v1, 31, v0
	v_lshlrev_b64 v[0:1], 1, v[0:1]
	s_delay_alu instid0(VALU_DEP_1) | instskip(NEXT) | instid1(VALU_DEP_2)
	v_add_co_u32 v0, vcc_lo, s4, v0
	v_add_co_ci_u32_e32 v1, vcc_lo, s5, v1, vcc_lo
	s_waitcnt lgkmcnt(0)
	s_cmp_eq_u64 s[10:11], 0
	global_load_b128 v[0:3], v[0:1], off
	s_waitcnt vmcnt(0)
	v_lshlrev_b32_e32 v5, 16, v1
	v_and_b32_e32 v1, 0xffff0000, v1
	s_delay_alu instid0(VALU_DEP_1) | instskip(NEXT) | instid1(VALU_DEP_1)
	v_dual_mul_f32 v1, 0xbfb8aa3b, v1 :: v_dual_lshlrev_b32 v4, 16, v0
	v_dual_mul_f32 v4, 0xbfb8aa3b, v4 :: v_dual_mul_f32 v5, 0xbfb8aa3b, v5
	s_delay_alu instid0(VALU_DEP_2) | instskip(NEXT) | instid1(VALU_DEP_1)
	v_exp_f32_e32 v1, v1
	v_exp_f32_e32 v4, v4
	s_delay_alu instid0(VALU_DEP_1) | instskip(NEXT) | instid1(TRANS32_DEP_3)
	v_exp_f32_e32 v5, v5
	v_dual_add_f32 v1, 1.0, v1 :: v_dual_and_b32 v0, 0xffff0000, v0
	s_waitcnt_depctr 0xfff
	v_dual_add_f32 v4, 1.0, v4 :: v_dual_add_f32 v5, 1.0, v5
	v_dual_mul_f32 v0, 0xbfb8aa3b, v0 :: v_dual_lshlrev_b32 v7, 16, v3
	v_lshlrev_b32_e32 v6, 16, v2
	v_and_b32_e32 v2, 0xffff0000, v2
	s_delay_alu instid0(VALU_DEP_4) | instskip(NEXT) | instid1(VALU_DEP_4)
	v_div_scale_f32 v12, null, v5, v5, 1.0
	v_exp_f32_e32 v0, v0
	v_mul_f32_e32 v7, 0xbfb8aa3b, v7
	v_and_b32_e32 v3, 0xffff0000, v3
	v_div_scale_f32 v14, null, v1, v1, 1.0
	v_rcp_f32_e32 v26, v12
	s_delay_alu instid0(VALU_DEP_3) | instskip(SKIP_1) | instid1(VALU_DEP_2)
	v_exp_f32_e32 v7, v7
	v_mul_f32_e32 v2, 0xbfb8aa3b, v2
	v_rcp_f32_e32 v27, v14
	v_div_scale_f32 v13, s3, 1.0, v5, 1.0
	v_add_f32_e32 v0, 1.0, v0
	v_dual_mul_f32 v6, 0xbfb8aa3b, v6 :: v_dual_mul_f32 v3, 0xbfb8aa3b, v3
	v_div_scale_f32 v15, s4, 1.0, v1, 1.0
	s_delay_alu instid0(VALU_DEP_3) | instskip(NEXT) | instid1(TRANS32_DEP_2)
	v_div_scale_f32 v10, null, v0, v0, 1.0
	v_add_f32_e32 v7, 1.0, v7
	v_exp_f32_e32 v2, v2
	v_exp_f32_e32 v6, v6
	s_delay_alu instid0(VALU_DEP_2)
	v_rcp_f32_e32 v25, v10
	v_exp_f32_e32 v3, v3
	v_div_scale_f32 v21, null, v7, v7, 1.0
	v_fma_f32 v35, -v12, v26, 1.0
	v_fma_f32 v36, -v14, v27, 1.0
	v_div_scale_f32 v11, s2, 1.0, v0, 1.0
	s_delay_alu instid0(VALU_DEP_4) | instskip(SKIP_1) | instid1(TRANS32_DEP_3)
	v_rcp_f32_e32 v30, v21
	v_add_f32_e32 v6, 1.0, v6
	v_fma_f32 v34, -v10, v25, 1.0
	s_delay_alu instid0(TRANS32_DEP_2) | instskip(SKIP_1) | instid1(VALU_DEP_3)
	v_dual_add_f32 v9, 1.0, v3 :: v_dual_add_f32 v8, 1.0, v2
	v_div_scale_f32 v2, null, v4, v4, 1.0
	v_fmac_f32_e32 v25, v34, v25
	v_div_scale_f32 v17, null, v6, v6, 1.0
	s_delay_alu instid0(VALU_DEP_4) | instskip(NEXT) | instid1(VALU_DEP_4)
	v_div_scale_f32 v19, null, v8, v8, 1.0
	v_rcp_f32_e32 v24, v2
	v_div_scale_f32 v23, null, v9, v9, 1.0
	s_delay_alu instid0(VALU_DEP_2) | instskip(SKIP_2) | instid1(VALU_DEP_2)
	v_rcp_f32_e32 v29, v19
	v_rcp_f32_e32 v28, v17
	v_div_scale_f32 v3, vcc_lo, 1.0, v4, 1.0
	v_rcp_f32_e32 v31, v23
	v_div_scale_f32 v20, s6, 1.0, v8, 1.0
	v_fma_f32 v33, -v2, v24, 1.0
	v_fmac_f32_e32 v27, v36, v27
	v_div_scale_f32 v18, s5, 1.0, v6, 1.0
	s_delay_alu instid0(TRANS32_DEP_3) | instskip(NEXT) | instid1(VALU_DEP_4)
	v_fma_f32 v38, -v19, v29, 1.0
	v_fmac_f32_e32 v24, v33, v24
	s_delay_alu instid0(TRANS32_DEP_2) | instskip(SKIP_1) | instid1(TRANS32_DEP_1)
	v_fma_f32 v37, -v17, v28, 1.0
	v_fmac_f32_e32 v26, v35, v26
	v_fma_f32 v40, -v23, v31, 1.0
	v_fmac_f32_e32 v29, v38, v29
	v_mul_f32_e32 v33, v3, v24
	v_fma_f32 v39, -v21, v30, 1.0
	s_delay_alu instid0(VALU_DEP_4)
	v_dual_fmac_f32 v28, v37, v28 :: v_dual_fmac_f32 v31, v40, v31
	v_dual_mul_f32 v34, v11, v25 :: v_dual_mul_f32 v35, v13, v26
	v_div_scale_f32 v32, s8, 1.0, v9, 1.0
	v_mul_f32_e32 v38, v20, v29
	v_fma_f32 v41, -v2, v33, v3
	v_div_scale_f32 v22, s7, 1.0, v7, 1.0
	v_dual_fmac_f32 v30, v39, v30 :: v_dual_mul_f32 v37, v18, v28
	v_mul_f32_e32 v36, v15, v27
	v_fma_f32 v42, -v10, v34, v11
	v_fma_f32 v43, -v12, v35, v13
	s_delay_alu instid0(VALU_DEP_4) | instskip(SKIP_2) | instid1(VALU_DEP_4)
	v_dual_mul_f32 v39, v22, v30 :: v_dual_mul_f32 v40, v32, v31
	v_fmac_f32_e32 v33, v41, v24
	v_fma_f32 v44, -v14, v36, v15
	v_dual_fmac_f32 v34, v42, v25 :: v_dual_fmac_f32 v35, v43, v26
	v_fma_f32 v45, -v17, v37, v18
	v_fma_f32 v46, -v19, v38, v20
	;; [unrolled: 1-line block ×3, first 2 shown]
	v_fmac_f32_e32 v36, v44, v27
	v_fma_f32 v3, -v10, v34, v11
	v_fmac_f32_e32 v37, v45, v28
	v_fma_f32 v10, -v12, v35, v13
	v_fma_f32 v47, -v21, v39, v22
	v_fmac_f32_e32 v38, v46, v29
	v_div_fmas_f32 v2, v2, v24, v33
	s_mov_b32 vcc_lo, s2
	v_fma_f32 v11, -v14, v36, v15
	v_fmac_f32_e32 v39, v47, v30
	v_div_fmas_f32 v3, v3, v25, v34
	s_mov_b32 vcc_lo, s3
	v_fma_f32 v12, -v17, v37, v18
	v_div_fmas_f32 v10, v10, v26, v35
	s_mov_b32 vcc_lo, s4
	v_fma_f32 v13, -v19, v38, v20
	v_div_fixup_f32 v2, v2, v4, 1.0
	v_div_fmas_f32 v4, v11, v27, v36
	s_mov_b32 vcc_lo, s5
	v_fma_f32 v48, -v23, v40, v32
	v_div_fmas_f32 v11, v12, v28, v37
	s_mov_b32 vcc_lo, s6
	v_div_fixup_f32 v5, v10, v5, 1.0
	v_div_fmas_f32 v10, v13, v29, v38
	v_cmp_class_f32_e64 vcc_lo, v2, 0x1f8
	v_fma_f32 v14, -v21, v39, v22
	v_div_fixup_f32 v3, v3, v0, 1.0
	v_div_fixup_f32 v4, v4, v1, 1.0
	v_fmac_f32_e32 v40, v48, v31
	v_cndmask_b32_e32 v0, 0, v2, vcc_lo
	s_mov_b32 vcc_lo, s7
	v_div_fixup_f32 v6, v11, v6, 1.0
	v_div_fmas_f32 v12, v14, v30, v39
	v_cmp_class_f32_e64 vcc_lo, v3, 0x1f8
	v_fma_f32 v15, -v23, v40, v32
	s_delay_alu instid0(VALU_DEP_3) | instskip(SKIP_2) | instid1(VALU_DEP_3)
	v_div_fixup_f32 v7, v12, v7, 1.0
	v_cndmask_b32_e32 v1, 0, v3, vcc_lo
	s_mov_b32 vcc_lo, s8
	v_div_fmas_f32 v11, v15, v31, v40
	v_cmp_class_f32_e64 vcc_lo, v5, 0x1f8
	v_cndmask_b32_e32 v2, 0, v5, vcc_lo
	v_cmp_class_f32_e64 vcc_lo, v4, 0x1f8
	v_div_fixup_f32 v5, v10, v8, 1.0
	v_div_fixup_f32 v8, v11, v9, 1.0
	v_cndmask_b32_e32 v3, 0, v4, vcc_lo
	v_cmp_class_f32_e64 vcc_lo, v6, 0x1f8
	v_cndmask_b32_e32 v4, 0, v6, vcc_lo
	v_cmp_class_f32_e64 vcc_lo, v5, 0x1f8
	;; [unrolled: 2-line block ×4, first 2 shown]
	v_cndmask_b32_e32 v7, 0, v8, vcc_lo
	s_cbranch_scc1 .LBB358_10
; %bb.4:
	s_load_b256 s[4:11], s[10:11], 0x0
	s_waitcnt lgkmcnt(0)
	v_dual_add_f32 v8, s4, v0 :: v_dual_add_f32 v9, s5, v1
	v_dual_add_f32 v10, s6, v2 :: v_dual_add_f32 v11, s7, v3
	;; [unrolled: 1-line block ×4, first 2 shown]
	s_cbranch_execnz .LBB358_6
.LBB358_5:
	v_dual_mov_b32 v15, v7 :: v_dual_mov_b32 v14, v6
	v_dual_mov_b32 v13, v5 :: v_dual_mov_b32 v12, v4
	;; [unrolled: 1-line block ×4, first 2 shown]
.LBB358_6:
	s_load_b128 s[4:7], s[0:1], 0x30
	s_mov_b32 s16, 0
	s_waitcnt lgkmcnt(0)
	s_bitcmp1_b32 s7, 0
	s_cselect_b32 vcc_lo, -1, 0
	s_cmp_gt_i32 s4, 0
	s_cselect_b32 s7, -1, 0
	s_cmp_lt_i32 s4, 1
	s_cbranch_scc1 .LBB358_11
; %bb.7:
	s_load_b128 s[8:11], s[0:1], 0x20
	v_mul_lo_u32 v18, v16, s4
	v_mov_b32_e32 v17, 0
	v_mov_b32_e32 v19, v16
.LBB358_8:                              ; =>This Inner Loop Header: Depth=1
	v_cmp_gt_f32_e64 s0, v9, v8
	s_delay_alu instid0(VALU_DEP_1) | instskip(SKIP_2) | instid1(VALU_DEP_3)
	v_cndmask_b32_e64 v21, v8, v9, s0
	v_cndmask_b32_e64 v20, 0, 1, s0
	v_cndmask_b32_e64 v22, v0, v1, s0
	v_cmp_gt_f32_e64 s1, v10, v21
	s_delay_alu instid0(VALU_DEP_1) | instskip(NEXT) | instid1(VALU_DEP_4)
	v_cndmask_b32_e64 v21, v21, v10, s1
	v_cndmask_b32_e64 v20, v20, 2, s1
	s_delay_alu instid0(VALU_DEP_4) | instskip(NEXT) | instid1(VALU_DEP_3)
	v_cndmask_b32_e64 v22, v22, v2, s1
	v_cmp_gt_f32_e64 s2, v11, v21
	s_delay_alu instid0(VALU_DEP_1) | instskip(NEXT) | instid1(VALU_DEP_4)
	v_cndmask_b32_e64 v21, v21, v11, s2
	v_cndmask_b32_e64 v20, v20, 3, s2
	s_delay_alu instid0(VALU_DEP_4) | instskip(NEXT) | instid1(VALU_DEP_3)
	v_cndmask_b32_e64 v25, v22, v3, s2
	v_cmp_gt_f32_e64 s3, v12, v21
	s_delay_alu instid0(VALU_DEP_1) | instskip(NEXT) | instid1(VALU_DEP_4)
	v_cndmask_b32_e64 v24, v21, v12, s3
	v_cndmask_b32_e64 v23, v20, 4, s3
	v_add_nc_u32_e32 v20, s16, v18
	v_cndmask_b32_e64 v28, v25, v4, s3
	s_add_i32 s16, s16, 1
	v_cmp_gt_f32_e64 s0, v13, v24
	s_delay_alu instid0(VALU_DEP_3) | instskip(NEXT) | instid1(VALU_DEP_2)
	v_ashrrev_i32_e32 v21, 31, v20
	v_cndmask_b32_e64 v27, v24, v13, s0
	v_cndmask_b32_e64 v26, v23, 5, s0
	s_delay_alu instid0(VALU_DEP_3) | instskip(SKIP_1) | instid1(VALU_DEP_4)
	v_lshlrev_b64 v[22:23], 2, v[20:21]
	v_cndmask_b32_e64 v28, v28, v5, s0
	v_cmp_gt_f32_e64 s1, v14, v27
	s_delay_alu instid0(VALU_DEP_3) | instskip(NEXT) | instid1(VALU_DEP_2)
	v_add_co_u32 v24, s2, s12, v22
	v_cndmask_b32_e64 v27, v27, v14, s1
	s_waitcnt lgkmcnt(0)
	v_add_co_u32 v22, s0, s10, v22
	v_add_co_ci_u32_e64 v25, s2, s13, v23, s2
	v_add_co_ci_u32_e64 v23, s0, s11, v23, s0
	v_cndmask_b32_e64 v26, v26, 6, s1
	v_cmp_gt_f32_e64 s0, v15, v27
	v_cndmask_b32_e64 v28, v28, v6, s1
	global_store_b32 v[22:23], v19, off
	v_add_nc_u32_e32 v19, s14, v19
	v_cndmask_b32_e64 v26, v26, 7, s0
	v_cndmask_b32_e64 v27, v28, v7, s0
	s_delay_alu instid0(VALU_DEP_2) | instskip(NEXT) | instid1(VALU_DEP_2)
	v_cmp_ne_u32_e64 s2, 0, v26
	v_add_f32_e32 v35, v17, v27
	v_lshlrev_b64 v[20:21], 3, v[20:21]
	v_cmp_le_i32_e64 s0, s5, v26
	v_subrev_nc_u32_e32 v22, s5, v26
	v_cndmask_b32_e64 v28, 0xc61c4000, v8, s2
	v_cmp_ne_u32_e64 s2, 1, v26
	v_cndmask_b32_e32 v17, v17, v35, vcc_lo
	v_add_co_u32 v20, s1, s8, v20
	s_delay_alu instid0(VALU_DEP_1) | instskip(NEXT) | instid1(VALU_DEP_4)
	v_add_co_ci_u32_e64 v21, s1, s9, v21, s1
	v_cndmask_b32_e64 v29, 0xc61c4000, v9, s2
	v_cmp_ne_u32_e64 s2, 2, v26
	v_cmp_gt_i32_e64 s1, s6, v26
	v_ashrrev_i32_e32 v23, 31, v22
	s_delay_alu instid0(VALU_DEP_3) | instskip(SKIP_1) | instid1(VALU_DEP_4)
	v_cndmask_b32_e64 v30, 0xc61c4000, v10, s2
	v_cmp_ne_u32_e64 s2, 3, v26
	s_and_b32 s0, s0, s1
	s_delay_alu instid0(SALU_CYCLE_1) | instskip(SKIP_1) | instid1(VALU_DEP_1)
	s_and_b32 s0, s15, s0
	s_cmp_lt_i32 s16, s4
	v_cndmask_b32_e64 v31, 0xc61c4000, v11, s2
	v_cmp_ne_u32_e64 s2, 4, v26
	v_cndmask_b32_e64 v23, 0, v23, s0
	v_cndmask_b32_e64 v22, 8, v22, s0
	s_cselect_b32 s0, -1, 0
	s_cmp_eq_u32 s4, s16
	v_cndmask_b32_e64 v32, 0xc61c4000, v12, s2
	v_cmp_ne_u32_e64 s2, 5, v26
	v_cndmask_b32_e64 v11, v11, v31, s0
	v_cndmask_b32_e64 v10, v10, v30, s0
	;; [unrolled: 1-line block ×5, first 2 shown]
	v_cmp_ne_u32_e64 s2, 6, v26
	v_cndmask_b32_e64 v8, v8, v28, s0
	global_store_b32 v[24:25], v27, off
	global_store_b64 v[20:21], v[22:23], off
	v_cndmask_b32_e64 v13, v13, v33, s0
	v_cndmask_b32_e64 v34, 0xc61c4000, v14, s2
	v_cmp_ne_u32_e64 s2, 7, v26
	s_delay_alu instid0(VALU_DEP_2) | instskip(NEXT) | instid1(VALU_DEP_2)
	v_cndmask_b32_e64 v14, v14, v34, s0
	v_cndmask_b32_e64 v26, 0xc61c4000, v15, s2
	s_delay_alu instid0(VALU_DEP_1)
	v_cndmask_b32_e64 v15, v15, v26, s0
	s_cbranch_scc0 .LBB358_8
; %bb.9:
	s_and_b32 vcc_lo, exec_lo, vcc_lo
	s_cbranch_vccnz .LBB358_12
	s_branch .LBB358_15
.LBB358_10:
                                        ; implicit-def: $vgpr8_vgpr9_vgpr10_vgpr11_vgpr12_vgpr13_vgpr14_vgpr15
	s_and_not1_b32 vcc_lo, exec_lo, s9
	s_cbranch_vccz .LBB358_5
	s_branch .LBB358_6
.LBB358_11:
	v_mov_b32_e32 v17, 0
	s_and_b32 vcc_lo, exec_lo, vcc_lo
	s_cbranch_vccz .LBB358_15
.LBB358_12:
	s_and_not1_b32 vcc_lo, exec_lo, s7
	s_cbranch_vccnz .LBB358_15
; %bb.13:
	v_mul_lo_u32 v0, v16, s4
	v_cmp_lt_f32_e32 vcc_lo, 0, v17
	v_cndmask_b32_e32 v2, 1.0, v17, vcc_lo
	s_delay_alu instid0(VALU_DEP_3) | instskip(NEXT) | instid1(VALU_DEP_1)
	v_ashrrev_i32_e32 v1, 31, v0
	v_lshlrev_b64 v[0:1], 2, v[0:1]
	s_delay_alu instid0(VALU_DEP_1) | instskip(NEXT) | instid1(VALU_DEP_2)
	v_add_co_u32 v0, vcc_lo, s12, v0
	v_add_co_ci_u32_e32 v1, vcc_lo, s13, v1, vcc_lo
	.p2align	6
.LBB358_14:                             ; =>This Inner Loop Header: Depth=1
	global_load_b32 v3, v[0:1], off
	s_add_i32 s4, s4, -1
	s_delay_alu instid0(SALU_CYCLE_1) | instskip(SKIP_3) | instid1(VALU_DEP_2)
	s_cmp_lg_u32 s4, 0
	s_waitcnt vmcnt(0)
	v_div_scale_f32 v4, null, v2, v2, v3
	v_div_scale_f32 v7, vcc_lo, v3, v2, v3
	v_rcp_f32_e32 v5, v4
	s_waitcnt_depctr 0xfff
	v_fma_f32 v6, -v4, v5, 1.0
	s_delay_alu instid0(VALU_DEP_1) | instskip(NEXT) | instid1(VALU_DEP_1)
	v_fmac_f32_e32 v5, v6, v5
	v_mul_f32_e32 v6, v7, v5
	s_delay_alu instid0(VALU_DEP_1) | instskip(NEXT) | instid1(VALU_DEP_1)
	v_fma_f32 v8, -v4, v6, v7
	v_fmac_f32_e32 v6, v8, v5
	s_delay_alu instid0(VALU_DEP_1) | instskip(NEXT) | instid1(VALU_DEP_1)
	v_fma_f32 v4, -v4, v6, v7
	v_div_fmas_f32 v4, v4, v5, v6
	s_delay_alu instid0(VALU_DEP_1)
	v_div_fixup_f32 v3, v4, v2, v3
	global_store_b32 v[0:1], v3, off
	v_add_co_u32 v0, vcc_lo, v0, 4
	v_add_co_ci_u32_e32 v1, vcc_lo, 0, v1, vcc_lo
	s_cbranch_scc1 .LBB358_14
.LBB358_15:
	s_nop 0
	s_sendmsg sendmsg(MSG_DEALLOC_VGPRS)
	s_endpgm
	.section	.rodata,"a",@progbits
	.p2align	6, 0x0
	.amdhsa_kernel _ZN4vllm3moe10topkGatingILi8ELi8ELi4ELi16ELi32El14__hip_bfloat16LNS0_11ScoringFuncE1EEEvPKT5_PKbPfiPT4_PiiiibPKf
		.amdhsa_group_segment_fixed_size 0
		.amdhsa_private_segment_fixed_size 0
		.amdhsa_kernarg_size 72
		.amdhsa_user_sgpr_count 15
		.amdhsa_user_sgpr_dispatch_ptr 0
		.amdhsa_user_sgpr_queue_ptr 0
		.amdhsa_user_sgpr_kernarg_segment_ptr 1
		.amdhsa_user_sgpr_dispatch_id 0
		.amdhsa_user_sgpr_private_segment_size 0
		.amdhsa_wavefront_size32 1
		.amdhsa_uses_dynamic_stack 0
		.amdhsa_enable_private_segment 0
		.amdhsa_system_sgpr_workgroup_id_x 1
		.amdhsa_system_sgpr_workgroup_id_y 0
		.amdhsa_system_sgpr_workgroup_id_z 0
		.amdhsa_system_sgpr_workgroup_info 0
		.amdhsa_system_vgpr_workitem_id 1
		.amdhsa_next_free_vgpr 49
		.amdhsa_next_free_sgpr 17
		.amdhsa_reserve_vcc 1
		.amdhsa_float_round_mode_32 0
		.amdhsa_float_round_mode_16_64 0
		.amdhsa_float_denorm_mode_32 3
		.amdhsa_float_denorm_mode_16_64 3
		.amdhsa_dx10_clamp 1
		.amdhsa_ieee_mode 1
		.amdhsa_fp16_overflow 0
		.amdhsa_workgroup_processor_mode 1
		.amdhsa_memory_ordered 1
		.amdhsa_forward_progress 0
		.amdhsa_shared_vgpr_count 0
		.amdhsa_exception_fp_ieee_invalid_op 0
		.amdhsa_exception_fp_denorm_src 0
		.amdhsa_exception_fp_ieee_div_zero 0
		.amdhsa_exception_fp_ieee_overflow 0
		.amdhsa_exception_fp_ieee_underflow 0
		.amdhsa_exception_fp_ieee_inexact 0
		.amdhsa_exception_int_div_zero 0
	.end_amdhsa_kernel
	.section	.text._ZN4vllm3moe10topkGatingILi8ELi8ELi4ELi16ELi32El14__hip_bfloat16LNS0_11ScoringFuncE1EEEvPKT5_PKbPfiPT4_PiiiibPKf,"axG",@progbits,_ZN4vllm3moe10topkGatingILi8ELi8ELi4ELi16ELi32El14__hip_bfloat16LNS0_11ScoringFuncE1EEEvPKT5_PKbPfiPT4_PiiiibPKf,comdat
.Lfunc_end358:
	.size	_ZN4vllm3moe10topkGatingILi8ELi8ELi4ELi16ELi32El14__hip_bfloat16LNS0_11ScoringFuncE1EEEvPKT5_PKbPfiPT4_PiiiibPKf, .Lfunc_end358-_ZN4vllm3moe10topkGatingILi8ELi8ELi4ELi16ELi32El14__hip_bfloat16LNS0_11ScoringFuncE1EEEvPKT5_PKbPfiPT4_PiiiibPKf
                                        ; -- End function
	.section	.AMDGPU.csdata,"",@progbits
; Kernel info:
; codeLenInByte = 2264
; NumSgprs: 19
; NumVgprs: 49
; ScratchSize: 0
; MemoryBound: 0
; FloatMode: 240
; IeeeMode: 1
; LDSByteSize: 0 bytes/workgroup (compile time only)
; SGPRBlocks: 2
; VGPRBlocks: 6
; NumSGPRsForWavesPerEU: 19
; NumVGPRsForWavesPerEU: 49
; Occupancy: 16
; WaveLimiterHint : 0
; COMPUTE_PGM_RSRC2:SCRATCH_EN: 0
; COMPUTE_PGM_RSRC2:USER_SGPR: 15
; COMPUTE_PGM_RSRC2:TRAP_HANDLER: 0
; COMPUTE_PGM_RSRC2:TGID_X_EN: 1
; COMPUTE_PGM_RSRC2:TGID_Y_EN: 0
; COMPUTE_PGM_RSRC2:TGID_Z_EN: 0
; COMPUTE_PGM_RSRC2:TIDIG_COMP_CNT: 1
	.section	.text._ZN4vllm3moe10topkGatingILi8ELi16ELi4ELi16ELi64El14__hip_bfloat16LNS0_11ScoringFuncE1EEEvPKT5_PKbPfiPT4_PiiiibPKf,"axG",@progbits,_ZN4vllm3moe10topkGatingILi8ELi16ELi4ELi16ELi64El14__hip_bfloat16LNS0_11ScoringFuncE1EEEvPKT5_PKbPfiPT4_PiiiibPKf,comdat
	.protected	_ZN4vllm3moe10topkGatingILi8ELi16ELi4ELi16ELi64El14__hip_bfloat16LNS0_11ScoringFuncE1EEEvPKT5_PKbPfiPT4_PiiiibPKf ; -- Begin function _ZN4vllm3moe10topkGatingILi8ELi16ELi4ELi16ELi64El14__hip_bfloat16LNS0_11ScoringFuncE1EEEvPKT5_PKbPfiPT4_PiiiibPKf
	.globl	_ZN4vllm3moe10topkGatingILi8ELi16ELi4ELi16ELi64El14__hip_bfloat16LNS0_11ScoringFuncE1EEEvPKT5_PKbPfiPT4_PiiiibPKf
	.p2align	8
	.type	_ZN4vllm3moe10topkGatingILi8ELi16ELi4ELi16ELi64El14__hip_bfloat16LNS0_11ScoringFuncE1EEEvPKT5_PKbPfiPT4_PiiiibPKf,@function
_ZN4vllm3moe10topkGatingILi8ELi16ELi4ELi16ELi64El14__hip_bfloat16LNS0_11ScoringFuncE1EEEvPKT5_PKbPfiPT4_PiiiibPKf: ; @_ZN4vllm3moe10topkGatingILi8ELi16ELi4ELi16ELi64El14__hip_bfloat16LNS0_11ScoringFuncE1EEEvPKT5_PKbPfiPT4_PiiiibPKf
; %bb.0:
	s_load_b32 s18, s[0:1], 0x18
	v_bfe_u32 v1, v0, 10, 10
	v_and_b32_e32 v0, 0x3ff, v0
	s_lshl_b32 s2, s15, 7
	s_delay_alu instid0(VALU_DEP_2) | instskip(NEXT) | instid1(VALU_DEP_2)
	v_lshlrev_b32_e32 v1, 5, v1
	v_lshrrev_b32_e32 v2, 1, v0
	s_delay_alu instid0(VALU_DEP_1) | instskip(SKIP_2) | instid1(VALU_DEP_1)
	v_add3_u32 v16, s2, v1, v2
	s_mov_b32 s2, exec_lo
	s_waitcnt lgkmcnt(0)
	v_cmpx_gt_i32_e64 s18, v16
	s_cbranch_execz .LBB359_25
; %bb.1:
	s_clause 0x1
	s_load_b128 s[4:7], s[0:1], 0x0
	s_load_b64 s[16:17], s[0:1], 0x10
	s_mov_b32 s9, -1
	s_mov_b32 s19, -1
	s_waitcnt lgkmcnt(0)
	s_cmp_eq_u64 s[6:7], 0
	s_cbranch_scc1 .LBB359_3
; %bb.2:
	v_ashrrev_i32_e32 v2, 31, v16
	v_add_co_u32 v1, vcc_lo, s6, v16
	s_delay_alu instid0(VALU_DEP_2) | instskip(SKIP_3) | instid1(VALU_DEP_1)
	v_add_co_ci_u32_e32 v2, vcc_lo, s7, v2, vcc_lo
	global_load_u8 v1, v[1:2], off
	s_waitcnt vmcnt(0)
	v_and_b32_e32 v1, 1, v1
	v_cmp_eq_u32_e32 vcc_lo, 1, v1
	s_xor_b32 s2, vcc_lo, -1
	s_delay_alu instid0(SALU_CYCLE_1)
	s_or_not1_b32 s19, s2, exec_lo
.LBB359_3:
	v_lshlrev_b32_e32 v1, 4, v16
	v_and_b32_e32 v17, 1, v0
	s_load_b64 s[10:11], s[0:1], 0x40
	s_delay_alu instid0(VALU_DEP_2) | instskip(NEXT) | instid1(VALU_DEP_1)
	v_ashrrev_i32_e32 v2, 31, v1
	v_lshlrev_b64 v[0:1], 1, v[1:2]
	s_delay_alu instid0(VALU_DEP_3) | instskip(NEXT) | instid1(VALU_DEP_2)
	v_lshlrev_b32_e32 v2, 4, v17
	v_add_co_u32 v0, vcc_lo, s4, v0
	s_delay_alu instid0(VALU_DEP_3) | instskip(NEXT) | instid1(VALU_DEP_2)
	v_add_co_ci_u32_e32 v1, vcc_lo, s5, v1, vcc_lo
	v_add_co_u32 v0, vcc_lo, v0, v2
	s_delay_alu instid0(VALU_DEP_2)
	v_add_co_ci_u32_e32 v1, vcc_lo, 0, v1, vcc_lo
	s_waitcnt lgkmcnt(0)
	s_cmp_eq_u64 s[10:11], 0
	global_load_b128 v[0:3], v[0:1], off
	s_waitcnt vmcnt(0)
	v_lshlrev_b32_e32 v5, 16, v1
	s_delay_alu instid0(VALU_DEP_1) | instskip(NEXT) | instid1(VALU_DEP_1)
	v_dual_mul_f32 v5, 0xbfb8aa3b, v5 :: v_dual_lshlrev_b32 v4, 16, v0
	v_mul_f32_e32 v4, 0xbfb8aa3b, v4
	s_delay_alu instid0(VALU_DEP_2) | instskip(NEXT) | instid1(VALU_DEP_1)
	v_exp_f32_e32 v5, v5
	v_exp_f32_e32 v4, v4
	v_and_b32_e32 v1, 0xffff0000, v1
	s_waitcnt_depctr 0xfff
	v_dual_add_f32 v5, 1.0, v5 :: v_dual_and_b32 v0, 0xffff0000, v0
	v_add_f32_e32 v4, 1.0, v4
	v_dual_mul_f32 v1, 0xbfb8aa3b, v1 :: v_dual_lshlrev_b32 v6, 16, v2
	s_delay_alu instid0(VALU_DEP_3) | instskip(NEXT) | instid1(VALU_DEP_4)
	v_dual_mul_f32 v0, 0xbfb8aa3b, v0 :: v_dual_lshlrev_b32 v7, 16, v3
	v_div_scale_f32 v12, null, v5, v5, 1.0
	s_delay_alu instid0(VALU_DEP_3) | instskip(SKIP_1) | instid1(VALU_DEP_3)
	v_exp_f32_e32 v1, v1
	v_and_b32_e32 v2, 0xffff0000, v2
	v_exp_f32_e32 v0, v0
	v_and_b32_e32 v3, 0xffff0000, v3
	v_dual_mul_f32 v6, 0xbfb8aa3b, v6 :: v_dual_mul_f32 v7, 0xbfb8aa3b, v7
	v_rcp_f32_e32 v28, v12
	v_div_scale_f32 v13, s3, 1.0, v5, 1.0
	s_delay_alu instid0(VALU_DEP_2) | instskip(SKIP_1) | instid1(TRANS32_DEP_3)
	v_exp_f32_e32 v6, v6
	v_dual_add_f32 v1, 1.0, v1 :: v_dual_mul_f32 v2, 0xbfb8aa3b, v2
	v_dual_add_f32 v0, 1.0, v0 :: v_dual_mul_f32 v3, 0xbfb8aa3b, v3
	v_lshlrev_b32_e32 v18, 3, v17
	v_exp_f32_e32 v7, v7
	s_delay_alu instid0(VALU_DEP_3) | instskip(NEXT) | instid1(VALU_DEP_2)
	v_exp_f32_e32 v2, v2
	v_div_scale_f32 v10, null, v0, v0, 1.0
	v_exp_f32_e32 v3, v3
	v_add_f32_e32 v6, 1.0, v6
	v_div_scale_f32 v14, null, v1, v1, 1.0
	s_delay_alu instid0(VALU_DEP_3) | instskip(SKIP_1) | instid1(TRANS32_DEP_3)
	v_rcp_f32_e32 v27, v10
	v_fma_f32 v37, -v12, v28, 1.0
	v_dual_add_f32 v7, 1.0, v7 :: v_dual_add_f32 v8, 1.0, v2
	v_div_scale_f32 v2, null, v4, v4, 1.0
	s_delay_alu instid0(TRANS32_DEP_2) | instskip(SKIP_1) | instid1(VALU_DEP_4)
	v_add_f32_e32 v9, 1.0, v3
	v_div_scale_f32 v19, null, v6, v6, 1.0
	v_div_scale_f32 v21, null, v8, v8, 1.0
	s_delay_alu instid0(VALU_DEP_4) | instskip(NEXT) | instid1(VALU_DEP_2)
	v_rcp_f32_e32 v26, v2
	v_rcp_f32_e32 v30, v19
	v_rcp_f32_e32 v29, v14
	s_delay_alu instid0(VALU_DEP_1)
	v_rcp_f32_e32 v31, v21
	v_div_scale_f32 v23, null, v7, v7, 1.0
	v_fma_f32 v36, -v10, v27, 1.0
	v_div_scale_f32 v3, vcc_lo, 1.0, v4, 1.0
	v_div_scale_f32 v11, s2, 1.0, v0, 1.0
	v_fma_f32 v35, -v2, v26, 1.0
	s_delay_alu instid0(TRANS32_DEP_3) | instskip(NEXT) | instid1(TRANS32_DEP_1)
	v_fma_f32 v39, -v19, v30, 1.0
	v_fma_f32 v40, -v21, v31, 1.0
	s_delay_alu instid0(TRANS32_DEP_2) | instskip(SKIP_3) | instid1(VALU_DEP_3)
	v_fma_f32 v38, -v14, v29, 1.0
	v_div_scale_f32 v25, null, v9, v9, 1.0
	v_dual_fmac_f32 v26, v35, v26 :: v_dual_fmac_f32 v27, v36, v27
	v_rcp_f32_e32 v32, v23
	v_dual_fmac_f32 v28, v37, v28 :: v_dual_fmac_f32 v29, v38, v29
	v_div_scale_f32 v22, s6, 1.0, v8, 1.0
	v_dual_fmac_f32 v30, v39, v30 :: v_dual_fmac_f32 v31, v40, v31
	v_mul_f32_e32 v35, v3, v26
	v_div_scale_f32 v15, s4, 1.0, v1, 1.0
	v_rcp_f32_e32 v33, v25
	s_delay_alu instid0(VALU_DEP_3)
	v_mul_f32_e32 v40, v22, v31
	v_dual_mul_f32 v36, v11, v27 :: v_dual_mul_f32 v37, v13, v28
	v_div_scale_f32 v20, s5, 1.0, v6, 1.0
	v_fma_f32 v43, -v2, v35, v3
	v_mul_f32_e32 v38, v15, v29
	v_fma_f32 v41, -v23, v32, 1.0
	s_delay_alu instid0(VALU_DEP_4)
	v_mul_f32_e32 v39, v20, v30
	v_fma_f32 v44, -v10, v36, v11
	v_fma_f32 v45, -v12, v37, v13
	v_fmac_f32_e32 v35, v43, v26
	v_fma_f32 v46, -v14, v38, v15
	v_div_scale_f32 v24, s7, 1.0, v7, 1.0
	v_fmac_f32_e32 v36, v44, v27
	v_fma_f32 v42, -v25, v33, 1.0
	v_fmac_f32_e32 v32, v41, v32
	v_fma_f32 v47, -v19, v39, v20
	v_dual_fmac_f32 v37, v45, v28 :: v_dual_fmac_f32 v38, v46, v29
	v_fma_f32 v48, -v21, v40, v22
	v_fma_f32 v2, -v2, v35, v3
	v_div_scale_f32 v34, s8, 1.0, v9, 1.0
	v_fmac_f32_e32 v33, v42, v33
	v_mul_f32_e32 v41, v24, v32
	v_fma_f32 v3, -v10, v36, v11
	v_dual_fmac_f32 v39, v47, v30 :: v_dual_fmac_f32 v40, v48, v31
	v_fma_f32 v10, -v12, v37, v13
	v_div_fmas_f32 v2, v2, v26, v35
	s_mov_b32 vcc_lo, s2
	v_fma_f32 v11, -v14, v38, v15
	v_mul_f32_e32 v42, v34, v33
	v_fma_f32 v49, -v23, v41, v24
	v_div_fmas_f32 v3, v3, v27, v36
	s_mov_b32 vcc_lo, s3
	v_fma_f32 v12, -v19, v39, v20
	v_div_fmas_f32 v10, v10, v28, v37
	s_mov_b32 vcc_lo, s4
	v_fma_f32 v13, -v21, v40, v22
	v_div_fixup_f32 v2, v2, v4, 1.0
	v_div_fmas_f32 v4, v11, v29, v38
	s_mov_b32 vcc_lo, s5
	v_fma_f32 v50, -v25, v42, v34
	v_fmac_f32_e32 v41, v49, v32
	v_div_fmas_f32 v11, v12, v30, v39
	s_mov_b32 vcc_lo, s6
	v_div_fixup_f32 v5, v10, v5, 1.0
	v_fmac_f32_e32 v42, v50, v33
	v_div_fmas_f32 v10, v13, v31, v40
	v_cmp_class_f32_e64 vcc_lo, v2, 0x1f8
	v_fma_f32 v14, -v23, v41, v24
	v_div_fixup_f32 v3, v3, v0, 1.0
	v_fma_f32 v15, -v25, v42, v34
	v_div_fixup_f32 v4, v4, v1, 1.0
	v_cndmask_b32_e32 v0, 0, v2, vcc_lo
	s_mov_b32 vcc_lo, s7
	v_div_fixup_f32 v6, v11, v6, 1.0
	v_div_fmas_f32 v12, v14, v32, v41
	v_cmp_class_f32_e64 vcc_lo, v3, 0x1f8
	s_delay_alu instid0(VALU_DEP_2)
	v_div_fixup_f32 v7, v12, v7, 1.0
	v_cndmask_b32_e32 v1, 0, v3, vcc_lo
	s_mov_b32 vcc_lo, s8
	v_div_fmas_f32 v11, v15, v33, v42
	v_cmp_class_f32_e64 vcc_lo, v5, 0x1f8
	v_cndmask_b32_e32 v2, 0, v5, vcc_lo
	v_cmp_class_f32_e64 vcc_lo, v4, 0x1f8
	v_div_fixup_f32 v5, v10, v8, 1.0
	v_div_fixup_f32 v8, v11, v9, 1.0
	v_cndmask_b32_e32 v3, 0, v4, vcc_lo
	v_cmp_class_f32_e64 vcc_lo, v6, 0x1f8
	v_cndmask_b32_e32 v4, 0, v6, vcc_lo
	v_cmp_class_f32_e64 vcc_lo, v5, 0x1f8
	;; [unrolled: 2-line block ×4, first 2 shown]
	v_cndmask_b32_e32 v7, 0, v8, vcc_lo
	s_cbranch_scc1 .LBB359_19
; %bb.4:
	v_lshlrev_b32_e32 v12, 2, v18
	s_clause 0x1
	global_load_b128 v[8:11], v12, s[10:11]
	global_load_b128 v[12:15], v12, s[10:11] offset:16
	s_waitcnt vmcnt(1)
	v_dual_add_f32 v9, v9, v1 :: v_dual_add_f32 v8, v8, v0
	v_dual_add_f32 v11, v11, v3 :: v_dual_add_f32 v10, v10, v2
	s_waitcnt vmcnt(0)
	v_dual_add_f32 v13, v13, v5 :: v_dual_add_f32 v12, v12, v4
	v_dual_add_f32 v15, v15, v7 :: v_dual_add_f32 v14, v14, v6
	s_cbranch_execnz .LBB359_6
.LBB359_5:
	v_dual_mov_b32 v15, v7 :: v_dual_mov_b32 v14, v6
	v_dual_mov_b32 v13, v5 :: v_dual_mov_b32 v12, v4
	v_dual_mov_b32 v11, v3 :: v_dual_mov_b32 v10, v2
	v_dual_mov_b32 v9, v1 :: v_dual_mov_b32 v8, v0
.LBB359_6:
	s_load_b128 s[8:11], s[0:1], 0x30
	v_cmp_eq_u32_e64 s2, 0, v17
	s_mov_b32 s6, 0
	s_waitcnt lgkmcnt(0)
	s_bitcmp1_b32 s11, 0
	s_cselect_b32 vcc_lo, -1, 0
	s_cmp_gt_i32 s8, 0
	s_cselect_b32 s5, -1, 0
	s_cmp_lt_i32 s8, 1
	s_cbranch_scc1 .LBB359_20
; %bb.7:
	v_mbcnt_lo_u32_b32 v19, -1, 0
	s_load_b128 s[12:15], s[0:1], 0x20
	v_mov_b32_e32 v22, v16
	s_delay_alu instid0(VALU_DEP_2) | instskip(SKIP_1) | instid1(VALU_DEP_2)
	v_and_b32_e32 v20, 30, v19
	v_xor_b32_e32 v21, 1, v19
	v_add_nc_u32_e32 v20, 2, v20
	s_delay_alu instid0(VALU_DEP_1) | instskip(SKIP_1) | instid1(VALU_DEP_2)
	v_cmp_lt_i32_e64 s0, v21, v20
	v_mul_lo_u32 v20, v16, s8
	v_cndmask_b32_e64 v21, v19, v21, s0
	v_mov_b32_e32 v19, 0
	s_delay_alu instid0(VALU_DEP_2)
	v_lshlrev_b32_e32 v21, 2, v21
	s_branch .LBB359_10
.LBB359_8:                              ;   in Loop: Header=BB359_10 Depth=1
	s_or_b32 exec_lo, exec_lo, s1
.LBB359_9:                              ;   in Loop: Header=BB359_10 Depth=1
	v_add_nc_u32_e32 v22, s18, v22
	s_cmp_eq_u32 s8, s6
	s_cbranch_scc1 .LBB359_21
.LBB359_10:                             ; =>This Inner Loop Header: Depth=1
	v_cmp_gt_f32_e64 s0, v9, v8
	s_delay_alu instid0(VALU_DEP_1) | instskip(SKIP_2) | instid1(VALU_DEP_3)
	v_cndmask_b32_e64 v24, v8, v9, s0
	v_cndmask_b32_e64 v23, 0, 1, s0
	;; [unrolled: 1-line block ×3, first 2 shown]
	v_cmp_gt_f32_e64 s1, v10, v24
	s_delay_alu instid0(VALU_DEP_1) | instskip(NEXT) | instid1(VALU_DEP_4)
	v_cndmask_b32_e64 v24, v24, v10, s1
	v_cndmask_b32_e64 v23, v23, 2, s1
	s_delay_alu instid0(VALU_DEP_4) | instskip(NEXT) | instid1(VALU_DEP_3)
	v_cndmask_b32_e64 v25, v25, v2, s1
	v_cmp_gt_f32_e64 s3, v11, v24
	s_delay_alu instid0(VALU_DEP_1) | instskip(NEXT) | instid1(VALU_DEP_4)
	v_cndmask_b32_e64 v24, v24, v11, s3
	v_cndmask_b32_e64 v23, v23, 3, s3
	s_delay_alu instid0(VALU_DEP_4) | instskip(NEXT) | instid1(VALU_DEP_3)
	v_cndmask_b32_e64 v25, v25, v3, s3
	v_cmp_gt_f32_e64 s4, v12, v24
	s_delay_alu instid0(VALU_DEP_1) | instskip(NEXT) | instid1(VALU_DEP_4)
	v_cndmask_b32_e64 v24, v24, v12, s4
	v_cndmask_b32_e64 v23, v23, 4, s4
	s_delay_alu instid0(VALU_DEP_4) | instskip(SKIP_1) | instid1(VALU_DEP_3)
	v_cndmask_b32_e64 v25, v25, v4, s4
	s_mov_b32 s4, exec_lo
	v_cmp_gt_f32_e64 s0, v13, v24
	s_delay_alu instid0(VALU_DEP_1) | instskip(SKIP_2) | instid1(VALU_DEP_3)
	v_cndmask_b32_e64 v24, v24, v13, s0
	v_cndmask_b32_e64 v23, v23, 5, s0
	;; [unrolled: 1-line block ×3, first 2 shown]
	v_cmp_gt_f32_e64 s1, v14, v24
	s_delay_alu instid0(VALU_DEP_1) | instskip(NEXT) | instid1(VALU_DEP_4)
	v_cndmask_b32_e64 v24, v24, v14, s1
	v_cndmask_b32_e64 v23, v23, 6, s1
	s_delay_alu instid0(VALU_DEP_4) | instskip(NEXT) | instid1(VALU_DEP_3)
	v_cndmask_b32_e64 v25, v25, v6, s1
	v_cmp_gt_f32_e64 s0, v15, v24
	s_delay_alu instid0(VALU_DEP_1) | instskip(SKIP_1) | instid1(VALU_DEP_4)
	v_cndmask_b32_e64 v23, v23, 7, s0
	v_cndmask_b32_e64 v27, v24, v15, s0
	;; [unrolled: 1-line block ×3, first 2 shown]
	s_delay_alu instid0(VALU_DEP_3)
	v_or_b32_e32 v23, v18, v23
	ds_bpermute_b32 v28, v21, v27
	ds_bpermute_b32 v25, v21, v24
	;; [unrolled: 1-line block ×3, first 2 shown]
	s_waitcnt lgkmcnt(0)
	v_cmp_lt_f32_e64 s3, v27, v28
	v_cmpx_nlt_f32_e32 v27, v28
	s_cbranch_execnz .LBB359_14
; %bb.11:                               ;   in Loop: Header=BB359_10 Depth=1
	s_or_b32 exec_lo, exec_lo, s4
	s_delay_alu instid0(VALU_DEP_2)
	s_and_saveexec_b32 s0, s3
	s_cbranch_execnz .LBB359_15
.LBB359_12:                             ;   in Loop: Header=BB359_10 Depth=1
	s_or_b32 exec_lo, exec_lo, s0
	s_and_saveexec_b32 s3, s2
	s_cbranch_execnz .LBB359_16
.LBB359_13:                             ;   in Loop: Header=BB359_10 Depth=1
	s_or_b32 exec_lo, exec_lo, s3
	s_add_i32 s6, s6, 1
	s_delay_alu instid0(SALU_CYCLE_1)
	s_cmp_ge_i32 s6, s8
	s_cbranch_scc1 .LBB359_9
	s_branch .LBB359_17
.LBB359_14:                             ;   in Loop: Header=BB359_10 Depth=1
	v_cmp_eq_f32_e64 s0, v27, v28
	v_cmp_lt_i32_e64 s1, v26, v23
	s_delay_alu instid0(VALU_DEP_1) | instskip(SKIP_2) | instid1(SALU_CYCLE_1)
	s_and_b32 s0, s0, s1
	s_and_not1_b32 s1, s3, exec_lo
	s_and_b32 s0, s0, exec_lo
	s_or_b32 s3, s1, s0
	s_or_b32 exec_lo, exec_lo, s4
	s_and_saveexec_b32 s0, s3
	s_cbranch_execz .LBB359_12
.LBB359_15:                             ;   in Loop: Header=BB359_10 Depth=1
	v_dual_mov_b32 v23, v26 :: v_dual_mov_b32 v24, v25
	s_or_b32 exec_lo, exec_lo, s0
	s_and_saveexec_b32 s3, s2
	s_cbranch_execz .LBB359_13
.LBB359_16:                             ;   in Loop: Header=BB359_10 Depth=1
	v_add_nc_u32_e32 v25, s6, v20
	v_subrev_nc_u32_e32 v29, s9, v23
	v_cmp_le_i32_e64 s0, s9, v23
	v_cmp_gt_i32_e64 s1, s10, v23
	v_add_f32_e32 v33, v19, v24
	v_ashrrev_i32_e32 v26, 31, v25
	v_ashrrev_i32_e32 v30, 31, v29
	s_delay_alu instid0(VALU_DEP_4) | instskip(NEXT) | instid1(VALU_DEP_3)
	s_and_b32 s0, s0, s1
	v_cndmask_b32_e32 v19, v19, v33, vcc_lo
	s_delay_alu instid0(VALU_DEP_3) | instskip(SKIP_2) | instid1(SALU_CYCLE_1)
	v_lshlrev_b64 v[27:28], 2, v[25:26]
	v_lshlrev_b64 v[25:26], 3, v[25:26]
	s_and_b32 s0, s19, s0
	v_cndmask_b32_e64 v30, 0, v30, s0
	v_cndmask_b32_e64 v29, 16, v29, s0
	s_delay_alu instid0(VALU_DEP_4) | instskip(NEXT) | instid1(VALU_DEP_1)
	v_add_co_u32 v31, s0, s16, v27
	v_add_co_ci_u32_e64 v32, s0, s17, v28, s0
	v_add_co_u32 v25, s0, s12, v25
	s_delay_alu instid0(VALU_DEP_1) | instskip(SKIP_1) | instid1(VALU_DEP_1)
	v_add_co_ci_u32_e64 v26, s0, s13, v26, s0
	v_add_co_u32 v27, s0, s14, v27
	v_add_co_ci_u32_e64 v28, s0, s15, v28, s0
	global_store_b32 v[31:32], v24, off
	global_store_b64 v[25:26], v[29:30], off
	global_store_b32 v[27:28], v22, off
	s_or_b32 exec_lo, exec_lo, s3
	s_add_i32 s6, s6, 1
	s_delay_alu instid0(SALU_CYCLE_1)
	s_cmp_ge_i32 s6, s8
	s_cbranch_scc1 .LBB359_9
.LBB359_17:                             ;   in Loop: Header=BB359_10 Depth=1
	v_ashrrev_i32_e32 v25, 31, v23
	s_mov_b32 s1, exec_lo
	s_delay_alu instid0(VALU_DEP_1) | instskip(NEXT) | instid1(VALU_DEP_1)
	v_lshrrev_b32_e32 v24, 29, v25
	v_add_nc_u32_e32 v26, v23, v24
	s_delay_alu instid0(VALU_DEP_1) | instskip(SKIP_1) | instid1(VALU_DEP_1)
	v_ashrrev_i32_e32 v24, 3, v26
	v_lshrrev_b32_e32 v26, 31, v26
	v_add_nc_u32_e32 v26, v24, v26
	s_delay_alu instid0(VALU_DEP_1) | instskip(NEXT) | instid1(VALU_DEP_1)
	v_and_b32_e32 v26, -2, v26
	v_sub_nc_u32_e32 v26, v24, v26
	s_delay_alu instid0(VALU_DEP_1)
	v_cmpx_eq_u32_e64 v17, v26
	s_cbranch_execz .LBB359_8
; %bb.18:                               ;   in Loop: Header=BB359_10 Depth=1
	v_lshrrev_b32_e32 v25, 28, v25
	v_lshlrev_b32_e32 v24, 3, v24
	s_delay_alu instid0(VALU_DEP_2) | instskip(NEXT) | instid1(VALU_DEP_2)
	v_add_nc_u32_e32 v25, v23, v25
	v_sub_nc_u32_e32 v23, v23, v24
	s_delay_alu instid0(VALU_DEP_2) | instskip(NEXT) | instid1(VALU_DEP_1)
	v_ashrrev_i32_e32 v24, 4, v25
	v_lshl_add_u32 v23, v24, 3, v23
	s_delay_alu instid0(VALU_DEP_1) | instskip(NEXT) | instid1(VALU_DEP_1)
	v_cmp_ne_u32_e64 s0, 7, v23
	v_cndmask_b32_e64 v15, 0xc61c4000, v15, s0
	v_cmp_ne_u32_e64 s0, 6, v23
	s_delay_alu instid0(VALU_DEP_1) | instskip(SKIP_1) | instid1(VALU_DEP_1)
	v_cndmask_b32_e64 v14, 0xc61c4000, v14, s0
	v_cmp_ne_u32_e64 s0, 5, v23
	v_cndmask_b32_e64 v13, 0xc61c4000, v13, s0
	v_cmp_ne_u32_e64 s0, 4, v23
	s_delay_alu instid0(VALU_DEP_1) | instskip(SKIP_1) | instid1(VALU_DEP_1)
	v_cndmask_b32_e64 v12, 0xc61c4000, v12, s0
	;; [unrolled: 5-line block ×3, first 2 shown]
	v_cmp_ne_u32_e64 s0, 1, v23
	v_cndmask_b32_e64 v9, 0xc61c4000, v9, s0
	v_cmp_ne_u32_e64 s0, 0, v23
	s_delay_alu instid0(VALU_DEP_1)
	v_cndmask_b32_e64 v8, 0xc61c4000, v8, s0
	s_branch .LBB359_8
.LBB359_19:
                                        ; implicit-def: $vgpr8_vgpr9_vgpr10_vgpr11_vgpr12_vgpr13_vgpr14_vgpr15
	s_and_not1_b32 vcc_lo, exec_lo, s9
	s_cbranch_vccz .LBB359_5
	s_branch .LBB359_6
.LBB359_20:
	v_mov_b32_e32 v19, 0
.LBB359_21:
	v_cmp_eq_u32_e64 s0, 0, v17
	s_delay_alu instid0(VALU_DEP_1) | instskip(NEXT) | instid1(SALU_CYCLE_1)
	s_and_b32 s0, s0, vcc_lo
	s_and_b32 exec_lo, exec_lo, s0
	s_cbranch_execz .LBB359_25
; %bb.22:
	s_and_not1_b32 vcc_lo, exec_lo, s5
	s_cbranch_vccnz .LBB359_25
; %bb.23:
	v_mul_lo_u32 v0, v16, s8
	v_cmp_lt_f32_e32 vcc_lo, 0, v19
	v_cndmask_b32_e32 v2, 1.0, v19, vcc_lo
	s_delay_alu instid0(VALU_DEP_3) | instskip(NEXT) | instid1(VALU_DEP_1)
	v_ashrrev_i32_e32 v1, 31, v0
	v_lshlrev_b64 v[0:1], 2, v[0:1]
	s_delay_alu instid0(VALU_DEP_1) | instskip(NEXT) | instid1(VALU_DEP_2)
	v_add_co_u32 v0, vcc_lo, s16, v0
	v_add_co_ci_u32_e32 v1, vcc_lo, s17, v1, vcc_lo
	.p2align	6
.LBB359_24:                             ; =>This Inner Loop Header: Depth=1
	global_load_b32 v3, v[0:1], off
	s_add_i32 s8, s8, -1
	s_delay_alu instid0(SALU_CYCLE_1) | instskip(SKIP_3) | instid1(VALU_DEP_2)
	s_cmp_lg_u32 s8, 0
	s_waitcnt vmcnt(0)
	v_div_scale_f32 v4, null, v2, v2, v3
	v_div_scale_f32 v7, vcc_lo, v3, v2, v3
	v_rcp_f32_e32 v5, v4
	s_waitcnt_depctr 0xfff
	v_fma_f32 v6, -v4, v5, 1.0
	s_delay_alu instid0(VALU_DEP_1) | instskip(NEXT) | instid1(VALU_DEP_1)
	v_fmac_f32_e32 v5, v6, v5
	v_mul_f32_e32 v6, v7, v5
	s_delay_alu instid0(VALU_DEP_1) | instskip(NEXT) | instid1(VALU_DEP_1)
	v_fma_f32 v8, -v4, v6, v7
	v_fmac_f32_e32 v6, v8, v5
	s_delay_alu instid0(VALU_DEP_1) | instskip(NEXT) | instid1(VALU_DEP_1)
	v_fma_f32 v4, -v4, v6, v7
	v_div_fmas_f32 v4, v4, v5, v6
	s_delay_alu instid0(VALU_DEP_1)
	v_div_fixup_f32 v3, v4, v2, v3
	global_store_b32 v[0:1], v3, off
	v_add_co_u32 v0, vcc_lo, v0, 4
	v_add_co_ci_u32_e32 v1, vcc_lo, 0, v1, vcc_lo
	s_cbranch_scc1 .LBB359_24
.LBB359_25:
	s_nop 0
	s_sendmsg sendmsg(MSG_DEALLOC_VGPRS)
	s_endpgm
	.section	.rodata,"a",@progbits
	.p2align	6, 0x0
	.amdhsa_kernel _ZN4vllm3moe10topkGatingILi8ELi16ELi4ELi16ELi64El14__hip_bfloat16LNS0_11ScoringFuncE1EEEvPKT5_PKbPfiPT4_PiiiibPKf
		.amdhsa_group_segment_fixed_size 0
		.amdhsa_private_segment_fixed_size 0
		.amdhsa_kernarg_size 72
		.amdhsa_user_sgpr_count 15
		.amdhsa_user_sgpr_dispatch_ptr 0
		.amdhsa_user_sgpr_queue_ptr 0
		.amdhsa_user_sgpr_kernarg_segment_ptr 1
		.amdhsa_user_sgpr_dispatch_id 0
		.amdhsa_user_sgpr_private_segment_size 0
		.amdhsa_wavefront_size32 1
		.amdhsa_uses_dynamic_stack 0
		.amdhsa_enable_private_segment 0
		.amdhsa_system_sgpr_workgroup_id_x 1
		.amdhsa_system_sgpr_workgroup_id_y 0
		.amdhsa_system_sgpr_workgroup_id_z 0
		.amdhsa_system_sgpr_workgroup_info 0
		.amdhsa_system_vgpr_workitem_id 1
		.amdhsa_next_free_vgpr 51
		.amdhsa_next_free_sgpr 20
		.amdhsa_reserve_vcc 1
		.amdhsa_float_round_mode_32 0
		.amdhsa_float_round_mode_16_64 0
		.amdhsa_float_denorm_mode_32 3
		.amdhsa_float_denorm_mode_16_64 3
		.amdhsa_dx10_clamp 1
		.amdhsa_ieee_mode 1
		.amdhsa_fp16_overflow 0
		.amdhsa_workgroup_processor_mode 1
		.amdhsa_memory_ordered 1
		.amdhsa_forward_progress 0
		.amdhsa_shared_vgpr_count 0
		.amdhsa_exception_fp_ieee_invalid_op 0
		.amdhsa_exception_fp_denorm_src 0
		.amdhsa_exception_fp_ieee_div_zero 0
		.amdhsa_exception_fp_ieee_overflow 0
		.amdhsa_exception_fp_ieee_underflow 0
		.amdhsa_exception_fp_ieee_inexact 0
		.amdhsa_exception_int_div_zero 0
	.end_amdhsa_kernel
	.section	.text._ZN4vllm3moe10topkGatingILi8ELi16ELi4ELi16ELi64El14__hip_bfloat16LNS0_11ScoringFuncE1EEEvPKT5_PKbPfiPT4_PiiiibPKf,"axG",@progbits,_ZN4vllm3moe10topkGatingILi8ELi16ELi4ELi16ELi64El14__hip_bfloat16LNS0_11ScoringFuncE1EEEvPKT5_PKbPfiPT4_PiiiibPKf,comdat
.Lfunc_end359:
	.size	_ZN4vllm3moe10topkGatingILi8ELi16ELi4ELi16ELi64El14__hip_bfloat16LNS0_11ScoringFuncE1EEEvPKT5_PKbPfiPT4_PiiiibPKf, .Lfunc_end359-_ZN4vllm3moe10topkGatingILi8ELi16ELi4ELi16ELi64El14__hip_bfloat16LNS0_11ScoringFuncE1EEEvPKT5_PKbPfiPT4_PiiiibPKf
                                        ; -- End function
	.section	.AMDGPU.csdata,"",@progbits
; Kernel info:
; codeLenInByte = 2640
; NumSgprs: 22
; NumVgprs: 51
; ScratchSize: 0
; MemoryBound: 0
; FloatMode: 240
; IeeeMode: 1
; LDSByteSize: 0 bytes/workgroup (compile time only)
; SGPRBlocks: 2
; VGPRBlocks: 6
; NumSGPRsForWavesPerEU: 22
; NumVGPRsForWavesPerEU: 51
; Occupancy: 16
; WaveLimiterHint : 0
; COMPUTE_PGM_RSRC2:SCRATCH_EN: 0
; COMPUTE_PGM_RSRC2:USER_SGPR: 15
; COMPUTE_PGM_RSRC2:TRAP_HANDLER: 0
; COMPUTE_PGM_RSRC2:TGID_X_EN: 1
; COMPUTE_PGM_RSRC2:TGID_Y_EN: 0
; COMPUTE_PGM_RSRC2:TGID_Z_EN: 0
; COMPUTE_PGM_RSRC2:TIDIG_COMP_CNT: 1
	.section	.text._ZN4vllm3moe10topkGatingILi8ELi16ELi4ELi16ELi32El14__hip_bfloat16LNS0_11ScoringFuncE1EEEvPKT5_PKbPfiPT4_PiiiibPKf,"axG",@progbits,_ZN4vllm3moe10topkGatingILi8ELi16ELi4ELi16ELi32El14__hip_bfloat16LNS0_11ScoringFuncE1EEEvPKT5_PKbPfiPT4_PiiiibPKf,comdat
	.protected	_ZN4vllm3moe10topkGatingILi8ELi16ELi4ELi16ELi32El14__hip_bfloat16LNS0_11ScoringFuncE1EEEvPKT5_PKbPfiPT4_PiiiibPKf ; -- Begin function _ZN4vllm3moe10topkGatingILi8ELi16ELi4ELi16ELi32El14__hip_bfloat16LNS0_11ScoringFuncE1EEEvPKT5_PKbPfiPT4_PiiiibPKf
	.globl	_ZN4vllm3moe10topkGatingILi8ELi16ELi4ELi16ELi32El14__hip_bfloat16LNS0_11ScoringFuncE1EEEvPKT5_PKbPfiPT4_PiiiibPKf
	.p2align	8
	.type	_ZN4vllm3moe10topkGatingILi8ELi16ELi4ELi16ELi32El14__hip_bfloat16LNS0_11ScoringFuncE1EEEvPKT5_PKbPfiPT4_PiiiibPKf,@function
_ZN4vllm3moe10topkGatingILi8ELi16ELi4ELi16ELi32El14__hip_bfloat16LNS0_11ScoringFuncE1EEEvPKT5_PKbPfiPT4_PiiiibPKf: ; @_ZN4vllm3moe10topkGatingILi8ELi16ELi4ELi16ELi32El14__hip_bfloat16LNS0_11ScoringFuncE1EEEvPKT5_PKbPfiPT4_PiiiibPKf
; %bb.0:
	s_load_b32 s18, s[0:1], 0x18
	v_bfe_u32 v1, v0, 10, 10
	v_and_b32_e32 v0, 0x3ff, v0
	s_lshl_b32 s2, s15, 6
	s_delay_alu instid0(VALU_DEP_2) | instskip(NEXT) | instid1(VALU_DEP_2)
	v_lshlrev_b32_e32 v1, 4, v1
	v_lshrrev_b32_e32 v2, 1, v0
	s_delay_alu instid0(VALU_DEP_1) | instskip(SKIP_2) | instid1(VALU_DEP_1)
	v_add3_u32 v16, s2, v1, v2
	s_mov_b32 s2, exec_lo
	s_waitcnt lgkmcnt(0)
	v_cmpx_gt_i32_e64 s18, v16
	s_cbranch_execz .LBB360_25
; %bb.1:
	s_clause 0x1
	s_load_b128 s[4:7], s[0:1], 0x0
	s_load_b64 s[16:17], s[0:1], 0x10
	s_mov_b32 s9, -1
	s_mov_b32 s19, -1
	s_waitcnt lgkmcnt(0)
	s_cmp_eq_u64 s[6:7], 0
	s_cbranch_scc1 .LBB360_3
; %bb.2:
	v_ashrrev_i32_e32 v2, 31, v16
	v_add_co_u32 v1, vcc_lo, s6, v16
	s_delay_alu instid0(VALU_DEP_2) | instskip(SKIP_3) | instid1(VALU_DEP_1)
	v_add_co_ci_u32_e32 v2, vcc_lo, s7, v2, vcc_lo
	global_load_u8 v1, v[1:2], off
	s_waitcnt vmcnt(0)
	v_and_b32_e32 v1, 1, v1
	v_cmp_eq_u32_e32 vcc_lo, 1, v1
	s_xor_b32 s2, vcc_lo, -1
	s_delay_alu instid0(SALU_CYCLE_1)
	s_or_not1_b32 s19, s2, exec_lo
.LBB360_3:
	v_lshlrev_b32_e32 v1, 4, v16
	v_and_b32_e32 v17, 1, v0
	s_load_b64 s[10:11], s[0:1], 0x40
	s_delay_alu instid0(VALU_DEP_2) | instskip(NEXT) | instid1(VALU_DEP_1)
	v_ashrrev_i32_e32 v2, 31, v1
	v_lshlrev_b64 v[0:1], 1, v[1:2]
	s_delay_alu instid0(VALU_DEP_3) | instskip(NEXT) | instid1(VALU_DEP_2)
	v_lshlrev_b32_e32 v2, 4, v17
	v_add_co_u32 v0, vcc_lo, s4, v0
	s_delay_alu instid0(VALU_DEP_3) | instskip(NEXT) | instid1(VALU_DEP_2)
	v_add_co_ci_u32_e32 v1, vcc_lo, s5, v1, vcc_lo
	v_add_co_u32 v0, vcc_lo, v0, v2
	s_delay_alu instid0(VALU_DEP_2)
	v_add_co_ci_u32_e32 v1, vcc_lo, 0, v1, vcc_lo
	s_waitcnt lgkmcnt(0)
	s_cmp_eq_u64 s[10:11], 0
	global_load_b128 v[0:3], v[0:1], off
	s_waitcnt vmcnt(0)
	v_lshlrev_b32_e32 v5, 16, v1
	s_delay_alu instid0(VALU_DEP_1) | instskip(NEXT) | instid1(VALU_DEP_1)
	v_dual_mul_f32 v5, 0xbfb8aa3b, v5 :: v_dual_lshlrev_b32 v4, 16, v0
	v_mul_f32_e32 v4, 0xbfb8aa3b, v4
	s_delay_alu instid0(VALU_DEP_2) | instskip(NEXT) | instid1(VALU_DEP_1)
	v_exp_f32_e32 v5, v5
	v_exp_f32_e32 v4, v4
	v_and_b32_e32 v1, 0xffff0000, v1
	s_waitcnt_depctr 0xfff
	v_dual_add_f32 v5, 1.0, v5 :: v_dual_and_b32 v0, 0xffff0000, v0
	v_add_f32_e32 v4, 1.0, v4
	v_dual_mul_f32 v1, 0xbfb8aa3b, v1 :: v_dual_lshlrev_b32 v6, 16, v2
	s_delay_alu instid0(VALU_DEP_3) | instskip(NEXT) | instid1(VALU_DEP_4)
	v_dual_mul_f32 v0, 0xbfb8aa3b, v0 :: v_dual_lshlrev_b32 v7, 16, v3
	v_div_scale_f32 v12, null, v5, v5, 1.0
	s_delay_alu instid0(VALU_DEP_3) | instskip(SKIP_1) | instid1(VALU_DEP_3)
	v_exp_f32_e32 v1, v1
	v_and_b32_e32 v2, 0xffff0000, v2
	v_exp_f32_e32 v0, v0
	v_and_b32_e32 v3, 0xffff0000, v3
	v_dual_mul_f32 v6, 0xbfb8aa3b, v6 :: v_dual_mul_f32 v7, 0xbfb8aa3b, v7
	v_rcp_f32_e32 v28, v12
	v_div_scale_f32 v13, s3, 1.0, v5, 1.0
	s_delay_alu instid0(VALU_DEP_2) | instskip(SKIP_1) | instid1(TRANS32_DEP_3)
	v_exp_f32_e32 v6, v6
	v_dual_add_f32 v1, 1.0, v1 :: v_dual_mul_f32 v2, 0xbfb8aa3b, v2
	v_dual_add_f32 v0, 1.0, v0 :: v_dual_mul_f32 v3, 0xbfb8aa3b, v3
	v_lshlrev_b32_e32 v18, 3, v17
	v_exp_f32_e32 v7, v7
	s_delay_alu instid0(VALU_DEP_3) | instskip(NEXT) | instid1(VALU_DEP_2)
	v_exp_f32_e32 v2, v2
	v_div_scale_f32 v10, null, v0, v0, 1.0
	v_exp_f32_e32 v3, v3
	v_add_f32_e32 v6, 1.0, v6
	v_div_scale_f32 v14, null, v1, v1, 1.0
	s_delay_alu instid0(VALU_DEP_3) | instskip(SKIP_1) | instid1(TRANS32_DEP_3)
	v_rcp_f32_e32 v27, v10
	v_fma_f32 v37, -v12, v28, 1.0
	v_dual_add_f32 v7, 1.0, v7 :: v_dual_add_f32 v8, 1.0, v2
	v_div_scale_f32 v2, null, v4, v4, 1.0
	s_delay_alu instid0(TRANS32_DEP_2) | instskip(SKIP_1) | instid1(VALU_DEP_4)
	v_add_f32_e32 v9, 1.0, v3
	v_div_scale_f32 v19, null, v6, v6, 1.0
	v_div_scale_f32 v21, null, v8, v8, 1.0
	s_delay_alu instid0(VALU_DEP_4) | instskip(NEXT) | instid1(VALU_DEP_2)
	v_rcp_f32_e32 v26, v2
	v_rcp_f32_e32 v30, v19
	;; [unrolled: 1-line block ×3, first 2 shown]
	s_delay_alu instid0(VALU_DEP_1)
	v_rcp_f32_e32 v31, v21
	v_div_scale_f32 v23, null, v7, v7, 1.0
	v_fma_f32 v36, -v10, v27, 1.0
	v_div_scale_f32 v3, vcc_lo, 1.0, v4, 1.0
	v_div_scale_f32 v11, s2, 1.0, v0, 1.0
	v_fma_f32 v35, -v2, v26, 1.0
	s_delay_alu instid0(TRANS32_DEP_3) | instskip(NEXT) | instid1(TRANS32_DEP_1)
	v_fma_f32 v39, -v19, v30, 1.0
	v_fma_f32 v40, -v21, v31, 1.0
	s_delay_alu instid0(TRANS32_DEP_2) | instskip(SKIP_3) | instid1(VALU_DEP_3)
	v_fma_f32 v38, -v14, v29, 1.0
	v_div_scale_f32 v25, null, v9, v9, 1.0
	v_dual_fmac_f32 v26, v35, v26 :: v_dual_fmac_f32 v27, v36, v27
	v_rcp_f32_e32 v32, v23
	v_dual_fmac_f32 v28, v37, v28 :: v_dual_fmac_f32 v29, v38, v29
	v_div_scale_f32 v22, s6, 1.0, v8, 1.0
	v_dual_fmac_f32 v30, v39, v30 :: v_dual_fmac_f32 v31, v40, v31
	v_mul_f32_e32 v35, v3, v26
	v_div_scale_f32 v15, s4, 1.0, v1, 1.0
	v_rcp_f32_e32 v33, v25
	s_delay_alu instid0(VALU_DEP_3)
	v_mul_f32_e32 v40, v22, v31
	v_dual_mul_f32 v36, v11, v27 :: v_dual_mul_f32 v37, v13, v28
	v_div_scale_f32 v20, s5, 1.0, v6, 1.0
	v_fma_f32 v43, -v2, v35, v3
	v_mul_f32_e32 v38, v15, v29
	v_fma_f32 v41, -v23, v32, 1.0
	s_delay_alu instid0(VALU_DEP_4)
	v_mul_f32_e32 v39, v20, v30
	v_fma_f32 v44, -v10, v36, v11
	v_fma_f32 v45, -v12, v37, v13
	v_fmac_f32_e32 v35, v43, v26
	v_fma_f32 v46, -v14, v38, v15
	v_div_scale_f32 v24, s7, 1.0, v7, 1.0
	v_fmac_f32_e32 v36, v44, v27
	v_fma_f32 v42, -v25, v33, 1.0
	v_fmac_f32_e32 v32, v41, v32
	v_fma_f32 v47, -v19, v39, v20
	v_dual_fmac_f32 v37, v45, v28 :: v_dual_fmac_f32 v38, v46, v29
	v_fma_f32 v48, -v21, v40, v22
	v_fma_f32 v2, -v2, v35, v3
	v_div_scale_f32 v34, s8, 1.0, v9, 1.0
	v_fmac_f32_e32 v33, v42, v33
	v_mul_f32_e32 v41, v24, v32
	v_fma_f32 v3, -v10, v36, v11
	v_dual_fmac_f32 v39, v47, v30 :: v_dual_fmac_f32 v40, v48, v31
	v_fma_f32 v10, -v12, v37, v13
	v_div_fmas_f32 v2, v2, v26, v35
	s_mov_b32 vcc_lo, s2
	v_fma_f32 v11, -v14, v38, v15
	v_mul_f32_e32 v42, v34, v33
	v_fma_f32 v49, -v23, v41, v24
	v_div_fmas_f32 v3, v3, v27, v36
	s_mov_b32 vcc_lo, s3
	v_fma_f32 v12, -v19, v39, v20
	v_div_fmas_f32 v10, v10, v28, v37
	s_mov_b32 vcc_lo, s4
	v_fma_f32 v13, -v21, v40, v22
	v_div_fixup_f32 v2, v2, v4, 1.0
	v_div_fmas_f32 v4, v11, v29, v38
	s_mov_b32 vcc_lo, s5
	v_fma_f32 v50, -v25, v42, v34
	v_fmac_f32_e32 v41, v49, v32
	v_div_fmas_f32 v11, v12, v30, v39
	s_mov_b32 vcc_lo, s6
	v_div_fixup_f32 v5, v10, v5, 1.0
	v_fmac_f32_e32 v42, v50, v33
	v_div_fmas_f32 v10, v13, v31, v40
	v_cmp_class_f32_e64 vcc_lo, v2, 0x1f8
	v_fma_f32 v14, -v23, v41, v24
	v_div_fixup_f32 v3, v3, v0, 1.0
	v_fma_f32 v15, -v25, v42, v34
	v_div_fixup_f32 v4, v4, v1, 1.0
	v_cndmask_b32_e32 v0, 0, v2, vcc_lo
	s_mov_b32 vcc_lo, s7
	v_div_fixup_f32 v6, v11, v6, 1.0
	v_div_fmas_f32 v12, v14, v32, v41
	v_cmp_class_f32_e64 vcc_lo, v3, 0x1f8
	s_delay_alu instid0(VALU_DEP_2)
	v_div_fixup_f32 v7, v12, v7, 1.0
	v_cndmask_b32_e32 v1, 0, v3, vcc_lo
	s_mov_b32 vcc_lo, s8
	v_div_fmas_f32 v11, v15, v33, v42
	v_cmp_class_f32_e64 vcc_lo, v5, 0x1f8
	v_cndmask_b32_e32 v2, 0, v5, vcc_lo
	v_cmp_class_f32_e64 vcc_lo, v4, 0x1f8
	v_div_fixup_f32 v5, v10, v8, 1.0
	v_div_fixup_f32 v8, v11, v9, 1.0
	v_cndmask_b32_e32 v3, 0, v4, vcc_lo
	v_cmp_class_f32_e64 vcc_lo, v6, 0x1f8
	v_cndmask_b32_e32 v4, 0, v6, vcc_lo
	v_cmp_class_f32_e64 vcc_lo, v5, 0x1f8
	;; [unrolled: 2-line block ×4, first 2 shown]
	v_cndmask_b32_e32 v7, 0, v8, vcc_lo
	s_cbranch_scc1 .LBB360_19
; %bb.4:
	v_lshlrev_b32_e32 v12, 2, v18
	s_clause 0x1
	global_load_b128 v[8:11], v12, s[10:11]
	global_load_b128 v[12:15], v12, s[10:11] offset:16
	s_waitcnt vmcnt(1)
	v_dual_add_f32 v9, v9, v1 :: v_dual_add_f32 v8, v8, v0
	v_dual_add_f32 v11, v11, v3 :: v_dual_add_f32 v10, v10, v2
	s_waitcnt vmcnt(0)
	v_dual_add_f32 v13, v13, v5 :: v_dual_add_f32 v12, v12, v4
	v_dual_add_f32 v15, v15, v7 :: v_dual_add_f32 v14, v14, v6
	s_cbranch_execnz .LBB360_6
.LBB360_5:
	v_dual_mov_b32 v15, v7 :: v_dual_mov_b32 v14, v6
	v_dual_mov_b32 v13, v5 :: v_dual_mov_b32 v12, v4
	;; [unrolled: 1-line block ×4, first 2 shown]
.LBB360_6:
	s_load_b128 s[8:11], s[0:1], 0x30
	v_cmp_eq_u32_e64 s2, 0, v17
	s_mov_b32 s6, 0
	s_waitcnt lgkmcnt(0)
	s_bitcmp1_b32 s11, 0
	s_cselect_b32 vcc_lo, -1, 0
	s_cmp_gt_i32 s8, 0
	s_cselect_b32 s5, -1, 0
	s_cmp_lt_i32 s8, 1
	s_cbranch_scc1 .LBB360_20
; %bb.7:
	v_mbcnt_lo_u32_b32 v19, -1, 0
	s_load_b128 s[12:15], s[0:1], 0x20
	v_mov_b32_e32 v22, v16
	s_delay_alu instid0(VALU_DEP_2) | instskip(SKIP_1) | instid1(VALU_DEP_2)
	v_and_b32_e32 v20, 30, v19
	v_xor_b32_e32 v21, 1, v19
	v_add_nc_u32_e32 v20, 2, v20
	s_delay_alu instid0(VALU_DEP_1) | instskip(SKIP_1) | instid1(VALU_DEP_2)
	v_cmp_lt_i32_e64 s0, v21, v20
	v_mul_lo_u32 v20, v16, s8
	v_cndmask_b32_e64 v21, v19, v21, s0
	v_mov_b32_e32 v19, 0
	s_delay_alu instid0(VALU_DEP_2)
	v_lshlrev_b32_e32 v21, 2, v21
	s_branch .LBB360_10
.LBB360_8:                              ;   in Loop: Header=BB360_10 Depth=1
	s_or_b32 exec_lo, exec_lo, s1
.LBB360_9:                              ;   in Loop: Header=BB360_10 Depth=1
	v_add_nc_u32_e32 v22, s18, v22
	s_cmp_eq_u32 s8, s6
	s_cbranch_scc1 .LBB360_21
.LBB360_10:                             ; =>This Inner Loop Header: Depth=1
	v_cmp_gt_f32_e64 s0, v9, v8
	s_delay_alu instid0(VALU_DEP_1) | instskip(SKIP_2) | instid1(VALU_DEP_3)
	v_cndmask_b32_e64 v24, v8, v9, s0
	v_cndmask_b32_e64 v23, 0, 1, s0
	;; [unrolled: 1-line block ×3, first 2 shown]
	v_cmp_gt_f32_e64 s1, v10, v24
	s_delay_alu instid0(VALU_DEP_1) | instskip(NEXT) | instid1(VALU_DEP_4)
	v_cndmask_b32_e64 v24, v24, v10, s1
	v_cndmask_b32_e64 v23, v23, 2, s1
	s_delay_alu instid0(VALU_DEP_4) | instskip(NEXT) | instid1(VALU_DEP_3)
	v_cndmask_b32_e64 v25, v25, v2, s1
	v_cmp_gt_f32_e64 s3, v11, v24
	s_delay_alu instid0(VALU_DEP_1) | instskip(NEXT) | instid1(VALU_DEP_4)
	v_cndmask_b32_e64 v24, v24, v11, s3
	v_cndmask_b32_e64 v23, v23, 3, s3
	s_delay_alu instid0(VALU_DEP_4) | instskip(NEXT) | instid1(VALU_DEP_3)
	v_cndmask_b32_e64 v25, v25, v3, s3
	v_cmp_gt_f32_e64 s4, v12, v24
	s_delay_alu instid0(VALU_DEP_1) | instskip(NEXT) | instid1(VALU_DEP_4)
	v_cndmask_b32_e64 v24, v24, v12, s4
	v_cndmask_b32_e64 v23, v23, 4, s4
	s_delay_alu instid0(VALU_DEP_4) | instskip(SKIP_1) | instid1(VALU_DEP_3)
	v_cndmask_b32_e64 v25, v25, v4, s4
	s_mov_b32 s4, exec_lo
	v_cmp_gt_f32_e64 s0, v13, v24
	s_delay_alu instid0(VALU_DEP_1) | instskip(SKIP_2) | instid1(VALU_DEP_3)
	v_cndmask_b32_e64 v24, v24, v13, s0
	v_cndmask_b32_e64 v23, v23, 5, s0
	;; [unrolled: 1-line block ×3, first 2 shown]
	v_cmp_gt_f32_e64 s1, v14, v24
	s_delay_alu instid0(VALU_DEP_1) | instskip(NEXT) | instid1(VALU_DEP_4)
	v_cndmask_b32_e64 v24, v24, v14, s1
	v_cndmask_b32_e64 v23, v23, 6, s1
	s_delay_alu instid0(VALU_DEP_4) | instskip(NEXT) | instid1(VALU_DEP_3)
	v_cndmask_b32_e64 v25, v25, v6, s1
	v_cmp_gt_f32_e64 s0, v15, v24
	s_delay_alu instid0(VALU_DEP_1) | instskip(SKIP_1) | instid1(VALU_DEP_4)
	v_cndmask_b32_e64 v23, v23, 7, s0
	v_cndmask_b32_e64 v27, v24, v15, s0
	v_cndmask_b32_e64 v24, v25, v7, s0
	s_delay_alu instid0(VALU_DEP_3)
	v_or_b32_e32 v23, v18, v23
	ds_bpermute_b32 v28, v21, v27
	ds_bpermute_b32 v25, v21, v24
	;; [unrolled: 1-line block ×3, first 2 shown]
	s_waitcnt lgkmcnt(0)
	v_cmp_lt_f32_e64 s3, v27, v28
	v_cmpx_nlt_f32_e32 v27, v28
	s_cbranch_execnz .LBB360_14
; %bb.11:                               ;   in Loop: Header=BB360_10 Depth=1
	s_or_b32 exec_lo, exec_lo, s4
	s_delay_alu instid0(VALU_DEP_2)
	s_and_saveexec_b32 s0, s3
	s_cbranch_execnz .LBB360_15
.LBB360_12:                             ;   in Loop: Header=BB360_10 Depth=1
	s_or_b32 exec_lo, exec_lo, s0
	s_and_saveexec_b32 s3, s2
	s_cbranch_execnz .LBB360_16
.LBB360_13:                             ;   in Loop: Header=BB360_10 Depth=1
	s_or_b32 exec_lo, exec_lo, s3
	s_add_i32 s6, s6, 1
	s_delay_alu instid0(SALU_CYCLE_1)
	s_cmp_ge_i32 s6, s8
	s_cbranch_scc1 .LBB360_9
	s_branch .LBB360_17
.LBB360_14:                             ;   in Loop: Header=BB360_10 Depth=1
	v_cmp_eq_f32_e64 s0, v27, v28
	v_cmp_lt_i32_e64 s1, v26, v23
	s_delay_alu instid0(VALU_DEP_1) | instskip(SKIP_2) | instid1(SALU_CYCLE_1)
	s_and_b32 s0, s0, s1
	s_and_not1_b32 s1, s3, exec_lo
	s_and_b32 s0, s0, exec_lo
	s_or_b32 s3, s1, s0
	s_or_b32 exec_lo, exec_lo, s4
	s_and_saveexec_b32 s0, s3
	s_cbranch_execz .LBB360_12
.LBB360_15:                             ;   in Loop: Header=BB360_10 Depth=1
	v_dual_mov_b32 v23, v26 :: v_dual_mov_b32 v24, v25
	s_or_b32 exec_lo, exec_lo, s0
	s_and_saveexec_b32 s3, s2
	s_cbranch_execz .LBB360_13
.LBB360_16:                             ;   in Loop: Header=BB360_10 Depth=1
	v_add_nc_u32_e32 v25, s6, v20
	v_subrev_nc_u32_e32 v29, s9, v23
	v_cmp_le_i32_e64 s0, s9, v23
	v_cmp_gt_i32_e64 s1, s10, v23
	v_add_f32_e32 v33, v19, v24
	v_ashrrev_i32_e32 v26, 31, v25
	v_ashrrev_i32_e32 v30, 31, v29
	s_delay_alu instid0(VALU_DEP_4) | instskip(NEXT) | instid1(VALU_DEP_3)
	s_and_b32 s0, s0, s1
	v_cndmask_b32_e32 v19, v19, v33, vcc_lo
	s_delay_alu instid0(VALU_DEP_3) | instskip(SKIP_2) | instid1(SALU_CYCLE_1)
	v_lshlrev_b64 v[27:28], 2, v[25:26]
	v_lshlrev_b64 v[25:26], 3, v[25:26]
	s_and_b32 s0, s19, s0
	v_cndmask_b32_e64 v30, 0, v30, s0
	v_cndmask_b32_e64 v29, 16, v29, s0
	s_delay_alu instid0(VALU_DEP_4) | instskip(NEXT) | instid1(VALU_DEP_1)
	v_add_co_u32 v31, s0, s16, v27
	v_add_co_ci_u32_e64 v32, s0, s17, v28, s0
	v_add_co_u32 v25, s0, s12, v25
	s_delay_alu instid0(VALU_DEP_1) | instskip(SKIP_1) | instid1(VALU_DEP_1)
	v_add_co_ci_u32_e64 v26, s0, s13, v26, s0
	v_add_co_u32 v27, s0, s14, v27
	v_add_co_ci_u32_e64 v28, s0, s15, v28, s0
	global_store_b32 v[31:32], v24, off
	global_store_b64 v[25:26], v[29:30], off
	global_store_b32 v[27:28], v22, off
	s_or_b32 exec_lo, exec_lo, s3
	s_add_i32 s6, s6, 1
	s_delay_alu instid0(SALU_CYCLE_1)
	s_cmp_ge_i32 s6, s8
	s_cbranch_scc1 .LBB360_9
.LBB360_17:                             ;   in Loop: Header=BB360_10 Depth=1
	v_ashrrev_i32_e32 v25, 31, v23
	s_mov_b32 s1, exec_lo
	s_delay_alu instid0(VALU_DEP_1) | instskip(NEXT) | instid1(VALU_DEP_1)
	v_lshrrev_b32_e32 v24, 29, v25
	v_add_nc_u32_e32 v26, v23, v24
	s_delay_alu instid0(VALU_DEP_1) | instskip(SKIP_1) | instid1(VALU_DEP_1)
	v_ashrrev_i32_e32 v24, 3, v26
	v_lshrrev_b32_e32 v26, 31, v26
	v_add_nc_u32_e32 v26, v24, v26
	s_delay_alu instid0(VALU_DEP_1) | instskip(NEXT) | instid1(VALU_DEP_1)
	v_and_b32_e32 v26, -2, v26
	v_sub_nc_u32_e32 v26, v24, v26
	s_delay_alu instid0(VALU_DEP_1)
	v_cmpx_eq_u32_e64 v17, v26
	s_cbranch_execz .LBB360_8
; %bb.18:                               ;   in Loop: Header=BB360_10 Depth=1
	v_lshrrev_b32_e32 v25, 28, v25
	v_lshlrev_b32_e32 v24, 3, v24
	s_delay_alu instid0(VALU_DEP_2) | instskip(NEXT) | instid1(VALU_DEP_2)
	v_add_nc_u32_e32 v25, v23, v25
	v_sub_nc_u32_e32 v23, v23, v24
	s_delay_alu instid0(VALU_DEP_2) | instskip(NEXT) | instid1(VALU_DEP_1)
	v_ashrrev_i32_e32 v24, 4, v25
	v_lshl_add_u32 v23, v24, 3, v23
	s_delay_alu instid0(VALU_DEP_1) | instskip(NEXT) | instid1(VALU_DEP_1)
	v_cmp_ne_u32_e64 s0, 7, v23
	v_cndmask_b32_e64 v15, 0xc61c4000, v15, s0
	v_cmp_ne_u32_e64 s0, 6, v23
	s_delay_alu instid0(VALU_DEP_1) | instskip(SKIP_1) | instid1(VALU_DEP_1)
	v_cndmask_b32_e64 v14, 0xc61c4000, v14, s0
	v_cmp_ne_u32_e64 s0, 5, v23
	v_cndmask_b32_e64 v13, 0xc61c4000, v13, s0
	v_cmp_ne_u32_e64 s0, 4, v23
	s_delay_alu instid0(VALU_DEP_1) | instskip(SKIP_1) | instid1(VALU_DEP_1)
	v_cndmask_b32_e64 v12, 0xc61c4000, v12, s0
	;; [unrolled: 5-line block ×3, first 2 shown]
	v_cmp_ne_u32_e64 s0, 1, v23
	v_cndmask_b32_e64 v9, 0xc61c4000, v9, s0
	v_cmp_ne_u32_e64 s0, 0, v23
	s_delay_alu instid0(VALU_DEP_1)
	v_cndmask_b32_e64 v8, 0xc61c4000, v8, s0
	s_branch .LBB360_8
.LBB360_19:
                                        ; implicit-def: $vgpr8_vgpr9_vgpr10_vgpr11_vgpr12_vgpr13_vgpr14_vgpr15
	s_and_not1_b32 vcc_lo, exec_lo, s9
	s_cbranch_vccz .LBB360_5
	s_branch .LBB360_6
.LBB360_20:
	v_mov_b32_e32 v19, 0
.LBB360_21:
	v_cmp_eq_u32_e64 s0, 0, v17
	s_delay_alu instid0(VALU_DEP_1) | instskip(NEXT) | instid1(SALU_CYCLE_1)
	s_and_b32 s0, s0, vcc_lo
	s_and_b32 exec_lo, exec_lo, s0
	s_cbranch_execz .LBB360_25
; %bb.22:
	s_and_not1_b32 vcc_lo, exec_lo, s5
	s_cbranch_vccnz .LBB360_25
; %bb.23:
	v_mul_lo_u32 v0, v16, s8
	v_cmp_lt_f32_e32 vcc_lo, 0, v19
	v_cndmask_b32_e32 v2, 1.0, v19, vcc_lo
	s_delay_alu instid0(VALU_DEP_3) | instskip(NEXT) | instid1(VALU_DEP_1)
	v_ashrrev_i32_e32 v1, 31, v0
	v_lshlrev_b64 v[0:1], 2, v[0:1]
	s_delay_alu instid0(VALU_DEP_1) | instskip(NEXT) | instid1(VALU_DEP_2)
	v_add_co_u32 v0, vcc_lo, s16, v0
	v_add_co_ci_u32_e32 v1, vcc_lo, s17, v1, vcc_lo
	.p2align	6
.LBB360_24:                             ; =>This Inner Loop Header: Depth=1
	global_load_b32 v3, v[0:1], off
	s_add_i32 s8, s8, -1
	s_delay_alu instid0(SALU_CYCLE_1) | instskip(SKIP_3) | instid1(VALU_DEP_2)
	s_cmp_lg_u32 s8, 0
	s_waitcnt vmcnt(0)
	v_div_scale_f32 v4, null, v2, v2, v3
	v_div_scale_f32 v7, vcc_lo, v3, v2, v3
	v_rcp_f32_e32 v5, v4
	s_waitcnt_depctr 0xfff
	v_fma_f32 v6, -v4, v5, 1.0
	s_delay_alu instid0(VALU_DEP_1) | instskip(NEXT) | instid1(VALU_DEP_1)
	v_fmac_f32_e32 v5, v6, v5
	v_mul_f32_e32 v6, v7, v5
	s_delay_alu instid0(VALU_DEP_1) | instskip(NEXT) | instid1(VALU_DEP_1)
	v_fma_f32 v8, -v4, v6, v7
	v_fmac_f32_e32 v6, v8, v5
	s_delay_alu instid0(VALU_DEP_1) | instskip(NEXT) | instid1(VALU_DEP_1)
	v_fma_f32 v4, -v4, v6, v7
	v_div_fmas_f32 v4, v4, v5, v6
	s_delay_alu instid0(VALU_DEP_1)
	v_div_fixup_f32 v3, v4, v2, v3
	global_store_b32 v[0:1], v3, off
	v_add_co_u32 v0, vcc_lo, v0, 4
	v_add_co_ci_u32_e32 v1, vcc_lo, 0, v1, vcc_lo
	s_cbranch_scc1 .LBB360_24
.LBB360_25:
	s_nop 0
	s_sendmsg sendmsg(MSG_DEALLOC_VGPRS)
	s_endpgm
	.section	.rodata,"a",@progbits
	.p2align	6, 0x0
	.amdhsa_kernel _ZN4vllm3moe10topkGatingILi8ELi16ELi4ELi16ELi32El14__hip_bfloat16LNS0_11ScoringFuncE1EEEvPKT5_PKbPfiPT4_PiiiibPKf
		.amdhsa_group_segment_fixed_size 0
		.amdhsa_private_segment_fixed_size 0
		.amdhsa_kernarg_size 72
		.amdhsa_user_sgpr_count 15
		.amdhsa_user_sgpr_dispatch_ptr 0
		.amdhsa_user_sgpr_queue_ptr 0
		.amdhsa_user_sgpr_kernarg_segment_ptr 1
		.amdhsa_user_sgpr_dispatch_id 0
		.amdhsa_user_sgpr_private_segment_size 0
		.amdhsa_wavefront_size32 1
		.amdhsa_uses_dynamic_stack 0
		.amdhsa_enable_private_segment 0
		.amdhsa_system_sgpr_workgroup_id_x 1
		.amdhsa_system_sgpr_workgroup_id_y 0
		.amdhsa_system_sgpr_workgroup_id_z 0
		.amdhsa_system_sgpr_workgroup_info 0
		.amdhsa_system_vgpr_workitem_id 1
		.amdhsa_next_free_vgpr 51
		.amdhsa_next_free_sgpr 20
		.amdhsa_reserve_vcc 1
		.amdhsa_float_round_mode_32 0
		.amdhsa_float_round_mode_16_64 0
		.amdhsa_float_denorm_mode_32 3
		.amdhsa_float_denorm_mode_16_64 3
		.amdhsa_dx10_clamp 1
		.amdhsa_ieee_mode 1
		.amdhsa_fp16_overflow 0
		.amdhsa_workgroup_processor_mode 1
		.amdhsa_memory_ordered 1
		.amdhsa_forward_progress 0
		.amdhsa_shared_vgpr_count 0
		.amdhsa_exception_fp_ieee_invalid_op 0
		.amdhsa_exception_fp_denorm_src 0
		.amdhsa_exception_fp_ieee_div_zero 0
		.amdhsa_exception_fp_ieee_overflow 0
		.amdhsa_exception_fp_ieee_underflow 0
		.amdhsa_exception_fp_ieee_inexact 0
		.amdhsa_exception_int_div_zero 0
	.end_amdhsa_kernel
	.section	.text._ZN4vllm3moe10topkGatingILi8ELi16ELi4ELi16ELi32El14__hip_bfloat16LNS0_11ScoringFuncE1EEEvPKT5_PKbPfiPT4_PiiiibPKf,"axG",@progbits,_ZN4vllm3moe10topkGatingILi8ELi16ELi4ELi16ELi32El14__hip_bfloat16LNS0_11ScoringFuncE1EEEvPKT5_PKbPfiPT4_PiiiibPKf,comdat
.Lfunc_end360:
	.size	_ZN4vllm3moe10topkGatingILi8ELi16ELi4ELi16ELi32El14__hip_bfloat16LNS0_11ScoringFuncE1EEEvPKT5_PKbPfiPT4_PiiiibPKf, .Lfunc_end360-_ZN4vllm3moe10topkGatingILi8ELi16ELi4ELi16ELi32El14__hip_bfloat16LNS0_11ScoringFuncE1EEEvPKT5_PKbPfiPT4_PiiiibPKf
                                        ; -- End function
	.section	.AMDGPU.csdata,"",@progbits
; Kernel info:
; codeLenInByte = 2640
; NumSgprs: 22
; NumVgprs: 51
; ScratchSize: 0
; MemoryBound: 0
; FloatMode: 240
; IeeeMode: 1
; LDSByteSize: 0 bytes/workgroup (compile time only)
; SGPRBlocks: 2
; VGPRBlocks: 6
; NumSGPRsForWavesPerEU: 22
; NumVGPRsForWavesPerEU: 51
; Occupancy: 16
; WaveLimiterHint : 0
; COMPUTE_PGM_RSRC2:SCRATCH_EN: 0
; COMPUTE_PGM_RSRC2:USER_SGPR: 15
; COMPUTE_PGM_RSRC2:TRAP_HANDLER: 0
; COMPUTE_PGM_RSRC2:TGID_X_EN: 1
; COMPUTE_PGM_RSRC2:TGID_Y_EN: 0
; COMPUTE_PGM_RSRC2:TGID_Z_EN: 0
; COMPUTE_PGM_RSRC2:TIDIG_COMP_CNT: 1
	.section	.text._ZN4vllm3moe10topkGatingILi8ELi32ELi4ELi16ELi64El14__hip_bfloat16LNS0_11ScoringFuncE1EEEvPKT5_PKbPfiPT4_PiiiibPKf,"axG",@progbits,_ZN4vllm3moe10topkGatingILi8ELi32ELi4ELi16ELi64El14__hip_bfloat16LNS0_11ScoringFuncE1EEEvPKT5_PKbPfiPT4_PiiiibPKf,comdat
	.protected	_ZN4vllm3moe10topkGatingILi8ELi32ELi4ELi16ELi64El14__hip_bfloat16LNS0_11ScoringFuncE1EEEvPKT5_PKbPfiPT4_PiiiibPKf ; -- Begin function _ZN4vllm3moe10topkGatingILi8ELi32ELi4ELi16ELi64El14__hip_bfloat16LNS0_11ScoringFuncE1EEEvPKT5_PKbPfiPT4_PiiiibPKf
	.globl	_ZN4vllm3moe10topkGatingILi8ELi32ELi4ELi16ELi64El14__hip_bfloat16LNS0_11ScoringFuncE1EEEvPKT5_PKbPfiPT4_PiiiibPKf
	.p2align	8
	.type	_ZN4vllm3moe10topkGatingILi8ELi32ELi4ELi16ELi64El14__hip_bfloat16LNS0_11ScoringFuncE1EEEvPKT5_PKbPfiPT4_PiiiibPKf,@function
_ZN4vllm3moe10topkGatingILi8ELi32ELi4ELi16ELi64El14__hip_bfloat16LNS0_11ScoringFuncE1EEEvPKT5_PKbPfiPT4_PiiiibPKf: ; @_ZN4vllm3moe10topkGatingILi8ELi32ELi4ELi16ELi64El14__hip_bfloat16LNS0_11ScoringFuncE1EEEvPKT5_PKbPfiPT4_PiiiibPKf
; %bb.0:
	s_load_b32 s18, s[0:1], 0x18
	v_bfe_u32 v1, v0, 10, 10
	v_and_b32_e32 v0, 0x3ff, v0
	s_lshl_b32 s2, s15, 6
	s_delay_alu instid0(VALU_DEP_2) | instskip(NEXT) | instid1(VALU_DEP_2)
	v_lshlrev_b32_e32 v1, 4, v1
	v_lshrrev_b32_e32 v2, 2, v0
	s_delay_alu instid0(VALU_DEP_1) | instskip(SKIP_2) | instid1(VALU_DEP_1)
	v_add3_u32 v16, s2, v1, v2
	s_mov_b32 s2, exec_lo
	s_waitcnt lgkmcnt(0)
	v_cmpx_gt_i32_e64 s18, v16
	s_cbranch_execz .LBB361_29
; %bb.1:
	s_clause 0x1
	s_load_b128 s[4:7], s[0:1], 0x0
	s_load_b64 s[16:17], s[0:1], 0x10
	s_mov_b32 s9, -1
	s_mov_b32 s19, -1
	s_waitcnt lgkmcnt(0)
	s_cmp_eq_u64 s[6:7], 0
	s_cbranch_scc1 .LBB361_3
; %bb.2:
	v_ashrrev_i32_e32 v2, 31, v16
	v_add_co_u32 v1, vcc_lo, s6, v16
	s_delay_alu instid0(VALU_DEP_2) | instskip(SKIP_3) | instid1(VALU_DEP_1)
	v_add_co_ci_u32_e32 v2, vcc_lo, s7, v2, vcc_lo
	global_load_u8 v1, v[1:2], off
	s_waitcnt vmcnt(0)
	v_and_b32_e32 v1, 1, v1
	v_cmp_eq_u32_e32 vcc_lo, 1, v1
	s_xor_b32 s2, vcc_lo, -1
	s_delay_alu instid0(SALU_CYCLE_1)
	s_or_not1_b32 s19, s2, exec_lo
.LBB361_3:
	v_lshlrev_b32_e32 v1, 5, v16
	v_and_b32_e32 v17, 3, v0
	s_load_b64 s[10:11], s[0:1], 0x40
	s_delay_alu instid0(VALU_DEP_2) | instskip(NEXT) | instid1(VALU_DEP_1)
	v_ashrrev_i32_e32 v2, 31, v1
	v_lshlrev_b64 v[0:1], 1, v[1:2]
	s_delay_alu instid0(VALU_DEP_3) | instskip(NEXT) | instid1(VALU_DEP_2)
	v_lshlrev_b32_e32 v2, 4, v17
	v_add_co_u32 v0, vcc_lo, s4, v0
	s_delay_alu instid0(VALU_DEP_3) | instskip(NEXT) | instid1(VALU_DEP_2)
	v_add_co_ci_u32_e32 v1, vcc_lo, s5, v1, vcc_lo
	v_add_co_u32 v0, vcc_lo, v0, v2
	s_delay_alu instid0(VALU_DEP_2)
	v_add_co_ci_u32_e32 v1, vcc_lo, 0, v1, vcc_lo
	s_waitcnt lgkmcnt(0)
	s_cmp_eq_u64 s[10:11], 0
	global_load_b128 v[0:3], v[0:1], off
	s_waitcnt vmcnt(0)
	v_lshlrev_b32_e32 v5, 16, v1
	s_delay_alu instid0(VALU_DEP_1) | instskip(NEXT) | instid1(VALU_DEP_1)
	v_dual_mul_f32 v5, 0xbfb8aa3b, v5 :: v_dual_lshlrev_b32 v4, 16, v0
	v_mul_f32_e32 v4, 0xbfb8aa3b, v4
	s_delay_alu instid0(VALU_DEP_2) | instskip(NEXT) | instid1(VALU_DEP_1)
	v_exp_f32_e32 v5, v5
	v_exp_f32_e32 v4, v4
	v_and_b32_e32 v1, 0xffff0000, v1
	s_waitcnt_depctr 0xfff
	v_dual_add_f32 v5, 1.0, v5 :: v_dual_and_b32 v0, 0xffff0000, v0
	v_add_f32_e32 v4, 1.0, v4
	v_dual_mul_f32 v1, 0xbfb8aa3b, v1 :: v_dual_lshlrev_b32 v6, 16, v2
	s_delay_alu instid0(VALU_DEP_3) | instskip(NEXT) | instid1(VALU_DEP_4)
	v_dual_mul_f32 v0, 0xbfb8aa3b, v0 :: v_dual_lshlrev_b32 v7, 16, v3
	v_div_scale_f32 v12, null, v5, v5, 1.0
	s_delay_alu instid0(VALU_DEP_3) | instskip(SKIP_1) | instid1(VALU_DEP_3)
	v_exp_f32_e32 v1, v1
	v_and_b32_e32 v2, 0xffff0000, v2
	v_exp_f32_e32 v0, v0
	v_and_b32_e32 v3, 0xffff0000, v3
	v_dual_mul_f32 v6, 0xbfb8aa3b, v6 :: v_dual_mul_f32 v7, 0xbfb8aa3b, v7
	v_rcp_f32_e32 v28, v12
	v_div_scale_f32 v13, s3, 1.0, v5, 1.0
	s_delay_alu instid0(VALU_DEP_2) | instskip(SKIP_1) | instid1(TRANS32_DEP_3)
	v_exp_f32_e32 v6, v6
	v_dual_add_f32 v1, 1.0, v1 :: v_dual_mul_f32 v2, 0xbfb8aa3b, v2
	v_dual_add_f32 v0, 1.0, v0 :: v_dual_mul_f32 v3, 0xbfb8aa3b, v3
	v_lshlrev_b32_e32 v18, 3, v17
	v_exp_f32_e32 v7, v7
	s_delay_alu instid0(VALU_DEP_3) | instskip(NEXT) | instid1(VALU_DEP_2)
	v_exp_f32_e32 v2, v2
	v_div_scale_f32 v10, null, v0, v0, 1.0
	v_exp_f32_e32 v3, v3
	v_add_f32_e32 v6, 1.0, v6
	v_div_scale_f32 v14, null, v1, v1, 1.0
	s_delay_alu instid0(VALU_DEP_3) | instskip(SKIP_1) | instid1(TRANS32_DEP_3)
	v_rcp_f32_e32 v27, v10
	v_fma_f32 v37, -v12, v28, 1.0
	v_dual_add_f32 v7, 1.0, v7 :: v_dual_add_f32 v8, 1.0, v2
	v_div_scale_f32 v2, null, v4, v4, 1.0
	s_delay_alu instid0(TRANS32_DEP_2) | instskip(SKIP_1) | instid1(VALU_DEP_4)
	v_add_f32_e32 v9, 1.0, v3
	v_div_scale_f32 v19, null, v6, v6, 1.0
	v_div_scale_f32 v21, null, v8, v8, 1.0
	s_delay_alu instid0(VALU_DEP_4) | instskip(NEXT) | instid1(VALU_DEP_2)
	v_rcp_f32_e32 v26, v2
	v_rcp_f32_e32 v30, v19
	;; [unrolled: 1-line block ×3, first 2 shown]
	s_delay_alu instid0(VALU_DEP_1)
	v_rcp_f32_e32 v31, v21
	v_div_scale_f32 v23, null, v7, v7, 1.0
	v_fma_f32 v36, -v10, v27, 1.0
	v_div_scale_f32 v3, vcc_lo, 1.0, v4, 1.0
	v_div_scale_f32 v11, s2, 1.0, v0, 1.0
	v_fma_f32 v35, -v2, v26, 1.0
	s_delay_alu instid0(TRANS32_DEP_3) | instskip(NEXT) | instid1(TRANS32_DEP_1)
	v_fma_f32 v39, -v19, v30, 1.0
	v_fma_f32 v40, -v21, v31, 1.0
	s_delay_alu instid0(TRANS32_DEP_2) | instskip(SKIP_3) | instid1(VALU_DEP_3)
	v_fma_f32 v38, -v14, v29, 1.0
	v_div_scale_f32 v25, null, v9, v9, 1.0
	v_dual_fmac_f32 v26, v35, v26 :: v_dual_fmac_f32 v27, v36, v27
	v_rcp_f32_e32 v32, v23
	v_dual_fmac_f32 v28, v37, v28 :: v_dual_fmac_f32 v29, v38, v29
	v_div_scale_f32 v22, s6, 1.0, v8, 1.0
	v_dual_fmac_f32 v30, v39, v30 :: v_dual_fmac_f32 v31, v40, v31
	v_mul_f32_e32 v35, v3, v26
	v_div_scale_f32 v15, s4, 1.0, v1, 1.0
	v_rcp_f32_e32 v33, v25
	s_delay_alu instid0(VALU_DEP_3)
	v_mul_f32_e32 v40, v22, v31
	v_dual_mul_f32 v36, v11, v27 :: v_dual_mul_f32 v37, v13, v28
	v_div_scale_f32 v20, s5, 1.0, v6, 1.0
	v_fma_f32 v43, -v2, v35, v3
	v_mul_f32_e32 v38, v15, v29
	v_fma_f32 v41, -v23, v32, 1.0
	s_delay_alu instid0(VALU_DEP_4)
	v_mul_f32_e32 v39, v20, v30
	v_fma_f32 v44, -v10, v36, v11
	v_fma_f32 v45, -v12, v37, v13
	v_fmac_f32_e32 v35, v43, v26
	v_fma_f32 v46, -v14, v38, v15
	v_div_scale_f32 v24, s7, 1.0, v7, 1.0
	v_fmac_f32_e32 v36, v44, v27
	v_fma_f32 v42, -v25, v33, 1.0
	v_fmac_f32_e32 v32, v41, v32
	v_fma_f32 v47, -v19, v39, v20
	v_dual_fmac_f32 v37, v45, v28 :: v_dual_fmac_f32 v38, v46, v29
	v_fma_f32 v48, -v21, v40, v22
	v_fma_f32 v2, -v2, v35, v3
	v_div_scale_f32 v34, s8, 1.0, v9, 1.0
	v_fmac_f32_e32 v33, v42, v33
	v_mul_f32_e32 v41, v24, v32
	v_fma_f32 v3, -v10, v36, v11
	v_dual_fmac_f32 v39, v47, v30 :: v_dual_fmac_f32 v40, v48, v31
	v_fma_f32 v10, -v12, v37, v13
	v_div_fmas_f32 v2, v2, v26, v35
	s_mov_b32 vcc_lo, s2
	v_fma_f32 v11, -v14, v38, v15
	v_mul_f32_e32 v42, v34, v33
	v_fma_f32 v49, -v23, v41, v24
	v_div_fmas_f32 v3, v3, v27, v36
	s_mov_b32 vcc_lo, s3
	v_fma_f32 v12, -v19, v39, v20
	v_div_fmas_f32 v10, v10, v28, v37
	s_mov_b32 vcc_lo, s4
	v_fma_f32 v13, -v21, v40, v22
	v_div_fixup_f32 v2, v2, v4, 1.0
	v_div_fmas_f32 v4, v11, v29, v38
	s_mov_b32 vcc_lo, s5
	v_fma_f32 v50, -v25, v42, v34
	v_fmac_f32_e32 v41, v49, v32
	v_div_fmas_f32 v11, v12, v30, v39
	s_mov_b32 vcc_lo, s6
	v_div_fixup_f32 v5, v10, v5, 1.0
	v_fmac_f32_e32 v42, v50, v33
	v_div_fmas_f32 v10, v13, v31, v40
	v_cmp_class_f32_e64 vcc_lo, v2, 0x1f8
	v_fma_f32 v14, -v23, v41, v24
	v_div_fixup_f32 v3, v3, v0, 1.0
	v_fma_f32 v15, -v25, v42, v34
	v_div_fixup_f32 v4, v4, v1, 1.0
	v_cndmask_b32_e32 v0, 0, v2, vcc_lo
	s_mov_b32 vcc_lo, s7
	v_div_fixup_f32 v6, v11, v6, 1.0
	v_div_fmas_f32 v12, v14, v32, v41
	v_cmp_class_f32_e64 vcc_lo, v3, 0x1f8
	s_delay_alu instid0(VALU_DEP_2)
	v_div_fixup_f32 v7, v12, v7, 1.0
	v_cndmask_b32_e32 v1, 0, v3, vcc_lo
	s_mov_b32 vcc_lo, s8
	v_div_fmas_f32 v11, v15, v33, v42
	v_cmp_class_f32_e64 vcc_lo, v5, 0x1f8
	v_cndmask_b32_e32 v2, 0, v5, vcc_lo
	v_cmp_class_f32_e64 vcc_lo, v4, 0x1f8
	v_div_fixup_f32 v5, v10, v8, 1.0
	v_div_fixup_f32 v8, v11, v9, 1.0
	v_cndmask_b32_e32 v3, 0, v4, vcc_lo
	v_cmp_class_f32_e64 vcc_lo, v6, 0x1f8
	v_cndmask_b32_e32 v4, 0, v6, vcc_lo
	v_cmp_class_f32_e64 vcc_lo, v5, 0x1f8
	;; [unrolled: 2-line block ×4, first 2 shown]
	v_cndmask_b32_e32 v7, 0, v8, vcc_lo
	s_cbranch_scc1 .LBB361_23
; %bb.4:
	v_lshlrev_b32_e32 v12, 2, v18
	s_clause 0x1
	global_load_b128 v[8:11], v12, s[10:11]
	global_load_b128 v[12:15], v12, s[10:11] offset:16
	s_waitcnt vmcnt(1)
	v_dual_add_f32 v9, v9, v1 :: v_dual_add_f32 v8, v8, v0
	v_dual_add_f32 v11, v11, v3 :: v_dual_add_f32 v10, v10, v2
	s_waitcnt vmcnt(0)
	v_dual_add_f32 v13, v13, v5 :: v_dual_add_f32 v12, v12, v4
	v_dual_add_f32 v15, v15, v7 :: v_dual_add_f32 v14, v14, v6
	s_cbranch_execnz .LBB361_6
.LBB361_5:
	v_dual_mov_b32 v15, v7 :: v_dual_mov_b32 v14, v6
	v_dual_mov_b32 v13, v5 :: v_dual_mov_b32 v12, v4
	;; [unrolled: 1-line block ×4, first 2 shown]
.LBB361_6:
	s_load_b128 s[8:11], s[0:1], 0x30
	v_cmp_eq_u32_e64 s2, 0, v17
	s_mov_b32 s6, 0
	s_waitcnt lgkmcnt(0)
	s_bitcmp1_b32 s11, 0
	s_cselect_b32 vcc_lo, -1, 0
	s_cmp_gt_i32 s8, 0
	s_cselect_b32 s5, -1, 0
	s_cmp_lt_i32 s8, 1
	s_cbranch_scc1 .LBB361_24
; %bb.7:
	v_mbcnt_lo_u32_b32 v19, -1, 0
	s_load_b128 s[12:15], s[0:1], 0x20
	s_delay_alu instid0(VALU_DEP_1) | instskip(SKIP_2) | instid1(VALU_DEP_3)
	v_dual_mov_b32 v23, v16 :: v_dual_and_b32 v20, 28, v19
	v_xor_b32_e32 v21, 2, v19
	v_xor_b32_e32 v22, 1, v19
	v_add_nc_u32_e32 v20, 4, v20
	s_delay_alu instid0(VALU_DEP_1) | instskip(NEXT) | instid1(VALU_DEP_1)
	v_cmp_lt_i32_e64 s0, v21, v20
	v_cndmask_b32_e64 v21, v19, v21, s0
	s_delay_alu instid0(VALU_DEP_4) | instskip(SKIP_1) | instid1(VALU_DEP_3)
	v_cmp_lt_i32_e64 s0, v22, v20
	v_mul_lo_u32 v20, v16, s8
	v_lshlrev_b32_e32 v21, 2, v21
	s_delay_alu instid0(VALU_DEP_3) | instskip(NEXT) | instid1(VALU_DEP_1)
	v_cndmask_b32_e64 v22, v19, v22, s0
	v_dual_mov_b32 v19, 0 :: v_dual_lshlrev_b32 v22, 2, v22
	s_branch .LBB361_10
.LBB361_8:                              ;   in Loop: Header=BB361_10 Depth=1
	s_or_b32 exec_lo, exec_lo, s1
.LBB361_9:                              ;   in Loop: Header=BB361_10 Depth=1
	v_add_nc_u32_e32 v23, s18, v23
	s_cmp_eq_u32 s8, s6
	s_cbranch_scc1 .LBB361_25
.LBB361_10:                             ; =>This Inner Loop Header: Depth=1
	v_cmp_gt_f32_e64 s0, v9, v8
	s_delay_alu instid0(VALU_DEP_1) | instskip(SKIP_2) | instid1(VALU_DEP_3)
	v_cndmask_b32_e64 v25, v8, v9, s0
	v_cndmask_b32_e64 v24, 0, 1, s0
	;; [unrolled: 1-line block ×3, first 2 shown]
	v_cmp_gt_f32_e64 s1, v10, v25
	s_delay_alu instid0(VALU_DEP_1) | instskip(NEXT) | instid1(VALU_DEP_4)
	v_cndmask_b32_e64 v25, v25, v10, s1
	v_cndmask_b32_e64 v24, v24, 2, s1
	s_delay_alu instid0(VALU_DEP_4) | instskip(NEXT) | instid1(VALU_DEP_3)
	v_cndmask_b32_e64 v26, v26, v2, s1
	v_cmp_gt_f32_e64 s3, v11, v25
	s_delay_alu instid0(VALU_DEP_1) | instskip(NEXT) | instid1(VALU_DEP_4)
	v_cndmask_b32_e64 v25, v25, v11, s3
	v_cndmask_b32_e64 v24, v24, 3, s3
	s_delay_alu instid0(VALU_DEP_4) | instskip(NEXT) | instid1(VALU_DEP_3)
	v_cndmask_b32_e64 v26, v26, v3, s3
	v_cmp_gt_f32_e64 s4, v12, v25
	s_delay_alu instid0(VALU_DEP_1) | instskip(NEXT) | instid1(VALU_DEP_4)
	v_cndmask_b32_e64 v25, v25, v12, s4
	v_cndmask_b32_e64 v24, v24, 4, s4
	s_delay_alu instid0(VALU_DEP_4) | instskip(SKIP_1) | instid1(VALU_DEP_3)
	v_cndmask_b32_e64 v26, v26, v4, s4
	s_mov_b32 s4, exec_lo
	v_cmp_gt_f32_e64 s0, v13, v25
	s_delay_alu instid0(VALU_DEP_1) | instskip(SKIP_2) | instid1(VALU_DEP_3)
	v_cndmask_b32_e64 v25, v25, v13, s0
	v_cndmask_b32_e64 v24, v24, 5, s0
	;; [unrolled: 1-line block ×3, first 2 shown]
	v_cmp_gt_f32_e64 s1, v14, v25
	s_delay_alu instid0(VALU_DEP_1) | instskip(NEXT) | instid1(VALU_DEP_4)
	v_cndmask_b32_e64 v25, v25, v14, s1
	v_cndmask_b32_e64 v24, v24, 6, s1
	s_waitcnt lgkmcnt(0)
	v_cndmask_b32_e64 v27, v26, v6, s1
	s_delay_alu instid0(VALU_DEP_3) | instskip(NEXT) | instid1(VALU_DEP_1)
	v_cmp_gt_f32_e64 s0, v15, v25
	v_cndmask_b32_e64 v24, v24, 7, s0
	v_cndmask_b32_e64 v26, v25, v15, s0
	s_delay_alu instid0(VALU_DEP_4) | instskip(NEXT) | instid1(VALU_DEP_3)
	v_cndmask_b32_e64 v25, v27, v7, s0
	v_or_b32_e32 v24, v18, v24
	ds_bpermute_b32 v27, v21, v26
	ds_bpermute_b32 v29, v21, v25
	ds_bpermute_b32 v28, v21, v24
	s_waitcnt lgkmcnt(0)
	v_cmp_lt_f32_e64 s3, v26, v27
	v_cmpx_nlt_f32_e32 v26, v27
; %bb.11:                               ;   in Loop: Header=BB361_10 Depth=1
	v_cmp_eq_f32_e64 s0, v26, v27
	v_cmp_lt_i32_e64 s1, v28, v24
	s_delay_alu instid0(VALU_DEP_1) | instskip(SKIP_2) | instid1(SALU_CYCLE_1)
	s_and_b32 s0, s0, s1
	s_and_not1_b32 s1, s3, exec_lo
	s_and_b32 s0, s0, exec_lo
	s_or_b32 s3, s1, s0
; %bb.12:                               ;   in Loop: Header=BB361_10 Depth=1
	s_or_b32 exec_lo, exec_lo, s4
	s_and_saveexec_b32 s0, s3
; %bb.13:                               ;   in Loop: Header=BB361_10 Depth=1
	v_dual_mov_b32 v25, v29 :: v_dual_mov_b32 v26, v27
	v_mov_b32_e32 v24, v28
; %bb.14:                               ;   in Loop: Header=BB361_10 Depth=1
	s_or_b32 exec_lo, exec_lo, s0
	ds_bpermute_b32 v29, v22, v26
	ds_bpermute_b32 v27, v22, v25
	;; [unrolled: 1-line block ×3, first 2 shown]
	s_mov_b32 s4, exec_lo
	s_waitcnt lgkmcnt(2)
	v_cmp_lt_f32_e64 s3, v26, v29
	v_cmpx_nlt_f32_e32 v26, v29
	s_cbranch_execnz .LBB361_18
; %bb.15:                               ;   in Loop: Header=BB361_10 Depth=1
	s_or_b32 exec_lo, exec_lo, s4
	s_delay_alu instid0(VALU_DEP_2)
	s_and_saveexec_b32 s0, s3
	s_cbranch_execnz .LBB361_19
.LBB361_16:                             ;   in Loop: Header=BB361_10 Depth=1
	s_or_b32 exec_lo, exec_lo, s0
	s_and_saveexec_b32 s3, s2
	s_cbranch_execnz .LBB361_20
.LBB361_17:                             ;   in Loop: Header=BB361_10 Depth=1
	s_or_b32 exec_lo, exec_lo, s3
	s_add_i32 s6, s6, 1
	s_delay_alu instid0(SALU_CYCLE_1)
	s_cmp_ge_i32 s6, s8
	s_cbranch_scc1 .LBB361_9
	s_branch .LBB361_21
.LBB361_18:                             ;   in Loop: Header=BB361_10 Depth=1
	v_cmp_eq_f32_e64 s0, v26, v29
	s_waitcnt lgkmcnt(0)
	v_cmp_lt_i32_e64 s1, v28, v24
	s_delay_alu instid0(VALU_DEP_1) | instskip(SKIP_2) | instid1(SALU_CYCLE_1)
	s_and_b32 s0, s0, s1
	s_and_not1_b32 s1, s3, exec_lo
	s_and_b32 s0, s0, exec_lo
	s_or_b32 s3, s1, s0
	s_or_b32 exec_lo, exec_lo, s4
	s_and_saveexec_b32 s0, s3
	s_cbranch_execz .LBB361_16
.LBB361_19:                             ;   in Loop: Header=BB361_10 Depth=1
	s_waitcnt lgkmcnt(0)
	v_dual_mov_b32 v24, v28 :: v_dual_mov_b32 v25, v27
	s_or_b32 exec_lo, exec_lo, s0
	s_and_saveexec_b32 s3, s2
	s_cbranch_execz .LBB361_17
.LBB361_20:                             ;   in Loop: Header=BB361_10 Depth=1
	s_delay_alu instid0(VALU_DEP_1)
	v_add_f32_e32 v34, v19, v25
	v_add_nc_u32_e32 v26, s6, v20
	v_subrev_nc_u32_e32 v30, s9, v24
	v_cmp_le_i32_e64 s0, s9, v24
	v_cmp_gt_i32_e64 s1, s10, v24
	v_cndmask_b32_e32 v19, v19, v34, vcc_lo
	s_waitcnt lgkmcnt(1)
	v_ashrrev_i32_e32 v27, 31, v26
	v_ashrrev_i32_e32 v31, 31, v30
	s_and_b32 s0, s0, s1
	s_waitcnt lgkmcnt(0)
	s_delay_alu instid0(VALU_DEP_2) | instskip(SKIP_2) | instid1(SALU_CYCLE_1)
	v_lshlrev_b64 v[28:29], 2, v[26:27]
	v_lshlrev_b64 v[26:27], 3, v[26:27]
	s_and_b32 s0, s19, s0
	v_cndmask_b32_e64 v31, 0, v31, s0
	v_cndmask_b32_e64 v30, 32, v30, s0
	s_delay_alu instid0(VALU_DEP_4) | instskip(NEXT) | instid1(VALU_DEP_1)
	v_add_co_u32 v32, s0, s16, v28
	v_add_co_ci_u32_e64 v33, s0, s17, v29, s0
	v_add_co_u32 v26, s0, s12, v26
	s_delay_alu instid0(VALU_DEP_1) | instskip(SKIP_1) | instid1(VALU_DEP_1)
	v_add_co_ci_u32_e64 v27, s0, s13, v27, s0
	v_add_co_u32 v28, s0, s14, v28
	v_add_co_ci_u32_e64 v29, s0, s15, v29, s0
	global_store_b32 v[32:33], v25, off
	global_store_b64 v[26:27], v[30:31], off
	global_store_b32 v[28:29], v23, off
	s_or_b32 exec_lo, exec_lo, s3
	s_add_i32 s6, s6, 1
	s_delay_alu instid0(SALU_CYCLE_1)
	s_cmp_ge_i32 s6, s8
	s_cbranch_scc1 .LBB361_9
.LBB361_21:                             ;   in Loop: Header=BB361_10 Depth=1
	v_ashrrev_i32_e32 v26, 31, v24
	s_mov_b32 s1, exec_lo
	s_delay_alu instid0(VALU_DEP_1) | instskip(NEXT) | instid1(VALU_DEP_1)
	v_lshrrev_b32_e32 v25, 29, v26
	v_add_nc_u32_e32 v25, v24, v25
	s_delay_alu instid0(VALU_DEP_1) | instskip(SKIP_1) | instid1(VALU_DEP_1)
	v_ashrrev_i32_e32 v25, 3, v25
	s_waitcnt lgkmcnt(1)
	v_lshrrev_b32_e32 v27, 30, v25
	s_delay_alu instid0(VALU_DEP_1) | instskip(NEXT) | instid1(VALU_DEP_1)
	v_add_nc_u32_e32 v27, v25, v27
	v_and_b32_e32 v27, -4, v27
	s_delay_alu instid0(VALU_DEP_1) | instskip(NEXT) | instid1(VALU_DEP_1)
	v_sub_nc_u32_e32 v27, v25, v27
	v_cmpx_eq_u32_e64 v17, v27
	s_cbranch_execz .LBB361_8
; %bb.22:                               ;   in Loop: Header=BB361_10 Depth=1
	v_lshrrev_b32_e32 v26, 27, v26
	v_lshlrev_b32_e32 v25, 3, v25
	s_delay_alu instid0(VALU_DEP_2) | instskip(NEXT) | instid1(VALU_DEP_2)
	v_add_nc_u32_e32 v26, v24, v26
	v_sub_nc_u32_e32 v24, v24, v25
	s_delay_alu instid0(VALU_DEP_2) | instskip(NEXT) | instid1(VALU_DEP_1)
	v_ashrrev_i32_e32 v25, 5, v26
	v_lshl_add_u32 v24, v25, 3, v24
	s_delay_alu instid0(VALU_DEP_1) | instskip(NEXT) | instid1(VALU_DEP_1)
	v_cmp_ne_u32_e64 s0, 7, v24
	v_cndmask_b32_e64 v15, 0xc61c4000, v15, s0
	v_cmp_ne_u32_e64 s0, 6, v24
	s_delay_alu instid0(VALU_DEP_1) | instskip(SKIP_1) | instid1(VALU_DEP_1)
	v_cndmask_b32_e64 v14, 0xc61c4000, v14, s0
	v_cmp_ne_u32_e64 s0, 5, v24
	v_cndmask_b32_e64 v13, 0xc61c4000, v13, s0
	v_cmp_ne_u32_e64 s0, 4, v24
	s_delay_alu instid0(VALU_DEP_1) | instskip(SKIP_1) | instid1(VALU_DEP_1)
	v_cndmask_b32_e64 v12, 0xc61c4000, v12, s0
	;; [unrolled: 5-line block ×3, first 2 shown]
	v_cmp_ne_u32_e64 s0, 1, v24
	v_cndmask_b32_e64 v9, 0xc61c4000, v9, s0
	v_cmp_ne_u32_e64 s0, 0, v24
	s_delay_alu instid0(VALU_DEP_1)
	v_cndmask_b32_e64 v8, 0xc61c4000, v8, s0
	s_branch .LBB361_8
.LBB361_23:
                                        ; implicit-def: $vgpr8_vgpr9_vgpr10_vgpr11_vgpr12_vgpr13_vgpr14_vgpr15
	s_and_not1_b32 vcc_lo, exec_lo, s9
	s_cbranch_vccz .LBB361_5
	s_branch .LBB361_6
.LBB361_24:
	v_mov_b32_e32 v19, 0
.LBB361_25:
	v_cmp_eq_u32_e64 s0, 0, v17
	s_delay_alu instid0(VALU_DEP_1) | instskip(NEXT) | instid1(SALU_CYCLE_1)
	s_and_b32 s0, s0, vcc_lo
	s_and_b32 exec_lo, exec_lo, s0
	s_cbranch_execz .LBB361_29
; %bb.26:
	s_and_not1_b32 vcc_lo, exec_lo, s5
	s_cbranch_vccnz .LBB361_29
; %bb.27:
	v_mul_lo_u32 v0, v16, s8
	v_cmp_lt_f32_e32 vcc_lo, 0, v19
	v_cndmask_b32_e32 v2, 1.0, v19, vcc_lo
	s_delay_alu instid0(VALU_DEP_3) | instskip(NEXT) | instid1(VALU_DEP_1)
	v_ashrrev_i32_e32 v1, 31, v0
	v_lshlrev_b64 v[0:1], 2, v[0:1]
	s_delay_alu instid0(VALU_DEP_1) | instskip(NEXT) | instid1(VALU_DEP_2)
	v_add_co_u32 v0, vcc_lo, s16, v0
	v_add_co_ci_u32_e32 v1, vcc_lo, s17, v1, vcc_lo
	.p2align	6
.LBB361_28:                             ; =>This Inner Loop Header: Depth=1
	global_load_b32 v3, v[0:1], off
	s_add_i32 s8, s8, -1
	s_delay_alu instid0(SALU_CYCLE_1) | instskip(SKIP_3) | instid1(VALU_DEP_2)
	s_cmp_lg_u32 s8, 0
	s_waitcnt vmcnt(0)
	v_div_scale_f32 v4, null, v2, v2, v3
	v_div_scale_f32 v7, vcc_lo, v3, v2, v3
	v_rcp_f32_e32 v5, v4
	s_waitcnt_depctr 0xfff
	v_fma_f32 v6, -v4, v5, 1.0
	s_delay_alu instid0(VALU_DEP_1) | instskip(NEXT) | instid1(VALU_DEP_1)
	v_fmac_f32_e32 v5, v6, v5
	v_mul_f32_e32 v6, v7, v5
	s_delay_alu instid0(VALU_DEP_1) | instskip(NEXT) | instid1(VALU_DEP_1)
	v_fma_f32 v8, -v4, v6, v7
	v_fmac_f32_e32 v6, v8, v5
	s_delay_alu instid0(VALU_DEP_1) | instskip(NEXT) | instid1(VALU_DEP_1)
	v_fma_f32 v4, -v4, v6, v7
	v_div_fmas_f32 v4, v4, v5, v6
	s_delay_alu instid0(VALU_DEP_1)
	v_div_fixup_f32 v3, v4, v2, v3
	global_store_b32 v[0:1], v3, off
	v_add_co_u32 v0, vcc_lo, v0, 4
	v_add_co_ci_u32_e32 v1, vcc_lo, 0, v1, vcc_lo
	s_cbranch_scc1 .LBB361_28
.LBB361_29:
	s_nop 0
	s_sendmsg sendmsg(MSG_DEALLOC_VGPRS)
	s_endpgm
	.section	.rodata,"a",@progbits
	.p2align	6, 0x0
	.amdhsa_kernel _ZN4vllm3moe10topkGatingILi8ELi32ELi4ELi16ELi64El14__hip_bfloat16LNS0_11ScoringFuncE1EEEvPKT5_PKbPfiPT4_PiiiibPKf
		.amdhsa_group_segment_fixed_size 0
		.amdhsa_private_segment_fixed_size 0
		.amdhsa_kernarg_size 72
		.amdhsa_user_sgpr_count 15
		.amdhsa_user_sgpr_dispatch_ptr 0
		.amdhsa_user_sgpr_queue_ptr 0
		.amdhsa_user_sgpr_kernarg_segment_ptr 1
		.amdhsa_user_sgpr_dispatch_id 0
		.amdhsa_user_sgpr_private_segment_size 0
		.amdhsa_wavefront_size32 1
		.amdhsa_uses_dynamic_stack 0
		.amdhsa_enable_private_segment 0
		.amdhsa_system_sgpr_workgroup_id_x 1
		.amdhsa_system_sgpr_workgroup_id_y 0
		.amdhsa_system_sgpr_workgroup_id_z 0
		.amdhsa_system_sgpr_workgroup_info 0
		.amdhsa_system_vgpr_workitem_id 1
		.amdhsa_next_free_vgpr 51
		.amdhsa_next_free_sgpr 20
		.amdhsa_reserve_vcc 1
		.amdhsa_float_round_mode_32 0
		.amdhsa_float_round_mode_16_64 0
		.amdhsa_float_denorm_mode_32 3
		.amdhsa_float_denorm_mode_16_64 3
		.amdhsa_dx10_clamp 1
		.amdhsa_ieee_mode 1
		.amdhsa_fp16_overflow 0
		.amdhsa_workgroup_processor_mode 1
		.amdhsa_memory_ordered 1
		.amdhsa_forward_progress 0
		.amdhsa_shared_vgpr_count 0
		.amdhsa_exception_fp_ieee_invalid_op 0
		.amdhsa_exception_fp_denorm_src 0
		.amdhsa_exception_fp_ieee_div_zero 0
		.amdhsa_exception_fp_ieee_overflow 0
		.amdhsa_exception_fp_ieee_underflow 0
		.amdhsa_exception_fp_ieee_inexact 0
		.amdhsa_exception_int_div_zero 0
	.end_amdhsa_kernel
	.section	.text._ZN4vllm3moe10topkGatingILi8ELi32ELi4ELi16ELi64El14__hip_bfloat16LNS0_11ScoringFuncE1EEEvPKT5_PKbPfiPT4_PiiiibPKf,"axG",@progbits,_ZN4vllm3moe10topkGatingILi8ELi32ELi4ELi16ELi64El14__hip_bfloat16LNS0_11ScoringFuncE1EEEvPKT5_PKbPfiPT4_PiiiibPKf,comdat
.Lfunc_end361:
	.size	_ZN4vllm3moe10topkGatingILi8ELi32ELi4ELi16ELi64El14__hip_bfloat16LNS0_11ScoringFuncE1EEEvPKT5_PKbPfiPT4_PiiiibPKf, .Lfunc_end361-_ZN4vllm3moe10topkGatingILi8ELi32ELi4ELi16ELi64El14__hip_bfloat16LNS0_11ScoringFuncE1EEEvPKT5_PKbPfiPT4_PiiiibPKf
                                        ; -- End function
	.section	.AMDGPU.csdata,"",@progbits
; Kernel info:
; codeLenInByte = 2792
; NumSgprs: 22
; NumVgprs: 51
; ScratchSize: 0
; MemoryBound: 0
; FloatMode: 240
; IeeeMode: 1
; LDSByteSize: 0 bytes/workgroup (compile time only)
; SGPRBlocks: 2
; VGPRBlocks: 6
; NumSGPRsForWavesPerEU: 22
; NumVGPRsForWavesPerEU: 51
; Occupancy: 16
; WaveLimiterHint : 0
; COMPUTE_PGM_RSRC2:SCRATCH_EN: 0
; COMPUTE_PGM_RSRC2:USER_SGPR: 15
; COMPUTE_PGM_RSRC2:TRAP_HANDLER: 0
; COMPUTE_PGM_RSRC2:TGID_X_EN: 1
; COMPUTE_PGM_RSRC2:TGID_Y_EN: 0
; COMPUTE_PGM_RSRC2:TGID_Z_EN: 0
; COMPUTE_PGM_RSRC2:TIDIG_COMP_CNT: 1
	.section	.text._ZN4vllm3moe10topkGatingILi8ELi32ELi4ELi16ELi32El14__hip_bfloat16LNS0_11ScoringFuncE1EEEvPKT5_PKbPfiPT4_PiiiibPKf,"axG",@progbits,_ZN4vllm3moe10topkGatingILi8ELi32ELi4ELi16ELi32El14__hip_bfloat16LNS0_11ScoringFuncE1EEEvPKT5_PKbPfiPT4_PiiiibPKf,comdat
	.protected	_ZN4vllm3moe10topkGatingILi8ELi32ELi4ELi16ELi32El14__hip_bfloat16LNS0_11ScoringFuncE1EEEvPKT5_PKbPfiPT4_PiiiibPKf ; -- Begin function _ZN4vllm3moe10topkGatingILi8ELi32ELi4ELi16ELi32El14__hip_bfloat16LNS0_11ScoringFuncE1EEEvPKT5_PKbPfiPT4_PiiiibPKf
	.globl	_ZN4vllm3moe10topkGatingILi8ELi32ELi4ELi16ELi32El14__hip_bfloat16LNS0_11ScoringFuncE1EEEvPKT5_PKbPfiPT4_PiiiibPKf
	.p2align	8
	.type	_ZN4vllm3moe10topkGatingILi8ELi32ELi4ELi16ELi32El14__hip_bfloat16LNS0_11ScoringFuncE1EEEvPKT5_PKbPfiPT4_PiiiibPKf,@function
_ZN4vllm3moe10topkGatingILi8ELi32ELi4ELi16ELi32El14__hip_bfloat16LNS0_11ScoringFuncE1EEEvPKT5_PKbPfiPT4_PiiiibPKf: ; @_ZN4vllm3moe10topkGatingILi8ELi32ELi4ELi16ELi32El14__hip_bfloat16LNS0_11ScoringFuncE1EEEvPKT5_PKbPfiPT4_PiiiibPKf
; %bb.0:
	s_load_b32 s18, s[0:1], 0x18
	v_bfe_u32 v1, v0, 10, 10
	v_and_b32_e32 v0, 0x3ff, v0
	s_lshl_b32 s2, s15, 5
	s_delay_alu instid0(VALU_DEP_2) | instskip(NEXT) | instid1(VALU_DEP_2)
	v_lshlrev_b32_e32 v1, 3, v1
	v_lshrrev_b32_e32 v2, 2, v0
	s_delay_alu instid0(VALU_DEP_1) | instskip(SKIP_2) | instid1(VALU_DEP_1)
	v_add3_u32 v16, s2, v1, v2
	s_mov_b32 s2, exec_lo
	s_waitcnt lgkmcnt(0)
	v_cmpx_gt_i32_e64 s18, v16
	s_cbranch_execz .LBB362_29
; %bb.1:
	s_clause 0x1
	s_load_b128 s[4:7], s[0:1], 0x0
	s_load_b64 s[16:17], s[0:1], 0x10
	s_mov_b32 s9, -1
	s_mov_b32 s19, -1
	s_waitcnt lgkmcnt(0)
	s_cmp_eq_u64 s[6:7], 0
	s_cbranch_scc1 .LBB362_3
; %bb.2:
	v_ashrrev_i32_e32 v2, 31, v16
	v_add_co_u32 v1, vcc_lo, s6, v16
	s_delay_alu instid0(VALU_DEP_2) | instskip(SKIP_3) | instid1(VALU_DEP_1)
	v_add_co_ci_u32_e32 v2, vcc_lo, s7, v2, vcc_lo
	global_load_u8 v1, v[1:2], off
	s_waitcnt vmcnt(0)
	v_and_b32_e32 v1, 1, v1
	v_cmp_eq_u32_e32 vcc_lo, 1, v1
	s_xor_b32 s2, vcc_lo, -1
	s_delay_alu instid0(SALU_CYCLE_1)
	s_or_not1_b32 s19, s2, exec_lo
.LBB362_3:
	v_lshlrev_b32_e32 v1, 5, v16
	v_and_b32_e32 v17, 3, v0
	s_load_b64 s[10:11], s[0:1], 0x40
	s_delay_alu instid0(VALU_DEP_2) | instskip(NEXT) | instid1(VALU_DEP_1)
	v_ashrrev_i32_e32 v2, 31, v1
	v_lshlrev_b64 v[0:1], 1, v[1:2]
	s_delay_alu instid0(VALU_DEP_3) | instskip(NEXT) | instid1(VALU_DEP_2)
	v_lshlrev_b32_e32 v2, 4, v17
	v_add_co_u32 v0, vcc_lo, s4, v0
	s_delay_alu instid0(VALU_DEP_3) | instskip(NEXT) | instid1(VALU_DEP_2)
	v_add_co_ci_u32_e32 v1, vcc_lo, s5, v1, vcc_lo
	v_add_co_u32 v0, vcc_lo, v0, v2
	s_delay_alu instid0(VALU_DEP_2)
	v_add_co_ci_u32_e32 v1, vcc_lo, 0, v1, vcc_lo
	s_waitcnt lgkmcnt(0)
	s_cmp_eq_u64 s[10:11], 0
	global_load_b128 v[0:3], v[0:1], off
	s_waitcnt vmcnt(0)
	v_lshlrev_b32_e32 v5, 16, v1
	s_delay_alu instid0(VALU_DEP_1) | instskip(NEXT) | instid1(VALU_DEP_1)
	v_dual_mul_f32 v5, 0xbfb8aa3b, v5 :: v_dual_lshlrev_b32 v4, 16, v0
	v_mul_f32_e32 v4, 0xbfb8aa3b, v4
	s_delay_alu instid0(VALU_DEP_2) | instskip(NEXT) | instid1(VALU_DEP_1)
	v_exp_f32_e32 v5, v5
	v_exp_f32_e32 v4, v4
	v_and_b32_e32 v1, 0xffff0000, v1
	s_waitcnt_depctr 0xfff
	v_dual_add_f32 v5, 1.0, v5 :: v_dual_and_b32 v0, 0xffff0000, v0
	v_add_f32_e32 v4, 1.0, v4
	v_dual_mul_f32 v1, 0xbfb8aa3b, v1 :: v_dual_lshlrev_b32 v6, 16, v2
	s_delay_alu instid0(VALU_DEP_3) | instskip(NEXT) | instid1(VALU_DEP_4)
	v_dual_mul_f32 v0, 0xbfb8aa3b, v0 :: v_dual_lshlrev_b32 v7, 16, v3
	v_div_scale_f32 v12, null, v5, v5, 1.0
	s_delay_alu instid0(VALU_DEP_3) | instskip(SKIP_1) | instid1(VALU_DEP_3)
	v_exp_f32_e32 v1, v1
	v_and_b32_e32 v2, 0xffff0000, v2
	v_exp_f32_e32 v0, v0
	v_and_b32_e32 v3, 0xffff0000, v3
	v_dual_mul_f32 v6, 0xbfb8aa3b, v6 :: v_dual_mul_f32 v7, 0xbfb8aa3b, v7
	v_rcp_f32_e32 v28, v12
	v_div_scale_f32 v13, s3, 1.0, v5, 1.0
	s_delay_alu instid0(VALU_DEP_2) | instskip(SKIP_1) | instid1(TRANS32_DEP_3)
	v_exp_f32_e32 v6, v6
	v_dual_add_f32 v1, 1.0, v1 :: v_dual_mul_f32 v2, 0xbfb8aa3b, v2
	v_dual_add_f32 v0, 1.0, v0 :: v_dual_mul_f32 v3, 0xbfb8aa3b, v3
	v_lshlrev_b32_e32 v18, 3, v17
	v_exp_f32_e32 v7, v7
	s_delay_alu instid0(VALU_DEP_3) | instskip(NEXT) | instid1(VALU_DEP_2)
	v_exp_f32_e32 v2, v2
	v_div_scale_f32 v10, null, v0, v0, 1.0
	v_exp_f32_e32 v3, v3
	v_add_f32_e32 v6, 1.0, v6
	v_div_scale_f32 v14, null, v1, v1, 1.0
	s_delay_alu instid0(VALU_DEP_3) | instskip(SKIP_1) | instid1(TRANS32_DEP_3)
	v_rcp_f32_e32 v27, v10
	v_fma_f32 v37, -v12, v28, 1.0
	v_dual_add_f32 v7, 1.0, v7 :: v_dual_add_f32 v8, 1.0, v2
	v_div_scale_f32 v2, null, v4, v4, 1.0
	s_delay_alu instid0(TRANS32_DEP_2) | instskip(SKIP_1) | instid1(VALU_DEP_4)
	v_add_f32_e32 v9, 1.0, v3
	v_div_scale_f32 v19, null, v6, v6, 1.0
	v_div_scale_f32 v21, null, v8, v8, 1.0
	s_delay_alu instid0(VALU_DEP_4) | instskip(NEXT) | instid1(VALU_DEP_2)
	v_rcp_f32_e32 v26, v2
	v_rcp_f32_e32 v30, v19
	;; [unrolled: 1-line block ×3, first 2 shown]
	s_delay_alu instid0(VALU_DEP_1)
	v_rcp_f32_e32 v31, v21
	v_div_scale_f32 v23, null, v7, v7, 1.0
	v_fma_f32 v36, -v10, v27, 1.0
	v_div_scale_f32 v3, vcc_lo, 1.0, v4, 1.0
	v_div_scale_f32 v11, s2, 1.0, v0, 1.0
	v_fma_f32 v35, -v2, v26, 1.0
	s_delay_alu instid0(TRANS32_DEP_3) | instskip(NEXT) | instid1(TRANS32_DEP_1)
	v_fma_f32 v39, -v19, v30, 1.0
	v_fma_f32 v40, -v21, v31, 1.0
	s_delay_alu instid0(TRANS32_DEP_2) | instskip(SKIP_3) | instid1(VALU_DEP_3)
	v_fma_f32 v38, -v14, v29, 1.0
	v_div_scale_f32 v25, null, v9, v9, 1.0
	v_dual_fmac_f32 v26, v35, v26 :: v_dual_fmac_f32 v27, v36, v27
	v_rcp_f32_e32 v32, v23
	v_dual_fmac_f32 v28, v37, v28 :: v_dual_fmac_f32 v29, v38, v29
	v_div_scale_f32 v22, s6, 1.0, v8, 1.0
	v_dual_fmac_f32 v30, v39, v30 :: v_dual_fmac_f32 v31, v40, v31
	v_mul_f32_e32 v35, v3, v26
	v_div_scale_f32 v15, s4, 1.0, v1, 1.0
	v_rcp_f32_e32 v33, v25
	s_delay_alu instid0(VALU_DEP_3)
	v_mul_f32_e32 v40, v22, v31
	v_dual_mul_f32 v36, v11, v27 :: v_dual_mul_f32 v37, v13, v28
	v_div_scale_f32 v20, s5, 1.0, v6, 1.0
	v_fma_f32 v43, -v2, v35, v3
	v_mul_f32_e32 v38, v15, v29
	v_fma_f32 v41, -v23, v32, 1.0
	s_delay_alu instid0(VALU_DEP_4)
	v_mul_f32_e32 v39, v20, v30
	v_fma_f32 v44, -v10, v36, v11
	v_fma_f32 v45, -v12, v37, v13
	v_fmac_f32_e32 v35, v43, v26
	v_fma_f32 v46, -v14, v38, v15
	v_div_scale_f32 v24, s7, 1.0, v7, 1.0
	v_fmac_f32_e32 v36, v44, v27
	v_fma_f32 v42, -v25, v33, 1.0
	v_fmac_f32_e32 v32, v41, v32
	v_fma_f32 v47, -v19, v39, v20
	v_dual_fmac_f32 v37, v45, v28 :: v_dual_fmac_f32 v38, v46, v29
	v_fma_f32 v48, -v21, v40, v22
	v_fma_f32 v2, -v2, v35, v3
	v_div_scale_f32 v34, s8, 1.0, v9, 1.0
	v_fmac_f32_e32 v33, v42, v33
	v_mul_f32_e32 v41, v24, v32
	v_fma_f32 v3, -v10, v36, v11
	v_dual_fmac_f32 v39, v47, v30 :: v_dual_fmac_f32 v40, v48, v31
	v_fma_f32 v10, -v12, v37, v13
	v_div_fmas_f32 v2, v2, v26, v35
	s_mov_b32 vcc_lo, s2
	v_fma_f32 v11, -v14, v38, v15
	v_mul_f32_e32 v42, v34, v33
	v_fma_f32 v49, -v23, v41, v24
	v_div_fmas_f32 v3, v3, v27, v36
	s_mov_b32 vcc_lo, s3
	v_fma_f32 v12, -v19, v39, v20
	v_div_fmas_f32 v10, v10, v28, v37
	s_mov_b32 vcc_lo, s4
	v_fma_f32 v13, -v21, v40, v22
	v_div_fixup_f32 v2, v2, v4, 1.0
	v_div_fmas_f32 v4, v11, v29, v38
	s_mov_b32 vcc_lo, s5
	v_fma_f32 v50, -v25, v42, v34
	v_fmac_f32_e32 v41, v49, v32
	v_div_fmas_f32 v11, v12, v30, v39
	s_mov_b32 vcc_lo, s6
	v_div_fixup_f32 v5, v10, v5, 1.0
	v_fmac_f32_e32 v42, v50, v33
	v_div_fmas_f32 v10, v13, v31, v40
	v_cmp_class_f32_e64 vcc_lo, v2, 0x1f8
	v_fma_f32 v14, -v23, v41, v24
	v_div_fixup_f32 v3, v3, v0, 1.0
	v_fma_f32 v15, -v25, v42, v34
	v_div_fixup_f32 v4, v4, v1, 1.0
	v_cndmask_b32_e32 v0, 0, v2, vcc_lo
	s_mov_b32 vcc_lo, s7
	v_div_fixup_f32 v6, v11, v6, 1.0
	v_div_fmas_f32 v12, v14, v32, v41
	v_cmp_class_f32_e64 vcc_lo, v3, 0x1f8
	s_delay_alu instid0(VALU_DEP_2)
	v_div_fixup_f32 v7, v12, v7, 1.0
	v_cndmask_b32_e32 v1, 0, v3, vcc_lo
	s_mov_b32 vcc_lo, s8
	v_div_fmas_f32 v11, v15, v33, v42
	v_cmp_class_f32_e64 vcc_lo, v5, 0x1f8
	v_cndmask_b32_e32 v2, 0, v5, vcc_lo
	v_cmp_class_f32_e64 vcc_lo, v4, 0x1f8
	v_div_fixup_f32 v5, v10, v8, 1.0
	v_div_fixup_f32 v8, v11, v9, 1.0
	v_cndmask_b32_e32 v3, 0, v4, vcc_lo
	v_cmp_class_f32_e64 vcc_lo, v6, 0x1f8
	v_cndmask_b32_e32 v4, 0, v6, vcc_lo
	v_cmp_class_f32_e64 vcc_lo, v5, 0x1f8
	;; [unrolled: 2-line block ×4, first 2 shown]
	v_cndmask_b32_e32 v7, 0, v8, vcc_lo
	s_cbranch_scc1 .LBB362_23
; %bb.4:
	v_lshlrev_b32_e32 v12, 2, v18
	s_clause 0x1
	global_load_b128 v[8:11], v12, s[10:11]
	global_load_b128 v[12:15], v12, s[10:11] offset:16
	s_waitcnt vmcnt(1)
	v_dual_add_f32 v9, v9, v1 :: v_dual_add_f32 v8, v8, v0
	v_dual_add_f32 v11, v11, v3 :: v_dual_add_f32 v10, v10, v2
	s_waitcnt vmcnt(0)
	v_dual_add_f32 v13, v13, v5 :: v_dual_add_f32 v12, v12, v4
	v_dual_add_f32 v15, v15, v7 :: v_dual_add_f32 v14, v14, v6
	s_cbranch_execnz .LBB362_6
.LBB362_5:
	v_dual_mov_b32 v15, v7 :: v_dual_mov_b32 v14, v6
	v_dual_mov_b32 v13, v5 :: v_dual_mov_b32 v12, v4
	;; [unrolled: 1-line block ×4, first 2 shown]
.LBB362_6:
	s_load_b128 s[8:11], s[0:1], 0x30
	v_cmp_eq_u32_e64 s2, 0, v17
	s_mov_b32 s6, 0
	s_waitcnt lgkmcnt(0)
	s_bitcmp1_b32 s11, 0
	s_cselect_b32 vcc_lo, -1, 0
	s_cmp_gt_i32 s8, 0
	s_cselect_b32 s5, -1, 0
	s_cmp_lt_i32 s8, 1
	s_cbranch_scc1 .LBB362_24
; %bb.7:
	v_mbcnt_lo_u32_b32 v19, -1, 0
	s_load_b128 s[12:15], s[0:1], 0x20
	s_delay_alu instid0(VALU_DEP_1) | instskip(SKIP_2) | instid1(VALU_DEP_3)
	v_dual_mov_b32 v23, v16 :: v_dual_and_b32 v20, 28, v19
	v_xor_b32_e32 v21, 2, v19
	v_xor_b32_e32 v22, 1, v19
	v_add_nc_u32_e32 v20, 4, v20
	s_delay_alu instid0(VALU_DEP_1) | instskip(NEXT) | instid1(VALU_DEP_1)
	v_cmp_lt_i32_e64 s0, v21, v20
	v_cndmask_b32_e64 v21, v19, v21, s0
	s_delay_alu instid0(VALU_DEP_4) | instskip(SKIP_1) | instid1(VALU_DEP_3)
	v_cmp_lt_i32_e64 s0, v22, v20
	v_mul_lo_u32 v20, v16, s8
	v_lshlrev_b32_e32 v21, 2, v21
	s_delay_alu instid0(VALU_DEP_3) | instskip(NEXT) | instid1(VALU_DEP_1)
	v_cndmask_b32_e64 v22, v19, v22, s0
	v_dual_mov_b32 v19, 0 :: v_dual_lshlrev_b32 v22, 2, v22
	s_branch .LBB362_10
.LBB362_8:                              ;   in Loop: Header=BB362_10 Depth=1
	s_or_b32 exec_lo, exec_lo, s1
.LBB362_9:                              ;   in Loop: Header=BB362_10 Depth=1
	v_add_nc_u32_e32 v23, s18, v23
	s_cmp_eq_u32 s8, s6
	s_cbranch_scc1 .LBB362_25
.LBB362_10:                             ; =>This Inner Loop Header: Depth=1
	v_cmp_gt_f32_e64 s0, v9, v8
	s_delay_alu instid0(VALU_DEP_1) | instskip(SKIP_2) | instid1(VALU_DEP_3)
	v_cndmask_b32_e64 v25, v8, v9, s0
	v_cndmask_b32_e64 v24, 0, 1, s0
	;; [unrolled: 1-line block ×3, first 2 shown]
	v_cmp_gt_f32_e64 s1, v10, v25
	s_delay_alu instid0(VALU_DEP_1) | instskip(NEXT) | instid1(VALU_DEP_4)
	v_cndmask_b32_e64 v25, v25, v10, s1
	v_cndmask_b32_e64 v24, v24, 2, s1
	s_delay_alu instid0(VALU_DEP_4) | instskip(NEXT) | instid1(VALU_DEP_3)
	v_cndmask_b32_e64 v26, v26, v2, s1
	v_cmp_gt_f32_e64 s3, v11, v25
	s_delay_alu instid0(VALU_DEP_1) | instskip(NEXT) | instid1(VALU_DEP_4)
	v_cndmask_b32_e64 v25, v25, v11, s3
	v_cndmask_b32_e64 v24, v24, 3, s3
	s_delay_alu instid0(VALU_DEP_4) | instskip(NEXT) | instid1(VALU_DEP_3)
	v_cndmask_b32_e64 v26, v26, v3, s3
	v_cmp_gt_f32_e64 s4, v12, v25
	s_delay_alu instid0(VALU_DEP_1) | instskip(NEXT) | instid1(VALU_DEP_4)
	v_cndmask_b32_e64 v25, v25, v12, s4
	v_cndmask_b32_e64 v24, v24, 4, s4
	s_delay_alu instid0(VALU_DEP_4) | instskip(SKIP_1) | instid1(VALU_DEP_3)
	v_cndmask_b32_e64 v26, v26, v4, s4
	s_mov_b32 s4, exec_lo
	v_cmp_gt_f32_e64 s0, v13, v25
	s_delay_alu instid0(VALU_DEP_1) | instskip(SKIP_2) | instid1(VALU_DEP_3)
	v_cndmask_b32_e64 v25, v25, v13, s0
	v_cndmask_b32_e64 v24, v24, 5, s0
	;; [unrolled: 1-line block ×3, first 2 shown]
	v_cmp_gt_f32_e64 s1, v14, v25
	s_delay_alu instid0(VALU_DEP_1) | instskip(NEXT) | instid1(VALU_DEP_4)
	v_cndmask_b32_e64 v25, v25, v14, s1
	v_cndmask_b32_e64 v24, v24, 6, s1
	s_waitcnt lgkmcnt(0)
	v_cndmask_b32_e64 v27, v26, v6, s1
	s_delay_alu instid0(VALU_DEP_3) | instskip(NEXT) | instid1(VALU_DEP_1)
	v_cmp_gt_f32_e64 s0, v15, v25
	v_cndmask_b32_e64 v24, v24, 7, s0
	v_cndmask_b32_e64 v26, v25, v15, s0
	s_delay_alu instid0(VALU_DEP_4) | instskip(NEXT) | instid1(VALU_DEP_3)
	v_cndmask_b32_e64 v25, v27, v7, s0
	v_or_b32_e32 v24, v18, v24
	ds_bpermute_b32 v27, v21, v26
	ds_bpermute_b32 v29, v21, v25
	;; [unrolled: 1-line block ×3, first 2 shown]
	s_waitcnt lgkmcnt(0)
	v_cmp_lt_f32_e64 s3, v26, v27
	v_cmpx_nlt_f32_e32 v26, v27
; %bb.11:                               ;   in Loop: Header=BB362_10 Depth=1
	v_cmp_eq_f32_e64 s0, v26, v27
	v_cmp_lt_i32_e64 s1, v28, v24
	s_delay_alu instid0(VALU_DEP_1) | instskip(SKIP_2) | instid1(SALU_CYCLE_1)
	s_and_b32 s0, s0, s1
	s_and_not1_b32 s1, s3, exec_lo
	s_and_b32 s0, s0, exec_lo
	s_or_b32 s3, s1, s0
; %bb.12:                               ;   in Loop: Header=BB362_10 Depth=1
	s_or_b32 exec_lo, exec_lo, s4
	s_and_saveexec_b32 s0, s3
; %bb.13:                               ;   in Loop: Header=BB362_10 Depth=1
	v_dual_mov_b32 v25, v29 :: v_dual_mov_b32 v26, v27
	v_mov_b32_e32 v24, v28
; %bb.14:                               ;   in Loop: Header=BB362_10 Depth=1
	s_or_b32 exec_lo, exec_lo, s0
	ds_bpermute_b32 v29, v22, v26
	ds_bpermute_b32 v27, v22, v25
	;; [unrolled: 1-line block ×3, first 2 shown]
	s_mov_b32 s4, exec_lo
	s_waitcnt lgkmcnt(2)
	v_cmp_lt_f32_e64 s3, v26, v29
	v_cmpx_nlt_f32_e32 v26, v29
	s_cbranch_execnz .LBB362_18
; %bb.15:                               ;   in Loop: Header=BB362_10 Depth=1
	s_or_b32 exec_lo, exec_lo, s4
	s_delay_alu instid0(VALU_DEP_2)
	s_and_saveexec_b32 s0, s3
	s_cbranch_execnz .LBB362_19
.LBB362_16:                             ;   in Loop: Header=BB362_10 Depth=1
	s_or_b32 exec_lo, exec_lo, s0
	s_and_saveexec_b32 s3, s2
	s_cbranch_execnz .LBB362_20
.LBB362_17:                             ;   in Loop: Header=BB362_10 Depth=1
	s_or_b32 exec_lo, exec_lo, s3
	s_add_i32 s6, s6, 1
	s_delay_alu instid0(SALU_CYCLE_1)
	s_cmp_ge_i32 s6, s8
	s_cbranch_scc1 .LBB362_9
	s_branch .LBB362_21
.LBB362_18:                             ;   in Loop: Header=BB362_10 Depth=1
	v_cmp_eq_f32_e64 s0, v26, v29
	s_waitcnt lgkmcnt(0)
	v_cmp_lt_i32_e64 s1, v28, v24
	s_delay_alu instid0(VALU_DEP_1) | instskip(SKIP_2) | instid1(SALU_CYCLE_1)
	s_and_b32 s0, s0, s1
	s_and_not1_b32 s1, s3, exec_lo
	s_and_b32 s0, s0, exec_lo
	s_or_b32 s3, s1, s0
	s_or_b32 exec_lo, exec_lo, s4
	s_and_saveexec_b32 s0, s3
	s_cbranch_execz .LBB362_16
.LBB362_19:                             ;   in Loop: Header=BB362_10 Depth=1
	s_waitcnt lgkmcnt(0)
	v_dual_mov_b32 v24, v28 :: v_dual_mov_b32 v25, v27
	s_or_b32 exec_lo, exec_lo, s0
	s_and_saveexec_b32 s3, s2
	s_cbranch_execz .LBB362_17
.LBB362_20:                             ;   in Loop: Header=BB362_10 Depth=1
	s_delay_alu instid0(VALU_DEP_1)
	v_add_f32_e32 v34, v19, v25
	v_add_nc_u32_e32 v26, s6, v20
	v_subrev_nc_u32_e32 v30, s9, v24
	v_cmp_le_i32_e64 s0, s9, v24
	v_cmp_gt_i32_e64 s1, s10, v24
	v_cndmask_b32_e32 v19, v19, v34, vcc_lo
	s_waitcnt lgkmcnt(1)
	v_ashrrev_i32_e32 v27, 31, v26
	v_ashrrev_i32_e32 v31, 31, v30
	s_and_b32 s0, s0, s1
	s_waitcnt lgkmcnt(0)
	s_delay_alu instid0(VALU_DEP_2) | instskip(SKIP_2) | instid1(SALU_CYCLE_1)
	v_lshlrev_b64 v[28:29], 2, v[26:27]
	v_lshlrev_b64 v[26:27], 3, v[26:27]
	s_and_b32 s0, s19, s0
	v_cndmask_b32_e64 v31, 0, v31, s0
	v_cndmask_b32_e64 v30, 32, v30, s0
	s_delay_alu instid0(VALU_DEP_4) | instskip(NEXT) | instid1(VALU_DEP_1)
	v_add_co_u32 v32, s0, s16, v28
	v_add_co_ci_u32_e64 v33, s0, s17, v29, s0
	v_add_co_u32 v26, s0, s12, v26
	s_delay_alu instid0(VALU_DEP_1) | instskip(SKIP_1) | instid1(VALU_DEP_1)
	v_add_co_ci_u32_e64 v27, s0, s13, v27, s0
	v_add_co_u32 v28, s0, s14, v28
	v_add_co_ci_u32_e64 v29, s0, s15, v29, s0
	global_store_b32 v[32:33], v25, off
	global_store_b64 v[26:27], v[30:31], off
	global_store_b32 v[28:29], v23, off
	s_or_b32 exec_lo, exec_lo, s3
	s_add_i32 s6, s6, 1
	s_delay_alu instid0(SALU_CYCLE_1)
	s_cmp_ge_i32 s6, s8
	s_cbranch_scc1 .LBB362_9
.LBB362_21:                             ;   in Loop: Header=BB362_10 Depth=1
	v_ashrrev_i32_e32 v26, 31, v24
	s_mov_b32 s1, exec_lo
	s_delay_alu instid0(VALU_DEP_1) | instskip(NEXT) | instid1(VALU_DEP_1)
	v_lshrrev_b32_e32 v25, 29, v26
	v_add_nc_u32_e32 v25, v24, v25
	s_delay_alu instid0(VALU_DEP_1) | instskip(SKIP_1) | instid1(VALU_DEP_1)
	v_ashrrev_i32_e32 v25, 3, v25
	s_waitcnt lgkmcnt(1)
	v_lshrrev_b32_e32 v27, 30, v25
	s_delay_alu instid0(VALU_DEP_1) | instskip(NEXT) | instid1(VALU_DEP_1)
	v_add_nc_u32_e32 v27, v25, v27
	v_and_b32_e32 v27, -4, v27
	s_delay_alu instid0(VALU_DEP_1) | instskip(NEXT) | instid1(VALU_DEP_1)
	v_sub_nc_u32_e32 v27, v25, v27
	v_cmpx_eq_u32_e64 v17, v27
	s_cbranch_execz .LBB362_8
; %bb.22:                               ;   in Loop: Header=BB362_10 Depth=1
	v_lshrrev_b32_e32 v26, 27, v26
	v_lshlrev_b32_e32 v25, 3, v25
	s_delay_alu instid0(VALU_DEP_2) | instskip(NEXT) | instid1(VALU_DEP_2)
	v_add_nc_u32_e32 v26, v24, v26
	v_sub_nc_u32_e32 v24, v24, v25
	s_delay_alu instid0(VALU_DEP_2) | instskip(NEXT) | instid1(VALU_DEP_1)
	v_ashrrev_i32_e32 v25, 5, v26
	v_lshl_add_u32 v24, v25, 3, v24
	s_delay_alu instid0(VALU_DEP_1) | instskip(NEXT) | instid1(VALU_DEP_1)
	v_cmp_ne_u32_e64 s0, 7, v24
	v_cndmask_b32_e64 v15, 0xc61c4000, v15, s0
	v_cmp_ne_u32_e64 s0, 6, v24
	s_delay_alu instid0(VALU_DEP_1) | instskip(SKIP_1) | instid1(VALU_DEP_1)
	v_cndmask_b32_e64 v14, 0xc61c4000, v14, s0
	v_cmp_ne_u32_e64 s0, 5, v24
	v_cndmask_b32_e64 v13, 0xc61c4000, v13, s0
	v_cmp_ne_u32_e64 s0, 4, v24
	s_delay_alu instid0(VALU_DEP_1) | instskip(SKIP_1) | instid1(VALU_DEP_1)
	v_cndmask_b32_e64 v12, 0xc61c4000, v12, s0
	;; [unrolled: 5-line block ×3, first 2 shown]
	v_cmp_ne_u32_e64 s0, 1, v24
	v_cndmask_b32_e64 v9, 0xc61c4000, v9, s0
	v_cmp_ne_u32_e64 s0, 0, v24
	s_delay_alu instid0(VALU_DEP_1)
	v_cndmask_b32_e64 v8, 0xc61c4000, v8, s0
	s_branch .LBB362_8
.LBB362_23:
                                        ; implicit-def: $vgpr8_vgpr9_vgpr10_vgpr11_vgpr12_vgpr13_vgpr14_vgpr15
	s_and_not1_b32 vcc_lo, exec_lo, s9
	s_cbranch_vccz .LBB362_5
	s_branch .LBB362_6
.LBB362_24:
	v_mov_b32_e32 v19, 0
.LBB362_25:
	v_cmp_eq_u32_e64 s0, 0, v17
	s_delay_alu instid0(VALU_DEP_1) | instskip(NEXT) | instid1(SALU_CYCLE_1)
	s_and_b32 s0, s0, vcc_lo
	s_and_b32 exec_lo, exec_lo, s0
	s_cbranch_execz .LBB362_29
; %bb.26:
	s_and_not1_b32 vcc_lo, exec_lo, s5
	s_cbranch_vccnz .LBB362_29
; %bb.27:
	v_mul_lo_u32 v0, v16, s8
	v_cmp_lt_f32_e32 vcc_lo, 0, v19
	v_cndmask_b32_e32 v2, 1.0, v19, vcc_lo
	s_delay_alu instid0(VALU_DEP_3) | instskip(NEXT) | instid1(VALU_DEP_1)
	v_ashrrev_i32_e32 v1, 31, v0
	v_lshlrev_b64 v[0:1], 2, v[0:1]
	s_delay_alu instid0(VALU_DEP_1) | instskip(NEXT) | instid1(VALU_DEP_2)
	v_add_co_u32 v0, vcc_lo, s16, v0
	v_add_co_ci_u32_e32 v1, vcc_lo, s17, v1, vcc_lo
	.p2align	6
.LBB362_28:                             ; =>This Inner Loop Header: Depth=1
	global_load_b32 v3, v[0:1], off
	s_add_i32 s8, s8, -1
	s_delay_alu instid0(SALU_CYCLE_1) | instskip(SKIP_3) | instid1(VALU_DEP_2)
	s_cmp_lg_u32 s8, 0
	s_waitcnt vmcnt(0)
	v_div_scale_f32 v4, null, v2, v2, v3
	v_div_scale_f32 v7, vcc_lo, v3, v2, v3
	v_rcp_f32_e32 v5, v4
	s_waitcnt_depctr 0xfff
	v_fma_f32 v6, -v4, v5, 1.0
	s_delay_alu instid0(VALU_DEP_1) | instskip(NEXT) | instid1(VALU_DEP_1)
	v_fmac_f32_e32 v5, v6, v5
	v_mul_f32_e32 v6, v7, v5
	s_delay_alu instid0(VALU_DEP_1) | instskip(NEXT) | instid1(VALU_DEP_1)
	v_fma_f32 v8, -v4, v6, v7
	v_fmac_f32_e32 v6, v8, v5
	s_delay_alu instid0(VALU_DEP_1) | instskip(NEXT) | instid1(VALU_DEP_1)
	v_fma_f32 v4, -v4, v6, v7
	v_div_fmas_f32 v4, v4, v5, v6
	s_delay_alu instid0(VALU_DEP_1)
	v_div_fixup_f32 v3, v4, v2, v3
	global_store_b32 v[0:1], v3, off
	v_add_co_u32 v0, vcc_lo, v0, 4
	v_add_co_ci_u32_e32 v1, vcc_lo, 0, v1, vcc_lo
	s_cbranch_scc1 .LBB362_28
.LBB362_29:
	s_nop 0
	s_sendmsg sendmsg(MSG_DEALLOC_VGPRS)
	s_endpgm
	.section	.rodata,"a",@progbits
	.p2align	6, 0x0
	.amdhsa_kernel _ZN4vllm3moe10topkGatingILi8ELi32ELi4ELi16ELi32El14__hip_bfloat16LNS0_11ScoringFuncE1EEEvPKT5_PKbPfiPT4_PiiiibPKf
		.amdhsa_group_segment_fixed_size 0
		.amdhsa_private_segment_fixed_size 0
		.amdhsa_kernarg_size 72
		.amdhsa_user_sgpr_count 15
		.amdhsa_user_sgpr_dispatch_ptr 0
		.amdhsa_user_sgpr_queue_ptr 0
		.amdhsa_user_sgpr_kernarg_segment_ptr 1
		.amdhsa_user_sgpr_dispatch_id 0
		.amdhsa_user_sgpr_private_segment_size 0
		.amdhsa_wavefront_size32 1
		.amdhsa_uses_dynamic_stack 0
		.amdhsa_enable_private_segment 0
		.amdhsa_system_sgpr_workgroup_id_x 1
		.amdhsa_system_sgpr_workgroup_id_y 0
		.amdhsa_system_sgpr_workgroup_id_z 0
		.amdhsa_system_sgpr_workgroup_info 0
		.amdhsa_system_vgpr_workitem_id 1
		.amdhsa_next_free_vgpr 51
		.amdhsa_next_free_sgpr 20
		.amdhsa_reserve_vcc 1
		.amdhsa_float_round_mode_32 0
		.amdhsa_float_round_mode_16_64 0
		.amdhsa_float_denorm_mode_32 3
		.amdhsa_float_denorm_mode_16_64 3
		.amdhsa_dx10_clamp 1
		.amdhsa_ieee_mode 1
		.amdhsa_fp16_overflow 0
		.amdhsa_workgroup_processor_mode 1
		.amdhsa_memory_ordered 1
		.amdhsa_forward_progress 0
		.amdhsa_shared_vgpr_count 0
		.amdhsa_exception_fp_ieee_invalid_op 0
		.amdhsa_exception_fp_denorm_src 0
		.amdhsa_exception_fp_ieee_div_zero 0
		.amdhsa_exception_fp_ieee_overflow 0
		.amdhsa_exception_fp_ieee_underflow 0
		.amdhsa_exception_fp_ieee_inexact 0
		.amdhsa_exception_int_div_zero 0
	.end_amdhsa_kernel
	.section	.text._ZN4vllm3moe10topkGatingILi8ELi32ELi4ELi16ELi32El14__hip_bfloat16LNS0_11ScoringFuncE1EEEvPKT5_PKbPfiPT4_PiiiibPKf,"axG",@progbits,_ZN4vllm3moe10topkGatingILi8ELi32ELi4ELi16ELi32El14__hip_bfloat16LNS0_11ScoringFuncE1EEEvPKT5_PKbPfiPT4_PiiiibPKf,comdat
.Lfunc_end362:
	.size	_ZN4vllm3moe10topkGatingILi8ELi32ELi4ELi16ELi32El14__hip_bfloat16LNS0_11ScoringFuncE1EEEvPKT5_PKbPfiPT4_PiiiibPKf, .Lfunc_end362-_ZN4vllm3moe10topkGatingILi8ELi32ELi4ELi16ELi32El14__hip_bfloat16LNS0_11ScoringFuncE1EEEvPKT5_PKbPfiPT4_PiiiibPKf
                                        ; -- End function
	.section	.AMDGPU.csdata,"",@progbits
; Kernel info:
; codeLenInByte = 2792
; NumSgprs: 22
; NumVgprs: 51
; ScratchSize: 0
; MemoryBound: 0
; FloatMode: 240
; IeeeMode: 1
; LDSByteSize: 0 bytes/workgroup (compile time only)
; SGPRBlocks: 2
; VGPRBlocks: 6
; NumSGPRsForWavesPerEU: 22
; NumVGPRsForWavesPerEU: 51
; Occupancy: 16
; WaveLimiterHint : 0
; COMPUTE_PGM_RSRC2:SCRATCH_EN: 0
; COMPUTE_PGM_RSRC2:USER_SGPR: 15
; COMPUTE_PGM_RSRC2:TRAP_HANDLER: 0
; COMPUTE_PGM_RSRC2:TGID_X_EN: 1
; COMPUTE_PGM_RSRC2:TGID_Y_EN: 0
; COMPUTE_PGM_RSRC2:TGID_Z_EN: 0
; COMPUTE_PGM_RSRC2:TIDIG_COMP_CNT: 1
	.section	.text._ZN4vllm3moe10topkGatingILi8ELi64ELi4ELi16ELi64El14__hip_bfloat16LNS0_11ScoringFuncE1EEEvPKT5_PKbPfiPT4_PiiiibPKf,"axG",@progbits,_ZN4vllm3moe10topkGatingILi8ELi64ELi4ELi16ELi64El14__hip_bfloat16LNS0_11ScoringFuncE1EEEvPKT5_PKbPfiPT4_PiiiibPKf,comdat
	.protected	_ZN4vllm3moe10topkGatingILi8ELi64ELi4ELi16ELi64El14__hip_bfloat16LNS0_11ScoringFuncE1EEEvPKT5_PKbPfiPT4_PiiiibPKf ; -- Begin function _ZN4vllm3moe10topkGatingILi8ELi64ELi4ELi16ELi64El14__hip_bfloat16LNS0_11ScoringFuncE1EEEvPKT5_PKbPfiPT4_PiiiibPKf
	.globl	_ZN4vllm3moe10topkGatingILi8ELi64ELi4ELi16ELi64El14__hip_bfloat16LNS0_11ScoringFuncE1EEEvPKT5_PKbPfiPT4_PiiiibPKf
	.p2align	8
	.type	_ZN4vllm3moe10topkGatingILi8ELi64ELi4ELi16ELi64El14__hip_bfloat16LNS0_11ScoringFuncE1EEEvPKT5_PKbPfiPT4_PiiiibPKf,@function
_ZN4vllm3moe10topkGatingILi8ELi64ELi4ELi16ELi64El14__hip_bfloat16LNS0_11ScoringFuncE1EEEvPKT5_PKbPfiPT4_PiiiibPKf: ; @_ZN4vllm3moe10topkGatingILi8ELi64ELi4ELi16ELi64El14__hip_bfloat16LNS0_11ScoringFuncE1EEEvPKT5_PKbPfiPT4_PiiiibPKf
; %bb.0:
	s_load_b32 s18, s[0:1], 0x18
	v_bfe_u32 v1, v0, 10, 10
	v_and_b32_e32 v0, 0x3ff, v0
	s_lshl_b32 s2, s15, 5
	s_delay_alu instid0(VALU_DEP_2) | instskip(NEXT) | instid1(VALU_DEP_2)
	v_lshlrev_b32_e32 v1, 3, v1
	v_lshrrev_b32_e32 v2, 3, v0
	s_delay_alu instid0(VALU_DEP_1) | instskip(SKIP_2) | instid1(VALU_DEP_1)
	v_add3_u32 v16, s2, v1, v2
	s_mov_b32 s2, exec_lo
	s_waitcnt lgkmcnt(0)
	v_cmpx_gt_i32_e64 s18, v16
	s_cbranch_execz .LBB363_33
; %bb.1:
	s_clause 0x1
	s_load_b128 s[4:7], s[0:1], 0x0
	s_load_b64 s[16:17], s[0:1], 0x10
	s_mov_b32 s9, -1
	s_mov_b32 s19, -1
	s_waitcnt lgkmcnt(0)
	s_cmp_eq_u64 s[6:7], 0
	s_cbranch_scc1 .LBB363_3
; %bb.2:
	v_ashrrev_i32_e32 v2, 31, v16
	v_add_co_u32 v1, vcc_lo, s6, v16
	s_delay_alu instid0(VALU_DEP_2) | instskip(SKIP_3) | instid1(VALU_DEP_1)
	v_add_co_ci_u32_e32 v2, vcc_lo, s7, v2, vcc_lo
	global_load_u8 v1, v[1:2], off
	s_waitcnt vmcnt(0)
	v_and_b32_e32 v1, 1, v1
	v_cmp_eq_u32_e32 vcc_lo, 1, v1
	s_xor_b32 s2, vcc_lo, -1
	s_delay_alu instid0(SALU_CYCLE_1)
	s_or_not1_b32 s19, s2, exec_lo
.LBB363_3:
	v_lshlrev_b32_e32 v1, 6, v16
	v_and_b32_e32 v17, 7, v0
	s_load_b64 s[10:11], s[0:1], 0x40
	s_delay_alu instid0(VALU_DEP_2) | instskip(NEXT) | instid1(VALU_DEP_1)
	v_ashrrev_i32_e32 v2, 31, v1
	v_lshlrev_b64 v[0:1], 1, v[1:2]
	s_delay_alu instid0(VALU_DEP_3) | instskip(NEXT) | instid1(VALU_DEP_2)
	v_lshlrev_b32_e32 v2, 4, v17
	v_add_co_u32 v0, vcc_lo, s4, v0
	s_delay_alu instid0(VALU_DEP_3) | instskip(NEXT) | instid1(VALU_DEP_2)
	v_add_co_ci_u32_e32 v1, vcc_lo, s5, v1, vcc_lo
	v_add_co_u32 v0, vcc_lo, v0, v2
	s_delay_alu instid0(VALU_DEP_2)
	v_add_co_ci_u32_e32 v1, vcc_lo, 0, v1, vcc_lo
	s_waitcnt lgkmcnt(0)
	s_cmp_eq_u64 s[10:11], 0
	global_load_b128 v[0:3], v[0:1], off
	s_waitcnt vmcnt(0)
	v_lshlrev_b32_e32 v5, 16, v1
	s_delay_alu instid0(VALU_DEP_1) | instskip(NEXT) | instid1(VALU_DEP_1)
	v_dual_mul_f32 v5, 0xbfb8aa3b, v5 :: v_dual_lshlrev_b32 v4, 16, v0
	v_mul_f32_e32 v4, 0xbfb8aa3b, v4
	s_delay_alu instid0(VALU_DEP_2) | instskip(NEXT) | instid1(VALU_DEP_1)
	v_exp_f32_e32 v5, v5
	v_exp_f32_e32 v4, v4
	v_and_b32_e32 v1, 0xffff0000, v1
	s_waitcnt_depctr 0xfff
	v_dual_add_f32 v5, 1.0, v5 :: v_dual_and_b32 v0, 0xffff0000, v0
	v_add_f32_e32 v4, 1.0, v4
	v_dual_mul_f32 v1, 0xbfb8aa3b, v1 :: v_dual_lshlrev_b32 v6, 16, v2
	s_delay_alu instid0(VALU_DEP_3) | instskip(NEXT) | instid1(VALU_DEP_4)
	v_dual_mul_f32 v0, 0xbfb8aa3b, v0 :: v_dual_lshlrev_b32 v7, 16, v3
	v_div_scale_f32 v12, null, v5, v5, 1.0
	s_delay_alu instid0(VALU_DEP_3) | instskip(SKIP_1) | instid1(VALU_DEP_3)
	v_exp_f32_e32 v1, v1
	v_and_b32_e32 v2, 0xffff0000, v2
	v_exp_f32_e32 v0, v0
	v_and_b32_e32 v3, 0xffff0000, v3
	v_dual_mul_f32 v6, 0xbfb8aa3b, v6 :: v_dual_mul_f32 v7, 0xbfb8aa3b, v7
	v_rcp_f32_e32 v28, v12
	v_div_scale_f32 v13, s3, 1.0, v5, 1.0
	s_delay_alu instid0(VALU_DEP_2) | instskip(SKIP_1) | instid1(TRANS32_DEP_3)
	v_exp_f32_e32 v6, v6
	v_dual_add_f32 v1, 1.0, v1 :: v_dual_mul_f32 v2, 0xbfb8aa3b, v2
	v_dual_add_f32 v0, 1.0, v0 :: v_dual_mul_f32 v3, 0xbfb8aa3b, v3
	v_lshlrev_b32_e32 v18, 3, v17
	v_exp_f32_e32 v7, v7
	s_delay_alu instid0(VALU_DEP_3) | instskip(NEXT) | instid1(VALU_DEP_2)
	v_exp_f32_e32 v2, v2
	v_div_scale_f32 v10, null, v0, v0, 1.0
	v_exp_f32_e32 v3, v3
	v_add_f32_e32 v6, 1.0, v6
	v_div_scale_f32 v14, null, v1, v1, 1.0
	s_delay_alu instid0(VALU_DEP_3) | instskip(SKIP_1) | instid1(TRANS32_DEP_3)
	v_rcp_f32_e32 v27, v10
	v_fma_f32 v37, -v12, v28, 1.0
	v_dual_add_f32 v7, 1.0, v7 :: v_dual_add_f32 v8, 1.0, v2
	v_div_scale_f32 v2, null, v4, v4, 1.0
	s_delay_alu instid0(TRANS32_DEP_2) | instskip(SKIP_1) | instid1(VALU_DEP_4)
	v_add_f32_e32 v9, 1.0, v3
	v_div_scale_f32 v19, null, v6, v6, 1.0
	v_div_scale_f32 v21, null, v8, v8, 1.0
	s_delay_alu instid0(VALU_DEP_4) | instskip(NEXT) | instid1(VALU_DEP_2)
	v_rcp_f32_e32 v26, v2
	v_rcp_f32_e32 v30, v19
	;; [unrolled: 1-line block ×3, first 2 shown]
	s_delay_alu instid0(VALU_DEP_1)
	v_rcp_f32_e32 v31, v21
	v_div_scale_f32 v23, null, v7, v7, 1.0
	v_fma_f32 v36, -v10, v27, 1.0
	v_div_scale_f32 v3, vcc_lo, 1.0, v4, 1.0
	v_div_scale_f32 v11, s2, 1.0, v0, 1.0
	v_fma_f32 v35, -v2, v26, 1.0
	s_delay_alu instid0(TRANS32_DEP_3) | instskip(NEXT) | instid1(TRANS32_DEP_1)
	v_fma_f32 v39, -v19, v30, 1.0
	v_fma_f32 v40, -v21, v31, 1.0
	s_delay_alu instid0(TRANS32_DEP_2) | instskip(SKIP_3) | instid1(VALU_DEP_3)
	v_fma_f32 v38, -v14, v29, 1.0
	v_div_scale_f32 v25, null, v9, v9, 1.0
	v_dual_fmac_f32 v26, v35, v26 :: v_dual_fmac_f32 v27, v36, v27
	v_rcp_f32_e32 v32, v23
	v_dual_fmac_f32 v28, v37, v28 :: v_dual_fmac_f32 v29, v38, v29
	v_div_scale_f32 v22, s6, 1.0, v8, 1.0
	v_dual_fmac_f32 v30, v39, v30 :: v_dual_fmac_f32 v31, v40, v31
	v_mul_f32_e32 v35, v3, v26
	v_div_scale_f32 v15, s4, 1.0, v1, 1.0
	v_rcp_f32_e32 v33, v25
	s_delay_alu instid0(VALU_DEP_3)
	v_mul_f32_e32 v40, v22, v31
	v_dual_mul_f32 v36, v11, v27 :: v_dual_mul_f32 v37, v13, v28
	v_div_scale_f32 v20, s5, 1.0, v6, 1.0
	v_fma_f32 v43, -v2, v35, v3
	v_mul_f32_e32 v38, v15, v29
	v_fma_f32 v41, -v23, v32, 1.0
	s_delay_alu instid0(VALU_DEP_4)
	v_mul_f32_e32 v39, v20, v30
	v_fma_f32 v44, -v10, v36, v11
	v_fma_f32 v45, -v12, v37, v13
	v_fmac_f32_e32 v35, v43, v26
	v_fma_f32 v46, -v14, v38, v15
	v_div_scale_f32 v24, s7, 1.0, v7, 1.0
	v_fmac_f32_e32 v36, v44, v27
	v_fma_f32 v42, -v25, v33, 1.0
	v_fmac_f32_e32 v32, v41, v32
	v_fma_f32 v47, -v19, v39, v20
	v_dual_fmac_f32 v37, v45, v28 :: v_dual_fmac_f32 v38, v46, v29
	v_fma_f32 v48, -v21, v40, v22
	v_fma_f32 v2, -v2, v35, v3
	v_div_scale_f32 v34, s8, 1.0, v9, 1.0
	v_fmac_f32_e32 v33, v42, v33
	v_mul_f32_e32 v41, v24, v32
	v_fma_f32 v3, -v10, v36, v11
	v_dual_fmac_f32 v39, v47, v30 :: v_dual_fmac_f32 v40, v48, v31
	v_fma_f32 v10, -v12, v37, v13
	v_div_fmas_f32 v2, v2, v26, v35
	s_mov_b32 vcc_lo, s2
	v_fma_f32 v11, -v14, v38, v15
	v_mul_f32_e32 v42, v34, v33
	v_fma_f32 v49, -v23, v41, v24
	v_div_fmas_f32 v3, v3, v27, v36
	s_mov_b32 vcc_lo, s3
	v_fma_f32 v12, -v19, v39, v20
	v_div_fmas_f32 v10, v10, v28, v37
	s_mov_b32 vcc_lo, s4
	v_fma_f32 v13, -v21, v40, v22
	v_div_fixup_f32 v2, v2, v4, 1.0
	v_div_fmas_f32 v4, v11, v29, v38
	s_mov_b32 vcc_lo, s5
	v_fma_f32 v50, -v25, v42, v34
	v_fmac_f32_e32 v41, v49, v32
	v_div_fmas_f32 v11, v12, v30, v39
	s_mov_b32 vcc_lo, s6
	v_div_fixup_f32 v5, v10, v5, 1.0
	v_fmac_f32_e32 v42, v50, v33
	v_div_fmas_f32 v10, v13, v31, v40
	v_cmp_class_f32_e64 vcc_lo, v2, 0x1f8
	v_fma_f32 v14, -v23, v41, v24
	v_div_fixup_f32 v3, v3, v0, 1.0
	v_fma_f32 v15, -v25, v42, v34
	v_div_fixup_f32 v4, v4, v1, 1.0
	v_cndmask_b32_e32 v0, 0, v2, vcc_lo
	s_mov_b32 vcc_lo, s7
	v_div_fixup_f32 v6, v11, v6, 1.0
	v_div_fmas_f32 v12, v14, v32, v41
	v_cmp_class_f32_e64 vcc_lo, v3, 0x1f8
	s_delay_alu instid0(VALU_DEP_2)
	v_div_fixup_f32 v7, v12, v7, 1.0
	v_cndmask_b32_e32 v1, 0, v3, vcc_lo
	s_mov_b32 vcc_lo, s8
	v_div_fmas_f32 v11, v15, v33, v42
	v_cmp_class_f32_e64 vcc_lo, v5, 0x1f8
	v_cndmask_b32_e32 v2, 0, v5, vcc_lo
	v_cmp_class_f32_e64 vcc_lo, v4, 0x1f8
	v_div_fixup_f32 v5, v10, v8, 1.0
	v_div_fixup_f32 v8, v11, v9, 1.0
	v_cndmask_b32_e32 v3, 0, v4, vcc_lo
	v_cmp_class_f32_e64 vcc_lo, v6, 0x1f8
	v_cndmask_b32_e32 v4, 0, v6, vcc_lo
	v_cmp_class_f32_e64 vcc_lo, v5, 0x1f8
	;; [unrolled: 2-line block ×4, first 2 shown]
	v_cndmask_b32_e32 v7, 0, v8, vcc_lo
	s_cbranch_scc1 .LBB363_27
; %bb.4:
	v_lshlrev_b32_e32 v12, 2, v18
	s_clause 0x1
	global_load_b128 v[8:11], v12, s[10:11]
	global_load_b128 v[12:15], v12, s[10:11] offset:16
	s_waitcnt vmcnt(1)
	v_dual_add_f32 v9, v9, v1 :: v_dual_add_f32 v8, v8, v0
	v_dual_add_f32 v11, v11, v3 :: v_dual_add_f32 v10, v10, v2
	s_waitcnt vmcnt(0)
	v_dual_add_f32 v13, v13, v5 :: v_dual_add_f32 v12, v12, v4
	v_dual_add_f32 v15, v15, v7 :: v_dual_add_f32 v14, v14, v6
	s_cbranch_execnz .LBB363_6
.LBB363_5:
	v_dual_mov_b32 v15, v7 :: v_dual_mov_b32 v14, v6
	v_dual_mov_b32 v13, v5 :: v_dual_mov_b32 v12, v4
	;; [unrolled: 1-line block ×4, first 2 shown]
.LBB363_6:
	s_load_b128 s[8:11], s[0:1], 0x30
	v_cmp_eq_u32_e64 s2, 0, v17
	s_mov_b32 s6, 0
	s_waitcnt lgkmcnt(0)
	s_bitcmp1_b32 s11, 0
	s_cselect_b32 vcc_lo, -1, 0
	s_cmp_gt_i32 s8, 0
	s_cselect_b32 s5, -1, 0
	s_cmp_lt_i32 s8, 1
	s_cbranch_scc1 .LBB363_28
; %bb.7:
	v_mbcnt_lo_u32_b32 v19, -1, 0
	s_load_b128 s[12:15], s[0:1], 0x20
	v_mov_b32_e32 v24, v16
	s_delay_alu instid0(VALU_DEP_2) | instskip(SKIP_3) | instid1(VALU_DEP_4)
	v_and_b32_e32 v20, 24, v19
	v_xor_b32_e32 v21, 4, v19
	v_xor_b32_e32 v22, 2, v19
	;; [unrolled: 1-line block ×3, first 2 shown]
	v_add_nc_u32_e32 v20, 8, v20
	s_delay_alu instid0(VALU_DEP_1) | instskip(NEXT) | instid1(VALU_DEP_1)
	v_cmp_lt_i32_e64 s0, v21, v20
	v_cndmask_b32_e64 v21, v19, v21, s0
	v_cmp_lt_i32_e64 s0, v22, v20
	s_delay_alu instid0(VALU_DEP_2) | instskip(NEXT) | instid1(VALU_DEP_2)
	v_lshlrev_b32_e32 v21, 2, v21
	v_cndmask_b32_e64 v22, v19, v22, s0
	v_cmp_lt_i32_e64 s0, v23, v20
	v_mul_lo_u32 v20, v16, s8
	s_delay_alu instid0(VALU_DEP_3) | instskip(NEXT) | instid1(VALU_DEP_3)
	v_lshlrev_b32_e32 v22, 2, v22
	v_cndmask_b32_e64 v23, v19, v23, s0
	v_mov_b32_e32 v19, 0
	s_delay_alu instid0(VALU_DEP_2)
	v_lshlrev_b32_e32 v23, 2, v23
	s_branch .LBB363_10
.LBB363_8:                              ;   in Loop: Header=BB363_10 Depth=1
	s_or_b32 exec_lo, exec_lo, s1
.LBB363_9:                              ;   in Loop: Header=BB363_10 Depth=1
	v_add_nc_u32_e32 v24, s18, v24
	s_cmp_eq_u32 s8, s6
	s_cbranch_scc1 .LBB363_29
.LBB363_10:                             ; =>This Inner Loop Header: Depth=1
	v_cmp_gt_f32_e64 s0, v9, v8
	s_delay_alu instid0(VALU_DEP_1) | instskip(SKIP_2) | instid1(VALU_DEP_3)
	v_cndmask_b32_e64 v26, v8, v9, s0
	v_cndmask_b32_e64 v25, 0, 1, s0
	;; [unrolled: 1-line block ×3, first 2 shown]
	v_cmp_gt_f32_e64 s1, v10, v26
	s_delay_alu instid0(VALU_DEP_1) | instskip(NEXT) | instid1(VALU_DEP_4)
	v_cndmask_b32_e64 v26, v26, v10, s1
	v_cndmask_b32_e64 v25, v25, 2, s1
	s_delay_alu instid0(VALU_DEP_4) | instskip(NEXT) | instid1(VALU_DEP_3)
	v_cndmask_b32_e64 v27, v27, v2, s1
	v_cmp_gt_f32_e64 s3, v11, v26
	s_delay_alu instid0(VALU_DEP_1) | instskip(NEXT) | instid1(VALU_DEP_4)
	v_cndmask_b32_e64 v26, v26, v11, s3
	v_cndmask_b32_e64 v25, v25, 3, s3
	s_delay_alu instid0(VALU_DEP_4) | instskip(NEXT) | instid1(VALU_DEP_3)
	v_cndmask_b32_e64 v27, v27, v3, s3
	v_cmp_gt_f32_e64 s4, v12, v26
	s_delay_alu instid0(VALU_DEP_1) | instskip(NEXT) | instid1(VALU_DEP_4)
	v_cndmask_b32_e64 v26, v26, v12, s4
	v_cndmask_b32_e64 v25, v25, 4, s4
	s_delay_alu instid0(VALU_DEP_4) | instskip(SKIP_1) | instid1(VALU_DEP_3)
	v_cndmask_b32_e64 v27, v27, v4, s4
	s_mov_b32 s4, exec_lo
	v_cmp_gt_f32_e64 s0, v13, v26
	s_delay_alu instid0(VALU_DEP_1) | instskip(SKIP_2) | instid1(VALU_DEP_3)
	v_cndmask_b32_e64 v26, v26, v13, s0
	v_cndmask_b32_e64 v25, v25, 5, s0
	;; [unrolled: 1-line block ×3, first 2 shown]
	v_cmp_gt_f32_e64 s1, v14, v26
	s_delay_alu instid0(VALU_DEP_1) | instskip(NEXT) | instid1(VALU_DEP_4)
	v_cndmask_b32_e64 v26, v26, v14, s1
	v_cndmask_b32_e64 v25, v25, 6, s1
	s_waitcnt lgkmcnt(0)
	v_cndmask_b32_e64 v28, v27, v6, s1
	s_delay_alu instid0(VALU_DEP_3) | instskip(NEXT) | instid1(VALU_DEP_1)
	v_cmp_gt_f32_e64 s0, v15, v26
	v_cndmask_b32_e64 v25, v25, 7, s0
	v_cndmask_b32_e64 v27, v26, v15, s0
	s_delay_alu instid0(VALU_DEP_4) | instskip(NEXT) | instid1(VALU_DEP_3)
	v_cndmask_b32_e64 v26, v28, v7, s0
	v_or_b32_e32 v25, v18, v25
	ds_bpermute_b32 v28, v21, v27
	ds_bpermute_b32 v30, v21, v26
	;; [unrolled: 1-line block ×3, first 2 shown]
	s_waitcnt lgkmcnt(0)
	v_cmp_lt_f32_e64 s3, v27, v28
	v_cmpx_nlt_f32_e32 v27, v28
; %bb.11:                               ;   in Loop: Header=BB363_10 Depth=1
	v_cmp_eq_f32_e64 s0, v27, v28
	v_cmp_lt_i32_e64 s1, v29, v25
	s_delay_alu instid0(VALU_DEP_1) | instskip(SKIP_2) | instid1(SALU_CYCLE_1)
	s_and_b32 s0, s0, s1
	s_and_not1_b32 s1, s3, exec_lo
	s_and_b32 s0, s0, exec_lo
	s_or_b32 s3, s1, s0
; %bb.12:                               ;   in Loop: Header=BB363_10 Depth=1
	s_or_b32 exec_lo, exec_lo, s4
	s_and_saveexec_b32 s0, s3
; %bb.13:                               ;   in Loop: Header=BB363_10 Depth=1
	v_dual_mov_b32 v26, v30 :: v_dual_mov_b32 v27, v28
	v_mov_b32_e32 v25, v29
; %bb.14:                               ;   in Loop: Header=BB363_10 Depth=1
	s_or_b32 exec_lo, exec_lo, s0
	ds_bpermute_b32 v28, v22, v27
	ds_bpermute_b32 v30, v22, v26
	;; [unrolled: 1-line block ×3, first 2 shown]
	s_mov_b32 s4, exec_lo
	s_waitcnt lgkmcnt(2)
	v_cmp_lt_f32_e64 s3, v27, v28
	v_cmpx_nlt_f32_e32 v27, v28
	s_cbranch_execz .LBB363_16
; %bb.15:                               ;   in Loop: Header=BB363_10 Depth=1
	v_cmp_eq_f32_e64 s0, v27, v28
	s_waitcnt lgkmcnt(0)
	v_cmp_lt_i32_e64 s1, v29, v25
	s_delay_alu instid0(VALU_DEP_1) | instskip(SKIP_2) | instid1(SALU_CYCLE_1)
	s_and_b32 s0, s0, s1
	s_and_not1_b32 s1, s3, exec_lo
	s_and_b32 s0, s0, exec_lo
	s_or_b32 s3, s1, s0
.LBB363_16:                             ;   in Loop: Header=BB363_10 Depth=1
	s_or_b32 exec_lo, exec_lo, s4
	s_delay_alu instid0(VALU_DEP_2)
	s_and_saveexec_b32 s0, s3
	s_cbranch_execz .LBB363_18
; %bb.17:                               ;   in Loop: Header=BB363_10 Depth=1
	s_waitcnt lgkmcnt(1)
	v_dual_mov_b32 v26, v30 :: v_dual_mov_b32 v27, v28
	s_waitcnt lgkmcnt(0)
	v_mov_b32_e32 v25, v29
.LBB363_18:                             ;   in Loop: Header=BB363_10 Depth=1
	s_or_b32 exec_lo, exec_lo, s0
	s_waitcnt lgkmcnt(1)
	ds_bpermute_b32 v30, v23, v27
	ds_bpermute_b32 v28, v23, v26
	s_waitcnt lgkmcnt(2)
	ds_bpermute_b32 v29, v23, v25
	s_mov_b32 s4, exec_lo
	s_waitcnt lgkmcnt(2)
	v_cmp_lt_f32_e64 s3, v27, v30
	v_cmpx_nlt_f32_e32 v27, v30
	s_cbranch_execnz .LBB363_22
; %bb.19:                               ;   in Loop: Header=BB363_10 Depth=1
	s_or_b32 exec_lo, exec_lo, s4
	s_delay_alu instid0(VALU_DEP_2)
	s_and_saveexec_b32 s0, s3
	s_cbranch_execnz .LBB363_23
.LBB363_20:                             ;   in Loop: Header=BB363_10 Depth=1
	s_or_b32 exec_lo, exec_lo, s0
	s_and_saveexec_b32 s3, s2
	s_cbranch_execnz .LBB363_24
.LBB363_21:                             ;   in Loop: Header=BB363_10 Depth=1
	s_or_b32 exec_lo, exec_lo, s3
	s_add_i32 s6, s6, 1
	s_delay_alu instid0(SALU_CYCLE_1)
	s_cmp_ge_i32 s6, s8
	s_cbranch_scc1 .LBB363_9
	s_branch .LBB363_25
.LBB363_22:                             ;   in Loop: Header=BB363_10 Depth=1
	v_cmp_eq_f32_e64 s0, v27, v30
	s_waitcnt lgkmcnt(0)
	v_cmp_lt_i32_e64 s1, v29, v25
	s_delay_alu instid0(VALU_DEP_1) | instskip(SKIP_2) | instid1(SALU_CYCLE_1)
	s_and_b32 s0, s0, s1
	s_and_not1_b32 s1, s3, exec_lo
	s_and_b32 s0, s0, exec_lo
	s_or_b32 s3, s1, s0
	s_or_b32 exec_lo, exec_lo, s4
	s_and_saveexec_b32 s0, s3
	s_cbranch_execz .LBB363_20
.LBB363_23:                             ;   in Loop: Header=BB363_10 Depth=1
	s_waitcnt lgkmcnt(0)
	v_dual_mov_b32 v25, v29 :: v_dual_mov_b32 v26, v28
	s_or_b32 exec_lo, exec_lo, s0
	s_and_saveexec_b32 s3, s2
	s_cbranch_execz .LBB363_21
.LBB363_24:                             ;   in Loop: Header=BB363_10 Depth=1
	v_add_nc_u32_e32 v27, s6, v20
	v_subrev_nc_u32_e32 v31, s9, v25
	v_cmp_le_i32_e64 s0, s9, v25
	v_cmp_gt_i32_e64 s1, s10, v25
	v_add_f32_e32 v35, v19, v26
	s_waitcnt lgkmcnt(1)
	v_ashrrev_i32_e32 v28, 31, v27
	v_ashrrev_i32_e32 v32, 31, v31
	s_and_b32 s0, s0, s1
	v_cndmask_b32_e32 v19, v19, v35, vcc_lo
	s_waitcnt lgkmcnt(0)
	v_lshlrev_b64 v[29:30], 2, v[27:28]
	v_lshlrev_b64 v[27:28], 3, v[27:28]
	s_and_b32 s0, s19, s0
	s_delay_alu instid0(SALU_CYCLE_1) | instskip(SKIP_1) | instid1(VALU_DEP_4)
	v_cndmask_b32_e64 v32, 0, v32, s0
	v_cndmask_b32_e64 v31, 64, v31, s0
	v_add_co_u32 v33, s0, s16, v29
	s_delay_alu instid0(VALU_DEP_1) | instskip(SKIP_1) | instid1(VALU_DEP_1)
	v_add_co_ci_u32_e64 v34, s0, s17, v30, s0
	v_add_co_u32 v27, s0, s12, v27
	v_add_co_ci_u32_e64 v28, s0, s13, v28, s0
	v_add_co_u32 v29, s0, s14, v29
	s_delay_alu instid0(VALU_DEP_1)
	v_add_co_ci_u32_e64 v30, s0, s15, v30, s0
	global_store_b32 v[33:34], v26, off
	global_store_b64 v[27:28], v[31:32], off
	global_store_b32 v[29:30], v24, off
	s_or_b32 exec_lo, exec_lo, s3
	s_add_i32 s6, s6, 1
	s_delay_alu instid0(SALU_CYCLE_1)
	s_cmp_ge_i32 s6, s8
	s_cbranch_scc1 .LBB363_9
.LBB363_25:                             ;   in Loop: Header=BB363_10 Depth=1
	v_ashrrev_i32_e32 v27, 31, v25
	s_mov_b32 s1, exec_lo
	s_delay_alu instid0(VALU_DEP_1) | instskip(NEXT) | instid1(VALU_DEP_1)
	v_lshrrev_b32_e32 v26, 29, v27
	v_add_nc_u32_e32 v26, v25, v26
	s_delay_alu instid0(VALU_DEP_1) | instskip(SKIP_1) | instid1(VALU_DEP_1)
	v_ashrrev_i32_e32 v26, 3, v26
	s_waitcnt lgkmcnt(1)
	v_lshrrev_b32_e32 v28, 29, v26
	s_delay_alu instid0(VALU_DEP_1) | instskip(NEXT) | instid1(VALU_DEP_1)
	v_add_nc_u32_e32 v28, v26, v28
	v_and_b32_e32 v28, -8, v28
	s_delay_alu instid0(VALU_DEP_1) | instskip(NEXT) | instid1(VALU_DEP_1)
	v_sub_nc_u32_e32 v28, v26, v28
	v_cmpx_eq_u32_e64 v17, v28
	s_cbranch_execz .LBB363_8
; %bb.26:                               ;   in Loop: Header=BB363_10 Depth=1
	v_lshrrev_b32_e32 v27, 26, v27
	v_lshlrev_b32_e32 v26, 3, v26
	s_delay_alu instid0(VALU_DEP_2) | instskip(NEXT) | instid1(VALU_DEP_2)
	v_add_nc_u32_e32 v27, v25, v27
	v_sub_nc_u32_e32 v25, v25, v26
	s_delay_alu instid0(VALU_DEP_2) | instskip(NEXT) | instid1(VALU_DEP_1)
	v_ashrrev_i32_e32 v26, 6, v27
	v_lshl_add_u32 v25, v26, 3, v25
	s_delay_alu instid0(VALU_DEP_1) | instskip(NEXT) | instid1(VALU_DEP_1)
	v_cmp_ne_u32_e64 s0, 7, v25
	v_cndmask_b32_e64 v15, 0xc61c4000, v15, s0
	v_cmp_ne_u32_e64 s0, 6, v25
	s_delay_alu instid0(VALU_DEP_1) | instskip(SKIP_1) | instid1(VALU_DEP_1)
	v_cndmask_b32_e64 v14, 0xc61c4000, v14, s0
	v_cmp_ne_u32_e64 s0, 5, v25
	v_cndmask_b32_e64 v13, 0xc61c4000, v13, s0
	v_cmp_ne_u32_e64 s0, 4, v25
	s_delay_alu instid0(VALU_DEP_1) | instskip(SKIP_1) | instid1(VALU_DEP_1)
	v_cndmask_b32_e64 v12, 0xc61c4000, v12, s0
	;; [unrolled: 5-line block ×3, first 2 shown]
	v_cmp_ne_u32_e64 s0, 1, v25
	v_cndmask_b32_e64 v9, 0xc61c4000, v9, s0
	v_cmp_ne_u32_e64 s0, 0, v25
	s_delay_alu instid0(VALU_DEP_1)
	v_cndmask_b32_e64 v8, 0xc61c4000, v8, s0
	s_branch .LBB363_8
.LBB363_27:
                                        ; implicit-def: $vgpr8_vgpr9_vgpr10_vgpr11_vgpr12_vgpr13_vgpr14_vgpr15
	s_and_not1_b32 vcc_lo, exec_lo, s9
	s_cbranch_vccz .LBB363_5
	s_branch .LBB363_6
.LBB363_28:
	v_mov_b32_e32 v19, 0
.LBB363_29:
	v_cmp_eq_u32_e64 s0, 0, v17
	s_delay_alu instid0(VALU_DEP_1) | instskip(NEXT) | instid1(SALU_CYCLE_1)
	s_and_b32 s0, s0, vcc_lo
	s_and_b32 exec_lo, exec_lo, s0
	s_cbranch_execz .LBB363_33
; %bb.30:
	s_and_not1_b32 vcc_lo, exec_lo, s5
	s_cbranch_vccnz .LBB363_33
; %bb.31:
	v_mul_lo_u32 v0, v16, s8
	v_cmp_lt_f32_e32 vcc_lo, 0, v19
	v_cndmask_b32_e32 v2, 1.0, v19, vcc_lo
	s_delay_alu instid0(VALU_DEP_3) | instskip(NEXT) | instid1(VALU_DEP_1)
	v_ashrrev_i32_e32 v1, 31, v0
	v_lshlrev_b64 v[0:1], 2, v[0:1]
	s_delay_alu instid0(VALU_DEP_1) | instskip(NEXT) | instid1(VALU_DEP_2)
	v_add_co_u32 v0, vcc_lo, s16, v0
	v_add_co_ci_u32_e32 v1, vcc_lo, s17, v1, vcc_lo
	.p2align	6
.LBB363_32:                             ; =>This Inner Loop Header: Depth=1
	global_load_b32 v3, v[0:1], off
	s_add_i32 s8, s8, -1
	s_delay_alu instid0(SALU_CYCLE_1) | instskip(SKIP_3) | instid1(VALU_DEP_2)
	s_cmp_lg_u32 s8, 0
	s_waitcnt vmcnt(0)
	v_div_scale_f32 v4, null, v2, v2, v3
	v_div_scale_f32 v7, vcc_lo, v3, v2, v3
	v_rcp_f32_e32 v5, v4
	s_waitcnt_depctr 0xfff
	v_fma_f32 v6, -v4, v5, 1.0
	s_delay_alu instid0(VALU_DEP_1) | instskip(NEXT) | instid1(VALU_DEP_1)
	v_fmac_f32_e32 v5, v6, v5
	v_mul_f32_e32 v6, v7, v5
	s_delay_alu instid0(VALU_DEP_1) | instskip(NEXT) | instid1(VALU_DEP_1)
	v_fma_f32 v8, -v4, v6, v7
	v_fmac_f32_e32 v6, v8, v5
	s_delay_alu instid0(VALU_DEP_1) | instskip(NEXT) | instid1(VALU_DEP_1)
	v_fma_f32 v4, -v4, v6, v7
	v_div_fmas_f32 v4, v4, v5, v6
	s_delay_alu instid0(VALU_DEP_1)
	v_div_fixup_f32 v3, v4, v2, v3
	global_store_b32 v[0:1], v3, off
	v_add_co_u32 v0, vcc_lo, v0, 4
	v_add_co_ci_u32_e32 v1, vcc_lo, 0, v1, vcc_lo
	s_cbranch_scc1 .LBB363_32
.LBB363_33:
	s_nop 0
	s_sendmsg sendmsg(MSG_DEALLOC_VGPRS)
	s_endpgm
	.section	.rodata,"a",@progbits
	.p2align	6, 0x0
	.amdhsa_kernel _ZN4vllm3moe10topkGatingILi8ELi64ELi4ELi16ELi64El14__hip_bfloat16LNS0_11ScoringFuncE1EEEvPKT5_PKbPfiPT4_PiiiibPKf
		.amdhsa_group_segment_fixed_size 0
		.amdhsa_private_segment_fixed_size 0
		.amdhsa_kernarg_size 72
		.amdhsa_user_sgpr_count 15
		.amdhsa_user_sgpr_dispatch_ptr 0
		.amdhsa_user_sgpr_queue_ptr 0
		.amdhsa_user_sgpr_kernarg_segment_ptr 1
		.amdhsa_user_sgpr_dispatch_id 0
		.amdhsa_user_sgpr_private_segment_size 0
		.amdhsa_wavefront_size32 1
		.amdhsa_uses_dynamic_stack 0
		.amdhsa_enable_private_segment 0
		.amdhsa_system_sgpr_workgroup_id_x 1
		.amdhsa_system_sgpr_workgroup_id_y 0
		.amdhsa_system_sgpr_workgroup_id_z 0
		.amdhsa_system_sgpr_workgroup_info 0
		.amdhsa_system_vgpr_workitem_id 1
		.amdhsa_next_free_vgpr 51
		.amdhsa_next_free_sgpr 20
		.amdhsa_reserve_vcc 1
		.amdhsa_float_round_mode_32 0
		.amdhsa_float_round_mode_16_64 0
		.amdhsa_float_denorm_mode_32 3
		.amdhsa_float_denorm_mode_16_64 3
		.amdhsa_dx10_clamp 1
		.amdhsa_ieee_mode 1
		.amdhsa_fp16_overflow 0
		.amdhsa_workgroup_processor_mode 1
		.amdhsa_memory_ordered 1
		.amdhsa_forward_progress 0
		.amdhsa_shared_vgpr_count 0
		.amdhsa_exception_fp_ieee_invalid_op 0
		.amdhsa_exception_fp_denorm_src 0
		.amdhsa_exception_fp_ieee_div_zero 0
		.amdhsa_exception_fp_ieee_overflow 0
		.amdhsa_exception_fp_ieee_underflow 0
		.amdhsa_exception_fp_ieee_inexact 0
		.amdhsa_exception_int_div_zero 0
	.end_amdhsa_kernel
	.section	.text._ZN4vllm3moe10topkGatingILi8ELi64ELi4ELi16ELi64El14__hip_bfloat16LNS0_11ScoringFuncE1EEEvPKT5_PKbPfiPT4_PiiiibPKf,"axG",@progbits,_ZN4vllm3moe10topkGatingILi8ELi64ELi4ELi16ELi64El14__hip_bfloat16LNS0_11ScoringFuncE1EEEvPKT5_PKbPfiPT4_PiiiibPKf,comdat
.Lfunc_end363:
	.size	_ZN4vllm3moe10topkGatingILi8ELi64ELi4ELi16ELi64El14__hip_bfloat16LNS0_11ScoringFuncE1EEEvPKT5_PKbPfiPT4_PiiiibPKf, .Lfunc_end363-_ZN4vllm3moe10topkGatingILi8ELi64ELi4ELi16ELi64El14__hip_bfloat16LNS0_11ScoringFuncE1EEEvPKT5_PKbPfiPT4_PiiiibPKf
                                        ; -- End function
	.section	.AMDGPU.csdata,"",@progbits
; Kernel info:
; codeLenInByte = 2952
; NumSgprs: 22
; NumVgprs: 51
; ScratchSize: 0
; MemoryBound: 0
; FloatMode: 240
; IeeeMode: 1
; LDSByteSize: 0 bytes/workgroup (compile time only)
; SGPRBlocks: 2
; VGPRBlocks: 6
; NumSGPRsForWavesPerEU: 22
; NumVGPRsForWavesPerEU: 51
; Occupancy: 16
; WaveLimiterHint : 0
; COMPUTE_PGM_RSRC2:SCRATCH_EN: 0
; COMPUTE_PGM_RSRC2:USER_SGPR: 15
; COMPUTE_PGM_RSRC2:TRAP_HANDLER: 0
; COMPUTE_PGM_RSRC2:TGID_X_EN: 1
; COMPUTE_PGM_RSRC2:TGID_Y_EN: 0
; COMPUTE_PGM_RSRC2:TGID_Z_EN: 0
; COMPUTE_PGM_RSRC2:TIDIG_COMP_CNT: 1
	.section	.text._ZN4vllm3moe10topkGatingILi8ELi64ELi4ELi16ELi32El14__hip_bfloat16LNS0_11ScoringFuncE1EEEvPKT5_PKbPfiPT4_PiiiibPKf,"axG",@progbits,_ZN4vllm3moe10topkGatingILi8ELi64ELi4ELi16ELi32El14__hip_bfloat16LNS0_11ScoringFuncE1EEEvPKT5_PKbPfiPT4_PiiiibPKf,comdat
	.protected	_ZN4vllm3moe10topkGatingILi8ELi64ELi4ELi16ELi32El14__hip_bfloat16LNS0_11ScoringFuncE1EEEvPKT5_PKbPfiPT4_PiiiibPKf ; -- Begin function _ZN4vllm3moe10topkGatingILi8ELi64ELi4ELi16ELi32El14__hip_bfloat16LNS0_11ScoringFuncE1EEEvPKT5_PKbPfiPT4_PiiiibPKf
	.globl	_ZN4vllm3moe10topkGatingILi8ELi64ELi4ELi16ELi32El14__hip_bfloat16LNS0_11ScoringFuncE1EEEvPKT5_PKbPfiPT4_PiiiibPKf
	.p2align	8
	.type	_ZN4vllm3moe10topkGatingILi8ELi64ELi4ELi16ELi32El14__hip_bfloat16LNS0_11ScoringFuncE1EEEvPKT5_PKbPfiPT4_PiiiibPKf,@function
_ZN4vllm3moe10topkGatingILi8ELi64ELi4ELi16ELi32El14__hip_bfloat16LNS0_11ScoringFuncE1EEEvPKT5_PKbPfiPT4_PiiiibPKf: ; @_ZN4vllm3moe10topkGatingILi8ELi64ELi4ELi16ELi32El14__hip_bfloat16LNS0_11ScoringFuncE1EEEvPKT5_PKbPfiPT4_PiiiibPKf
; %bb.0:
	s_load_b32 s18, s[0:1], 0x18
	v_bfe_u32 v1, v0, 10, 10
	v_and_b32_e32 v0, 0x3ff, v0
	s_lshl_b32 s2, s15, 4
	s_delay_alu instid0(VALU_DEP_2) | instskip(NEXT) | instid1(VALU_DEP_2)
	v_lshlrev_b32_e32 v1, 2, v1
	v_lshrrev_b32_e32 v2, 3, v0
	s_delay_alu instid0(VALU_DEP_1) | instskip(SKIP_2) | instid1(VALU_DEP_1)
	v_add3_u32 v16, s2, v1, v2
	s_mov_b32 s2, exec_lo
	s_waitcnt lgkmcnt(0)
	v_cmpx_gt_i32_e64 s18, v16
	s_cbranch_execz .LBB364_33
; %bb.1:
	s_clause 0x1
	s_load_b128 s[4:7], s[0:1], 0x0
	s_load_b64 s[16:17], s[0:1], 0x10
	s_mov_b32 s9, -1
	s_mov_b32 s19, -1
	s_waitcnt lgkmcnt(0)
	s_cmp_eq_u64 s[6:7], 0
	s_cbranch_scc1 .LBB364_3
; %bb.2:
	v_ashrrev_i32_e32 v2, 31, v16
	v_add_co_u32 v1, vcc_lo, s6, v16
	s_delay_alu instid0(VALU_DEP_2) | instskip(SKIP_3) | instid1(VALU_DEP_1)
	v_add_co_ci_u32_e32 v2, vcc_lo, s7, v2, vcc_lo
	global_load_u8 v1, v[1:2], off
	s_waitcnt vmcnt(0)
	v_and_b32_e32 v1, 1, v1
	v_cmp_eq_u32_e32 vcc_lo, 1, v1
	s_xor_b32 s2, vcc_lo, -1
	s_delay_alu instid0(SALU_CYCLE_1)
	s_or_not1_b32 s19, s2, exec_lo
.LBB364_3:
	v_lshlrev_b32_e32 v1, 6, v16
	v_and_b32_e32 v17, 7, v0
	s_load_b64 s[10:11], s[0:1], 0x40
	s_delay_alu instid0(VALU_DEP_2) | instskip(NEXT) | instid1(VALU_DEP_1)
	v_ashrrev_i32_e32 v2, 31, v1
	v_lshlrev_b64 v[0:1], 1, v[1:2]
	s_delay_alu instid0(VALU_DEP_3) | instskip(NEXT) | instid1(VALU_DEP_2)
	v_lshlrev_b32_e32 v2, 4, v17
	v_add_co_u32 v0, vcc_lo, s4, v0
	s_delay_alu instid0(VALU_DEP_3) | instskip(NEXT) | instid1(VALU_DEP_2)
	v_add_co_ci_u32_e32 v1, vcc_lo, s5, v1, vcc_lo
	v_add_co_u32 v0, vcc_lo, v0, v2
	s_delay_alu instid0(VALU_DEP_2)
	v_add_co_ci_u32_e32 v1, vcc_lo, 0, v1, vcc_lo
	s_waitcnt lgkmcnt(0)
	s_cmp_eq_u64 s[10:11], 0
	global_load_b128 v[0:3], v[0:1], off
	s_waitcnt vmcnt(0)
	v_lshlrev_b32_e32 v5, 16, v1
	s_delay_alu instid0(VALU_DEP_1) | instskip(NEXT) | instid1(VALU_DEP_1)
	v_dual_mul_f32 v5, 0xbfb8aa3b, v5 :: v_dual_lshlrev_b32 v4, 16, v0
	v_mul_f32_e32 v4, 0xbfb8aa3b, v4
	s_delay_alu instid0(VALU_DEP_2) | instskip(NEXT) | instid1(VALU_DEP_1)
	v_exp_f32_e32 v5, v5
	v_exp_f32_e32 v4, v4
	v_and_b32_e32 v1, 0xffff0000, v1
	s_waitcnt_depctr 0xfff
	v_dual_add_f32 v5, 1.0, v5 :: v_dual_and_b32 v0, 0xffff0000, v0
	v_add_f32_e32 v4, 1.0, v4
	v_dual_mul_f32 v1, 0xbfb8aa3b, v1 :: v_dual_lshlrev_b32 v6, 16, v2
	s_delay_alu instid0(VALU_DEP_3) | instskip(NEXT) | instid1(VALU_DEP_4)
	v_dual_mul_f32 v0, 0xbfb8aa3b, v0 :: v_dual_lshlrev_b32 v7, 16, v3
	v_div_scale_f32 v12, null, v5, v5, 1.0
	s_delay_alu instid0(VALU_DEP_3) | instskip(SKIP_1) | instid1(VALU_DEP_3)
	v_exp_f32_e32 v1, v1
	v_and_b32_e32 v2, 0xffff0000, v2
	v_exp_f32_e32 v0, v0
	v_and_b32_e32 v3, 0xffff0000, v3
	v_dual_mul_f32 v6, 0xbfb8aa3b, v6 :: v_dual_mul_f32 v7, 0xbfb8aa3b, v7
	v_rcp_f32_e32 v28, v12
	v_div_scale_f32 v13, s3, 1.0, v5, 1.0
	s_delay_alu instid0(VALU_DEP_2) | instskip(SKIP_1) | instid1(TRANS32_DEP_3)
	v_exp_f32_e32 v6, v6
	v_dual_add_f32 v1, 1.0, v1 :: v_dual_mul_f32 v2, 0xbfb8aa3b, v2
	v_dual_add_f32 v0, 1.0, v0 :: v_dual_mul_f32 v3, 0xbfb8aa3b, v3
	v_lshlrev_b32_e32 v18, 3, v17
	v_exp_f32_e32 v7, v7
	s_delay_alu instid0(VALU_DEP_3) | instskip(NEXT) | instid1(VALU_DEP_2)
	v_exp_f32_e32 v2, v2
	v_div_scale_f32 v10, null, v0, v0, 1.0
	v_exp_f32_e32 v3, v3
	v_add_f32_e32 v6, 1.0, v6
	v_div_scale_f32 v14, null, v1, v1, 1.0
	s_delay_alu instid0(VALU_DEP_3) | instskip(SKIP_1) | instid1(TRANS32_DEP_3)
	v_rcp_f32_e32 v27, v10
	v_fma_f32 v37, -v12, v28, 1.0
	v_dual_add_f32 v7, 1.0, v7 :: v_dual_add_f32 v8, 1.0, v2
	v_div_scale_f32 v2, null, v4, v4, 1.0
	s_delay_alu instid0(TRANS32_DEP_2) | instskip(SKIP_1) | instid1(VALU_DEP_4)
	v_add_f32_e32 v9, 1.0, v3
	v_div_scale_f32 v19, null, v6, v6, 1.0
	v_div_scale_f32 v21, null, v8, v8, 1.0
	s_delay_alu instid0(VALU_DEP_4) | instskip(NEXT) | instid1(VALU_DEP_2)
	v_rcp_f32_e32 v26, v2
	v_rcp_f32_e32 v30, v19
	;; [unrolled: 1-line block ×3, first 2 shown]
	s_delay_alu instid0(VALU_DEP_1)
	v_rcp_f32_e32 v31, v21
	v_div_scale_f32 v23, null, v7, v7, 1.0
	v_fma_f32 v36, -v10, v27, 1.0
	v_div_scale_f32 v3, vcc_lo, 1.0, v4, 1.0
	v_div_scale_f32 v11, s2, 1.0, v0, 1.0
	v_fma_f32 v35, -v2, v26, 1.0
	s_delay_alu instid0(TRANS32_DEP_3) | instskip(NEXT) | instid1(TRANS32_DEP_1)
	v_fma_f32 v39, -v19, v30, 1.0
	v_fma_f32 v40, -v21, v31, 1.0
	s_delay_alu instid0(TRANS32_DEP_2) | instskip(SKIP_3) | instid1(VALU_DEP_3)
	v_fma_f32 v38, -v14, v29, 1.0
	v_div_scale_f32 v25, null, v9, v9, 1.0
	v_dual_fmac_f32 v26, v35, v26 :: v_dual_fmac_f32 v27, v36, v27
	v_rcp_f32_e32 v32, v23
	v_dual_fmac_f32 v28, v37, v28 :: v_dual_fmac_f32 v29, v38, v29
	v_div_scale_f32 v22, s6, 1.0, v8, 1.0
	v_dual_fmac_f32 v30, v39, v30 :: v_dual_fmac_f32 v31, v40, v31
	v_mul_f32_e32 v35, v3, v26
	v_div_scale_f32 v15, s4, 1.0, v1, 1.0
	v_rcp_f32_e32 v33, v25
	s_delay_alu instid0(VALU_DEP_3)
	v_mul_f32_e32 v40, v22, v31
	v_dual_mul_f32 v36, v11, v27 :: v_dual_mul_f32 v37, v13, v28
	v_div_scale_f32 v20, s5, 1.0, v6, 1.0
	v_fma_f32 v43, -v2, v35, v3
	v_mul_f32_e32 v38, v15, v29
	v_fma_f32 v41, -v23, v32, 1.0
	s_delay_alu instid0(VALU_DEP_4)
	v_mul_f32_e32 v39, v20, v30
	v_fma_f32 v44, -v10, v36, v11
	v_fma_f32 v45, -v12, v37, v13
	v_fmac_f32_e32 v35, v43, v26
	v_fma_f32 v46, -v14, v38, v15
	v_div_scale_f32 v24, s7, 1.0, v7, 1.0
	v_fmac_f32_e32 v36, v44, v27
	v_fma_f32 v42, -v25, v33, 1.0
	v_fmac_f32_e32 v32, v41, v32
	v_fma_f32 v47, -v19, v39, v20
	v_dual_fmac_f32 v37, v45, v28 :: v_dual_fmac_f32 v38, v46, v29
	v_fma_f32 v48, -v21, v40, v22
	v_fma_f32 v2, -v2, v35, v3
	v_div_scale_f32 v34, s8, 1.0, v9, 1.0
	v_fmac_f32_e32 v33, v42, v33
	v_mul_f32_e32 v41, v24, v32
	v_fma_f32 v3, -v10, v36, v11
	v_dual_fmac_f32 v39, v47, v30 :: v_dual_fmac_f32 v40, v48, v31
	v_fma_f32 v10, -v12, v37, v13
	v_div_fmas_f32 v2, v2, v26, v35
	s_mov_b32 vcc_lo, s2
	v_fma_f32 v11, -v14, v38, v15
	v_mul_f32_e32 v42, v34, v33
	v_fma_f32 v49, -v23, v41, v24
	v_div_fmas_f32 v3, v3, v27, v36
	s_mov_b32 vcc_lo, s3
	v_fma_f32 v12, -v19, v39, v20
	v_div_fmas_f32 v10, v10, v28, v37
	s_mov_b32 vcc_lo, s4
	v_fma_f32 v13, -v21, v40, v22
	v_div_fixup_f32 v2, v2, v4, 1.0
	v_div_fmas_f32 v4, v11, v29, v38
	s_mov_b32 vcc_lo, s5
	v_fma_f32 v50, -v25, v42, v34
	v_fmac_f32_e32 v41, v49, v32
	v_div_fmas_f32 v11, v12, v30, v39
	s_mov_b32 vcc_lo, s6
	v_div_fixup_f32 v5, v10, v5, 1.0
	v_fmac_f32_e32 v42, v50, v33
	v_div_fmas_f32 v10, v13, v31, v40
	v_cmp_class_f32_e64 vcc_lo, v2, 0x1f8
	v_fma_f32 v14, -v23, v41, v24
	v_div_fixup_f32 v3, v3, v0, 1.0
	v_fma_f32 v15, -v25, v42, v34
	v_div_fixup_f32 v4, v4, v1, 1.0
	v_cndmask_b32_e32 v0, 0, v2, vcc_lo
	s_mov_b32 vcc_lo, s7
	v_div_fixup_f32 v6, v11, v6, 1.0
	v_div_fmas_f32 v12, v14, v32, v41
	v_cmp_class_f32_e64 vcc_lo, v3, 0x1f8
	s_delay_alu instid0(VALU_DEP_2)
	v_div_fixup_f32 v7, v12, v7, 1.0
	v_cndmask_b32_e32 v1, 0, v3, vcc_lo
	s_mov_b32 vcc_lo, s8
	v_div_fmas_f32 v11, v15, v33, v42
	v_cmp_class_f32_e64 vcc_lo, v5, 0x1f8
	v_cndmask_b32_e32 v2, 0, v5, vcc_lo
	v_cmp_class_f32_e64 vcc_lo, v4, 0x1f8
	v_div_fixup_f32 v5, v10, v8, 1.0
	v_div_fixup_f32 v8, v11, v9, 1.0
	v_cndmask_b32_e32 v3, 0, v4, vcc_lo
	v_cmp_class_f32_e64 vcc_lo, v6, 0x1f8
	v_cndmask_b32_e32 v4, 0, v6, vcc_lo
	v_cmp_class_f32_e64 vcc_lo, v5, 0x1f8
	;; [unrolled: 2-line block ×4, first 2 shown]
	v_cndmask_b32_e32 v7, 0, v8, vcc_lo
	s_cbranch_scc1 .LBB364_27
; %bb.4:
	v_lshlrev_b32_e32 v12, 2, v18
	s_clause 0x1
	global_load_b128 v[8:11], v12, s[10:11]
	global_load_b128 v[12:15], v12, s[10:11] offset:16
	s_waitcnt vmcnt(1)
	v_dual_add_f32 v9, v9, v1 :: v_dual_add_f32 v8, v8, v0
	v_dual_add_f32 v11, v11, v3 :: v_dual_add_f32 v10, v10, v2
	s_waitcnt vmcnt(0)
	v_dual_add_f32 v13, v13, v5 :: v_dual_add_f32 v12, v12, v4
	v_dual_add_f32 v15, v15, v7 :: v_dual_add_f32 v14, v14, v6
	s_cbranch_execnz .LBB364_6
.LBB364_5:
	v_dual_mov_b32 v15, v7 :: v_dual_mov_b32 v14, v6
	v_dual_mov_b32 v13, v5 :: v_dual_mov_b32 v12, v4
	;; [unrolled: 1-line block ×4, first 2 shown]
.LBB364_6:
	s_load_b128 s[8:11], s[0:1], 0x30
	v_cmp_eq_u32_e64 s2, 0, v17
	s_mov_b32 s6, 0
	s_waitcnt lgkmcnt(0)
	s_bitcmp1_b32 s11, 0
	s_cselect_b32 vcc_lo, -1, 0
	s_cmp_gt_i32 s8, 0
	s_cselect_b32 s5, -1, 0
	s_cmp_lt_i32 s8, 1
	s_cbranch_scc1 .LBB364_28
; %bb.7:
	v_mbcnt_lo_u32_b32 v19, -1, 0
	s_load_b128 s[12:15], s[0:1], 0x20
	v_mov_b32_e32 v24, v16
	s_delay_alu instid0(VALU_DEP_2) | instskip(SKIP_3) | instid1(VALU_DEP_4)
	v_and_b32_e32 v20, 24, v19
	v_xor_b32_e32 v21, 4, v19
	v_xor_b32_e32 v22, 2, v19
	;; [unrolled: 1-line block ×3, first 2 shown]
	v_add_nc_u32_e32 v20, 8, v20
	s_delay_alu instid0(VALU_DEP_1) | instskip(NEXT) | instid1(VALU_DEP_1)
	v_cmp_lt_i32_e64 s0, v21, v20
	v_cndmask_b32_e64 v21, v19, v21, s0
	v_cmp_lt_i32_e64 s0, v22, v20
	s_delay_alu instid0(VALU_DEP_2) | instskip(NEXT) | instid1(VALU_DEP_2)
	v_lshlrev_b32_e32 v21, 2, v21
	v_cndmask_b32_e64 v22, v19, v22, s0
	v_cmp_lt_i32_e64 s0, v23, v20
	v_mul_lo_u32 v20, v16, s8
	s_delay_alu instid0(VALU_DEP_3) | instskip(NEXT) | instid1(VALU_DEP_3)
	v_lshlrev_b32_e32 v22, 2, v22
	v_cndmask_b32_e64 v23, v19, v23, s0
	v_mov_b32_e32 v19, 0
	s_delay_alu instid0(VALU_DEP_2)
	v_lshlrev_b32_e32 v23, 2, v23
	s_branch .LBB364_10
.LBB364_8:                              ;   in Loop: Header=BB364_10 Depth=1
	s_or_b32 exec_lo, exec_lo, s1
.LBB364_9:                              ;   in Loop: Header=BB364_10 Depth=1
	v_add_nc_u32_e32 v24, s18, v24
	s_cmp_eq_u32 s8, s6
	s_cbranch_scc1 .LBB364_29
.LBB364_10:                             ; =>This Inner Loop Header: Depth=1
	v_cmp_gt_f32_e64 s0, v9, v8
	s_delay_alu instid0(VALU_DEP_1) | instskip(SKIP_2) | instid1(VALU_DEP_3)
	v_cndmask_b32_e64 v26, v8, v9, s0
	v_cndmask_b32_e64 v25, 0, 1, s0
	;; [unrolled: 1-line block ×3, first 2 shown]
	v_cmp_gt_f32_e64 s1, v10, v26
	s_delay_alu instid0(VALU_DEP_1) | instskip(NEXT) | instid1(VALU_DEP_4)
	v_cndmask_b32_e64 v26, v26, v10, s1
	v_cndmask_b32_e64 v25, v25, 2, s1
	s_delay_alu instid0(VALU_DEP_4) | instskip(NEXT) | instid1(VALU_DEP_3)
	v_cndmask_b32_e64 v27, v27, v2, s1
	v_cmp_gt_f32_e64 s3, v11, v26
	s_delay_alu instid0(VALU_DEP_1) | instskip(NEXT) | instid1(VALU_DEP_4)
	v_cndmask_b32_e64 v26, v26, v11, s3
	v_cndmask_b32_e64 v25, v25, 3, s3
	s_delay_alu instid0(VALU_DEP_4) | instskip(NEXT) | instid1(VALU_DEP_3)
	v_cndmask_b32_e64 v27, v27, v3, s3
	v_cmp_gt_f32_e64 s4, v12, v26
	s_delay_alu instid0(VALU_DEP_1) | instskip(NEXT) | instid1(VALU_DEP_4)
	v_cndmask_b32_e64 v26, v26, v12, s4
	v_cndmask_b32_e64 v25, v25, 4, s4
	s_delay_alu instid0(VALU_DEP_4) | instskip(SKIP_1) | instid1(VALU_DEP_3)
	v_cndmask_b32_e64 v27, v27, v4, s4
	s_mov_b32 s4, exec_lo
	v_cmp_gt_f32_e64 s0, v13, v26
	s_delay_alu instid0(VALU_DEP_1) | instskip(SKIP_2) | instid1(VALU_DEP_3)
	v_cndmask_b32_e64 v26, v26, v13, s0
	v_cndmask_b32_e64 v25, v25, 5, s0
	;; [unrolled: 1-line block ×3, first 2 shown]
	v_cmp_gt_f32_e64 s1, v14, v26
	s_delay_alu instid0(VALU_DEP_1) | instskip(NEXT) | instid1(VALU_DEP_4)
	v_cndmask_b32_e64 v26, v26, v14, s1
	v_cndmask_b32_e64 v25, v25, 6, s1
	s_waitcnt lgkmcnt(0)
	v_cndmask_b32_e64 v28, v27, v6, s1
	s_delay_alu instid0(VALU_DEP_3) | instskip(NEXT) | instid1(VALU_DEP_1)
	v_cmp_gt_f32_e64 s0, v15, v26
	v_cndmask_b32_e64 v25, v25, 7, s0
	v_cndmask_b32_e64 v27, v26, v15, s0
	s_delay_alu instid0(VALU_DEP_4) | instskip(NEXT) | instid1(VALU_DEP_3)
	v_cndmask_b32_e64 v26, v28, v7, s0
	v_or_b32_e32 v25, v18, v25
	ds_bpermute_b32 v28, v21, v27
	ds_bpermute_b32 v30, v21, v26
	;; [unrolled: 1-line block ×3, first 2 shown]
	s_waitcnt lgkmcnt(0)
	v_cmp_lt_f32_e64 s3, v27, v28
	v_cmpx_nlt_f32_e32 v27, v28
; %bb.11:                               ;   in Loop: Header=BB364_10 Depth=1
	v_cmp_eq_f32_e64 s0, v27, v28
	v_cmp_lt_i32_e64 s1, v29, v25
	s_delay_alu instid0(VALU_DEP_1) | instskip(SKIP_2) | instid1(SALU_CYCLE_1)
	s_and_b32 s0, s0, s1
	s_and_not1_b32 s1, s3, exec_lo
	s_and_b32 s0, s0, exec_lo
	s_or_b32 s3, s1, s0
; %bb.12:                               ;   in Loop: Header=BB364_10 Depth=1
	s_or_b32 exec_lo, exec_lo, s4
	s_and_saveexec_b32 s0, s3
; %bb.13:                               ;   in Loop: Header=BB364_10 Depth=1
	v_dual_mov_b32 v26, v30 :: v_dual_mov_b32 v27, v28
	v_mov_b32_e32 v25, v29
; %bb.14:                               ;   in Loop: Header=BB364_10 Depth=1
	s_or_b32 exec_lo, exec_lo, s0
	ds_bpermute_b32 v28, v22, v27
	ds_bpermute_b32 v30, v22, v26
	;; [unrolled: 1-line block ×3, first 2 shown]
	s_mov_b32 s4, exec_lo
	s_waitcnt lgkmcnt(2)
	v_cmp_lt_f32_e64 s3, v27, v28
	v_cmpx_nlt_f32_e32 v27, v28
	s_cbranch_execz .LBB364_16
; %bb.15:                               ;   in Loop: Header=BB364_10 Depth=1
	v_cmp_eq_f32_e64 s0, v27, v28
	s_waitcnt lgkmcnt(0)
	v_cmp_lt_i32_e64 s1, v29, v25
	s_delay_alu instid0(VALU_DEP_1) | instskip(SKIP_2) | instid1(SALU_CYCLE_1)
	s_and_b32 s0, s0, s1
	s_and_not1_b32 s1, s3, exec_lo
	s_and_b32 s0, s0, exec_lo
	s_or_b32 s3, s1, s0
.LBB364_16:                             ;   in Loop: Header=BB364_10 Depth=1
	s_or_b32 exec_lo, exec_lo, s4
	s_delay_alu instid0(VALU_DEP_2)
	s_and_saveexec_b32 s0, s3
	s_cbranch_execz .LBB364_18
; %bb.17:                               ;   in Loop: Header=BB364_10 Depth=1
	s_waitcnt lgkmcnt(1)
	v_dual_mov_b32 v26, v30 :: v_dual_mov_b32 v27, v28
	s_waitcnt lgkmcnt(0)
	v_mov_b32_e32 v25, v29
.LBB364_18:                             ;   in Loop: Header=BB364_10 Depth=1
	s_or_b32 exec_lo, exec_lo, s0
	s_waitcnt lgkmcnt(1)
	ds_bpermute_b32 v30, v23, v27
	ds_bpermute_b32 v28, v23, v26
	s_waitcnt lgkmcnt(2)
	ds_bpermute_b32 v29, v23, v25
	s_mov_b32 s4, exec_lo
	s_waitcnt lgkmcnt(2)
	v_cmp_lt_f32_e64 s3, v27, v30
	v_cmpx_nlt_f32_e32 v27, v30
	s_cbranch_execnz .LBB364_22
; %bb.19:                               ;   in Loop: Header=BB364_10 Depth=1
	s_or_b32 exec_lo, exec_lo, s4
	s_delay_alu instid0(VALU_DEP_2)
	s_and_saveexec_b32 s0, s3
	s_cbranch_execnz .LBB364_23
.LBB364_20:                             ;   in Loop: Header=BB364_10 Depth=1
	s_or_b32 exec_lo, exec_lo, s0
	s_and_saveexec_b32 s3, s2
	s_cbranch_execnz .LBB364_24
.LBB364_21:                             ;   in Loop: Header=BB364_10 Depth=1
	s_or_b32 exec_lo, exec_lo, s3
	s_add_i32 s6, s6, 1
	s_delay_alu instid0(SALU_CYCLE_1)
	s_cmp_ge_i32 s6, s8
	s_cbranch_scc1 .LBB364_9
	s_branch .LBB364_25
.LBB364_22:                             ;   in Loop: Header=BB364_10 Depth=1
	v_cmp_eq_f32_e64 s0, v27, v30
	s_waitcnt lgkmcnt(0)
	v_cmp_lt_i32_e64 s1, v29, v25
	s_delay_alu instid0(VALU_DEP_1) | instskip(SKIP_2) | instid1(SALU_CYCLE_1)
	s_and_b32 s0, s0, s1
	s_and_not1_b32 s1, s3, exec_lo
	s_and_b32 s0, s0, exec_lo
	s_or_b32 s3, s1, s0
	s_or_b32 exec_lo, exec_lo, s4
	s_and_saveexec_b32 s0, s3
	s_cbranch_execz .LBB364_20
.LBB364_23:                             ;   in Loop: Header=BB364_10 Depth=1
	s_waitcnt lgkmcnt(0)
	v_dual_mov_b32 v25, v29 :: v_dual_mov_b32 v26, v28
	s_or_b32 exec_lo, exec_lo, s0
	s_and_saveexec_b32 s3, s2
	s_cbranch_execz .LBB364_21
.LBB364_24:                             ;   in Loop: Header=BB364_10 Depth=1
	v_add_nc_u32_e32 v27, s6, v20
	v_subrev_nc_u32_e32 v31, s9, v25
	v_cmp_le_i32_e64 s0, s9, v25
	v_cmp_gt_i32_e64 s1, s10, v25
	v_add_f32_e32 v35, v19, v26
	s_waitcnt lgkmcnt(1)
	v_ashrrev_i32_e32 v28, 31, v27
	v_ashrrev_i32_e32 v32, 31, v31
	s_and_b32 s0, s0, s1
	v_cndmask_b32_e32 v19, v19, v35, vcc_lo
	s_waitcnt lgkmcnt(0)
	v_lshlrev_b64 v[29:30], 2, v[27:28]
	v_lshlrev_b64 v[27:28], 3, v[27:28]
	s_and_b32 s0, s19, s0
	s_delay_alu instid0(SALU_CYCLE_1) | instskip(SKIP_1) | instid1(VALU_DEP_4)
	v_cndmask_b32_e64 v32, 0, v32, s0
	v_cndmask_b32_e64 v31, 64, v31, s0
	v_add_co_u32 v33, s0, s16, v29
	s_delay_alu instid0(VALU_DEP_1) | instskip(SKIP_1) | instid1(VALU_DEP_1)
	v_add_co_ci_u32_e64 v34, s0, s17, v30, s0
	v_add_co_u32 v27, s0, s12, v27
	v_add_co_ci_u32_e64 v28, s0, s13, v28, s0
	v_add_co_u32 v29, s0, s14, v29
	s_delay_alu instid0(VALU_DEP_1)
	v_add_co_ci_u32_e64 v30, s0, s15, v30, s0
	global_store_b32 v[33:34], v26, off
	global_store_b64 v[27:28], v[31:32], off
	global_store_b32 v[29:30], v24, off
	s_or_b32 exec_lo, exec_lo, s3
	s_add_i32 s6, s6, 1
	s_delay_alu instid0(SALU_CYCLE_1)
	s_cmp_ge_i32 s6, s8
	s_cbranch_scc1 .LBB364_9
.LBB364_25:                             ;   in Loop: Header=BB364_10 Depth=1
	v_ashrrev_i32_e32 v27, 31, v25
	s_mov_b32 s1, exec_lo
	s_delay_alu instid0(VALU_DEP_1) | instskip(NEXT) | instid1(VALU_DEP_1)
	v_lshrrev_b32_e32 v26, 29, v27
	v_add_nc_u32_e32 v26, v25, v26
	s_delay_alu instid0(VALU_DEP_1) | instskip(SKIP_1) | instid1(VALU_DEP_1)
	v_ashrrev_i32_e32 v26, 3, v26
	s_waitcnt lgkmcnt(1)
	v_lshrrev_b32_e32 v28, 29, v26
	s_delay_alu instid0(VALU_DEP_1) | instskip(NEXT) | instid1(VALU_DEP_1)
	v_add_nc_u32_e32 v28, v26, v28
	v_and_b32_e32 v28, -8, v28
	s_delay_alu instid0(VALU_DEP_1) | instskip(NEXT) | instid1(VALU_DEP_1)
	v_sub_nc_u32_e32 v28, v26, v28
	v_cmpx_eq_u32_e64 v17, v28
	s_cbranch_execz .LBB364_8
; %bb.26:                               ;   in Loop: Header=BB364_10 Depth=1
	v_lshrrev_b32_e32 v27, 26, v27
	v_lshlrev_b32_e32 v26, 3, v26
	s_delay_alu instid0(VALU_DEP_2) | instskip(NEXT) | instid1(VALU_DEP_2)
	v_add_nc_u32_e32 v27, v25, v27
	v_sub_nc_u32_e32 v25, v25, v26
	s_delay_alu instid0(VALU_DEP_2) | instskip(NEXT) | instid1(VALU_DEP_1)
	v_ashrrev_i32_e32 v26, 6, v27
	v_lshl_add_u32 v25, v26, 3, v25
	s_delay_alu instid0(VALU_DEP_1) | instskip(NEXT) | instid1(VALU_DEP_1)
	v_cmp_ne_u32_e64 s0, 7, v25
	v_cndmask_b32_e64 v15, 0xc61c4000, v15, s0
	v_cmp_ne_u32_e64 s0, 6, v25
	s_delay_alu instid0(VALU_DEP_1) | instskip(SKIP_1) | instid1(VALU_DEP_1)
	v_cndmask_b32_e64 v14, 0xc61c4000, v14, s0
	v_cmp_ne_u32_e64 s0, 5, v25
	v_cndmask_b32_e64 v13, 0xc61c4000, v13, s0
	v_cmp_ne_u32_e64 s0, 4, v25
	s_delay_alu instid0(VALU_DEP_1) | instskip(SKIP_1) | instid1(VALU_DEP_1)
	v_cndmask_b32_e64 v12, 0xc61c4000, v12, s0
	;; [unrolled: 5-line block ×3, first 2 shown]
	v_cmp_ne_u32_e64 s0, 1, v25
	v_cndmask_b32_e64 v9, 0xc61c4000, v9, s0
	v_cmp_ne_u32_e64 s0, 0, v25
	s_delay_alu instid0(VALU_DEP_1)
	v_cndmask_b32_e64 v8, 0xc61c4000, v8, s0
	s_branch .LBB364_8
.LBB364_27:
                                        ; implicit-def: $vgpr8_vgpr9_vgpr10_vgpr11_vgpr12_vgpr13_vgpr14_vgpr15
	s_and_not1_b32 vcc_lo, exec_lo, s9
	s_cbranch_vccz .LBB364_5
	s_branch .LBB364_6
.LBB364_28:
	v_mov_b32_e32 v19, 0
.LBB364_29:
	v_cmp_eq_u32_e64 s0, 0, v17
	s_delay_alu instid0(VALU_DEP_1) | instskip(NEXT) | instid1(SALU_CYCLE_1)
	s_and_b32 s0, s0, vcc_lo
	s_and_b32 exec_lo, exec_lo, s0
	s_cbranch_execz .LBB364_33
; %bb.30:
	s_and_not1_b32 vcc_lo, exec_lo, s5
	s_cbranch_vccnz .LBB364_33
; %bb.31:
	v_mul_lo_u32 v0, v16, s8
	v_cmp_lt_f32_e32 vcc_lo, 0, v19
	v_cndmask_b32_e32 v2, 1.0, v19, vcc_lo
	s_delay_alu instid0(VALU_DEP_3) | instskip(NEXT) | instid1(VALU_DEP_1)
	v_ashrrev_i32_e32 v1, 31, v0
	v_lshlrev_b64 v[0:1], 2, v[0:1]
	s_delay_alu instid0(VALU_DEP_1) | instskip(NEXT) | instid1(VALU_DEP_2)
	v_add_co_u32 v0, vcc_lo, s16, v0
	v_add_co_ci_u32_e32 v1, vcc_lo, s17, v1, vcc_lo
	.p2align	6
.LBB364_32:                             ; =>This Inner Loop Header: Depth=1
	global_load_b32 v3, v[0:1], off
	s_add_i32 s8, s8, -1
	s_delay_alu instid0(SALU_CYCLE_1) | instskip(SKIP_3) | instid1(VALU_DEP_2)
	s_cmp_lg_u32 s8, 0
	s_waitcnt vmcnt(0)
	v_div_scale_f32 v4, null, v2, v2, v3
	v_div_scale_f32 v7, vcc_lo, v3, v2, v3
	v_rcp_f32_e32 v5, v4
	s_waitcnt_depctr 0xfff
	v_fma_f32 v6, -v4, v5, 1.0
	s_delay_alu instid0(VALU_DEP_1) | instskip(NEXT) | instid1(VALU_DEP_1)
	v_fmac_f32_e32 v5, v6, v5
	v_mul_f32_e32 v6, v7, v5
	s_delay_alu instid0(VALU_DEP_1) | instskip(NEXT) | instid1(VALU_DEP_1)
	v_fma_f32 v8, -v4, v6, v7
	v_fmac_f32_e32 v6, v8, v5
	s_delay_alu instid0(VALU_DEP_1) | instskip(NEXT) | instid1(VALU_DEP_1)
	v_fma_f32 v4, -v4, v6, v7
	v_div_fmas_f32 v4, v4, v5, v6
	s_delay_alu instid0(VALU_DEP_1)
	v_div_fixup_f32 v3, v4, v2, v3
	global_store_b32 v[0:1], v3, off
	v_add_co_u32 v0, vcc_lo, v0, 4
	v_add_co_ci_u32_e32 v1, vcc_lo, 0, v1, vcc_lo
	s_cbranch_scc1 .LBB364_32
.LBB364_33:
	s_nop 0
	s_sendmsg sendmsg(MSG_DEALLOC_VGPRS)
	s_endpgm
	.section	.rodata,"a",@progbits
	.p2align	6, 0x0
	.amdhsa_kernel _ZN4vllm3moe10topkGatingILi8ELi64ELi4ELi16ELi32El14__hip_bfloat16LNS0_11ScoringFuncE1EEEvPKT5_PKbPfiPT4_PiiiibPKf
		.amdhsa_group_segment_fixed_size 0
		.amdhsa_private_segment_fixed_size 0
		.amdhsa_kernarg_size 72
		.amdhsa_user_sgpr_count 15
		.amdhsa_user_sgpr_dispatch_ptr 0
		.amdhsa_user_sgpr_queue_ptr 0
		.amdhsa_user_sgpr_kernarg_segment_ptr 1
		.amdhsa_user_sgpr_dispatch_id 0
		.amdhsa_user_sgpr_private_segment_size 0
		.amdhsa_wavefront_size32 1
		.amdhsa_uses_dynamic_stack 0
		.amdhsa_enable_private_segment 0
		.amdhsa_system_sgpr_workgroup_id_x 1
		.amdhsa_system_sgpr_workgroup_id_y 0
		.amdhsa_system_sgpr_workgroup_id_z 0
		.amdhsa_system_sgpr_workgroup_info 0
		.amdhsa_system_vgpr_workitem_id 1
		.amdhsa_next_free_vgpr 51
		.amdhsa_next_free_sgpr 20
		.amdhsa_reserve_vcc 1
		.amdhsa_float_round_mode_32 0
		.amdhsa_float_round_mode_16_64 0
		.amdhsa_float_denorm_mode_32 3
		.amdhsa_float_denorm_mode_16_64 3
		.amdhsa_dx10_clamp 1
		.amdhsa_ieee_mode 1
		.amdhsa_fp16_overflow 0
		.amdhsa_workgroup_processor_mode 1
		.amdhsa_memory_ordered 1
		.amdhsa_forward_progress 0
		.amdhsa_shared_vgpr_count 0
		.amdhsa_exception_fp_ieee_invalid_op 0
		.amdhsa_exception_fp_denorm_src 0
		.amdhsa_exception_fp_ieee_div_zero 0
		.amdhsa_exception_fp_ieee_overflow 0
		.amdhsa_exception_fp_ieee_underflow 0
		.amdhsa_exception_fp_ieee_inexact 0
		.amdhsa_exception_int_div_zero 0
	.end_amdhsa_kernel
	.section	.text._ZN4vllm3moe10topkGatingILi8ELi64ELi4ELi16ELi32El14__hip_bfloat16LNS0_11ScoringFuncE1EEEvPKT5_PKbPfiPT4_PiiiibPKf,"axG",@progbits,_ZN4vllm3moe10topkGatingILi8ELi64ELi4ELi16ELi32El14__hip_bfloat16LNS0_11ScoringFuncE1EEEvPKT5_PKbPfiPT4_PiiiibPKf,comdat
.Lfunc_end364:
	.size	_ZN4vllm3moe10topkGatingILi8ELi64ELi4ELi16ELi32El14__hip_bfloat16LNS0_11ScoringFuncE1EEEvPKT5_PKbPfiPT4_PiiiibPKf, .Lfunc_end364-_ZN4vllm3moe10topkGatingILi8ELi64ELi4ELi16ELi32El14__hip_bfloat16LNS0_11ScoringFuncE1EEEvPKT5_PKbPfiPT4_PiiiibPKf
                                        ; -- End function
	.section	.AMDGPU.csdata,"",@progbits
; Kernel info:
; codeLenInByte = 2952
; NumSgprs: 22
; NumVgprs: 51
; ScratchSize: 0
; MemoryBound: 0
; FloatMode: 240
; IeeeMode: 1
; LDSByteSize: 0 bytes/workgroup (compile time only)
; SGPRBlocks: 2
; VGPRBlocks: 6
; NumSGPRsForWavesPerEU: 22
; NumVGPRsForWavesPerEU: 51
; Occupancy: 16
; WaveLimiterHint : 0
; COMPUTE_PGM_RSRC2:SCRATCH_EN: 0
; COMPUTE_PGM_RSRC2:USER_SGPR: 15
; COMPUTE_PGM_RSRC2:TRAP_HANDLER: 0
; COMPUTE_PGM_RSRC2:TGID_X_EN: 1
; COMPUTE_PGM_RSRC2:TGID_Y_EN: 0
; COMPUTE_PGM_RSRC2:TGID_Z_EN: 0
; COMPUTE_PGM_RSRC2:TIDIG_COMP_CNT: 1
	.section	.text._ZN4vllm3moe10topkGatingILi8ELi128ELi4ELi16ELi64El14__hip_bfloat16LNS0_11ScoringFuncE1EEEvPKT5_PKbPfiPT4_PiiiibPKf,"axG",@progbits,_ZN4vllm3moe10topkGatingILi8ELi128ELi4ELi16ELi64El14__hip_bfloat16LNS0_11ScoringFuncE1EEEvPKT5_PKbPfiPT4_PiiiibPKf,comdat
	.protected	_ZN4vllm3moe10topkGatingILi8ELi128ELi4ELi16ELi64El14__hip_bfloat16LNS0_11ScoringFuncE1EEEvPKT5_PKbPfiPT4_PiiiibPKf ; -- Begin function _ZN4vllm3moe10topkGatingILi8ELi128ELi4ELi16ELi64El14__hip_bfloat16LNS0_11ScoringFuncE1EEEvPKT5_PKbPfiPT4_PiiiibPKf
	.globl	_ZN4vllm3moe10topkGatingILi8ELi128ELi4ELi16ELi64El14__hip_bfloat16LNS0_11ScoringFuncE1EEEvPKT5_PKbPfiPT4_PiiiibPKf
	.p2align	8
	.type	_ZN4vllm3moe10topkGatingILi8ELi128ELi4ELi16ELi64El14__hip_bfloat16LNS0_11ScoringFuncE1EEEvPKT5_PKbPfiPT4_PiiiibPKf,@function
_ZN4vllm3moe10topkGatingILi8ELi128ELi4ELi16ELi64El14__hip_bfloat16LNS0_11ScoringFuncE1EEEvPKT5_PKbPfiPT4_PiiiibPKf: ; @_ZN4vllm3moe10topkGatingILi8ELi128ELi4ELi16ELi64El14__hip_bfloat16LNS0_11ScoringFuncE1EEEvPKT5_PKbPfiPT4_PiiiibPKf
; %bb.0:
	s_load_b32 s18, s[0:1], 0x18
	v_bfe_u32 v1, v0, 10, 10
	v_and_b32_e32 v0, 0x3ff, v0
	s_lshl_b32 s2, s15, 4
	s_delay_alu instid0(VALU_DEP_2) | instskip(NEXT) | instid1(VALU_DEP_2)
	v_lshlrev_b32_e32 v1, 2, v1
	v_lshrrev_b32_e32 v2, 4, v0
	s_delay_alu instid0(VALU_DEP_1) | instskip(SKIP_2) | instid1(VALU_DEP_1)
	v_add3_u32 v16, s2, v1, v2
	s_mov_b32 s2, exec_lo
	s_waitcnt lgkmcnt(0)
	v_cmpx_gt_i32_e64 s18, v16
	s_cbranch_execz .LBB365_37
; %bb.1:
	s_clause 0x1
	s_load_b128 s[4:7], s[0:1], 0x0
	s_load_b64 s[16:17], s[0:1], 0x10
	s_mov_b32 s9, -1
	s_mov_b32 s19, -1
	s_waitcnt lgkmcnt(0)
	s_cmp_eq_u64 s[6:7], 0
	s_cbranch_scc1 .LBB365_3
; %bb.2:
	v_ashrrev_i32_e32 v2, 31, v16
	v_add_co_u32 v1, vcc_lo, s6, v16
	s_delay_alu instid0(VALU_DEP_2) | instskip(SKIP_3) | instid1(VALU_DEP_1)
	v_add_co_ci_u32_e32 v2, vcc_lo, s7, v2, vcc_lo
	global_load_u8 v1, v[1:2], off
	s_waitcnt vmcnt(0)
	v_and_b32_e32 v1, 1, v1
	v_cmp_eq_u32_e32 vcc_lo, 1, v1
	s_xor_b32 s2, vcc_lo, -1
	s_delay_alu instid0(SALU_CYCLE_1)
	s_or_not1_b32 s19, s2, exec_lo
.LBB365_3:
	v_lshlrev_b32_e32 v1, 7, v16
	v_and_b32_e32 v17, 15, v0
	s_load_b64 s[10:11], s[0:1], 0x40
	s_delay_alu instid0(VALU_DEP_2) | instskip(NEXT) | instid1(VALU_DEP_1)
	v_ashrrev_i32_e32 v2, 31, v1
	v_lshlrev_b64 v[0:1], 1, v[1:2]
	s_delay_alu instid0(VALU_DEP_3) | instskip(NEXT) | instid1(VALU_DEP_2)
	v_lshlrev_b32_e32 v2, 4, v17
	v_add_co_u32 v0, vcc_lo, s4, v0
	s_delay_alu instid0(VALU_DEP_3) | instskip(NEXT) | instid1(VALU_DEP_2)
	v_add_co_ci_u32_e32 v1, vcc_lo, s5, v1, vcc_lo
	v_add_co_u32 v0, vcc_lo, v0, v2
	s_delay_alu instid0(VALU_DEP_2)
	v_add_co_ci_u32_e32 v1, vcc_lo, 0, v1, vcc_lo
	s_waitcnt lgkmcnt(0)
	s_cmp_eq_u64 s[10:11], 0
	global_load_b128 v[0:3], v[0:1], off
	s_waitcnt vmcnt(0)
	v_lshlrev_b32_e32 v5, 16, v1
	s_delay_alu instid0(VALU_DEP_1) | instskip(NEXT) | instid1(VALU_DEP_1)
	v_dual_mul_f32 v5, 0xbfb8aa3b, v5 :: v_dual_lshlrev_b32 v4, 16, v0
	v_mul_f32_e32 v4, 0xbfb8aa3b, v4
	s_delay_alu instid0(VALU_DEP_2) | instskip(NEXT) | instid1(VALU_DEP_1)
	v_exp_f32_e32 v5, v5
	v_exp_f32_e32 v4, v4
	v_and_b32_e32 v1, 0xffff0000, v1
	s_waitcnt_depctr 0xfff
	v_dual_add_f32 v5, 1.0, v5 :: v_dual_and_b32 v0, 0xffff0000, v0
	v_add_f32_e32 v4, 1.0, v4
	v_dual_mul_f32 v1, 0xbfb8aa3b, v1 :: v_dual_lshlrev_b32 v6, 16, v2
	s_delay_alu instid0(VALU_DEP_3) | instskip(NEXT) | instid1(VALU_DEP_4)
	v_dual_mul_f32 v0, 0xbfb8aa3b, v0 :: v_dual_lshlrev_b32 v7, 16, v3
	v_div_scale_f32 v12, null, v5, v5, 1.0
	s_delay_alu instid0(VALU_DEP_3) | instskip(SKIP_1) | instid1(VALU_DEP_3)
	v_exp_f32_e32 v1, v1
	v_and_b32_e32 v2, 0xffff0000, v2
	v_exp_f32_e32 v0, v0
	v_and_b32_e32 v3, 0xffff0000, v3
	v_dual_mul_f32 v6, 0xbfb8aa3b, v6 :: v_dual_mul_f32 v7, 0xbfb8aa3b, v7
	v_rcp_f32_e32 v28, v12
	v_div_scale_f32 v13, s3, 1.0, v5, 1.0
	s_delay_alu instid0(VALU_DEP_2) | instskip(SKIP_1) | instid1(TRANS32_DEP_3)
	v_exp_f32_e32 v6, v6
	v_dual_add_f32 v1, 1.0, v1 :: v_dual_mul_f32 v2, 0xbfb8aa3b, v2
	v_dual_add_f32 v0, 1.0, v0 :: v_dual_mul_f32 v3, 0xbfb8aa3b, v3
	v_lshlrev_b32_e32 v18, 3, v17
	v_exp_f32_e32 v7, v7
	s_delay_alu instid0(VALU_DEP_3) | instskip(NEXT) | instid1(VALU_DEP_2)
	v_exp_f32_e32 v2, v2
	v_div_scale_f32 v10, null, v0, v0, 1.0
	v_exp_f32_e32 v3, v3
	v_add_f32_e32 v6, 1.0, v6
	v_div_scale_f32 v14, null, v1, v1, 1.0
	s_delay_alu instid0(VALU_DEP_3) | instskip(SKIP_1) | instid1(TRANS32_DEP_3)
	v_rcp_f32_e32 v27, v10
	v_fma_f32 v37, -v12, v28, 1.0
	v_dual_add_f32 v7, 1.0, v7 :: v_dual_add_f32 v8, 1.0, v2
	v_div_scale_f32 v2, null, v4, v4, 1.0
	s_delay_alu instid0(TRANS32_DEP_2) | instskip(SKIP_1) | instid1(VALU_DEP_4)
	v_add_f32_e32 v9, 1.0, v3
	v_div_scale_f32 v19, null, v6, v6, 1.0
	v_div_scale_f32 v21, null, v8, v8, 1.0
	s_delay_alu instid0(VALU_DEP_4) | instskip(NEXT) | instid1(VALU_DEP_2)
	v_rcp_f32_e32 v26, v2
	v_rcp_f32_e32 v30, v19
	;; [unrolled: 1-line block ×3, first 2 shown]
	s_delay_alu instid0(VALU_DEP_1)
	v_rcp_f32_e32 v31, v21
	v_div_scale_f32 v23, null, v7, v7, 1.0
	v_fma_f32 v36, -v10, v27, 1.0
	v_div_scale_f32 v3, vcc_lo, 1.0, v4, 1.0
	v_div_scale_f32 v11, s2, 1.0, v0, 1.0
	v_fma_f32 v35, -v2, v26, 1.0
	s_delay_alu instid0(TRANS32_DEP_3) | instskip(NEXT) | instid1(TRANS32_DEP_1)
	v_fma_f32 v39, -v19, v30, 1.0
	v_fma_f32 v40, -v21, v31, 1.0
	s_delay_alu instid0(TRANS32_DEP_2) | instskip(SKIP_3) | instid1(VALU_DEP_3)
	v_fma_f32 v38, -v14, v29, 1.0
	v_div_scale_f32 v25, null, v9, v9, 1.0
	v_dual_fmac_f32 v26, v35, v26 :: v_dual_fmac_f32 v27, v36, v27
	v_rcp_f32_e32 v32, v23
	v_dual_fmac_f32 v28, v37, v28 :: v_dual_fmac_f32 v29, v38, v29
	v_div_scale_f32 v22, s6, 1.0, v8, 1.0
	v_dual_fmac_f32 v30, v39, v30 :: v_dual_fmac_f32 v31, v40, v31
	v_mul_f32_e32 v35, v3, v26
	v_div_scale_f32 v15, s4, 1.0, v1, 1.0
	v_rcp_f32_e32 v33, v25
	s_delay_alu instid0(VALU_DEP_3)
	v_mul_f32_e32 v40, v22, v31
	v_dual_mul_f32 v36, v11, v27 :: v_dual_mul_f32 v37, v13, v28
	v_div_scale_f32 v20, s5, 1.0, v6, 1.0
	v_fma_f32 v43, -v2, v35, v3
	v_mul_f32_e32 v38, v15, v29
	v_fma_f32 v41, -v23, v32, 1.0
	s_delay_alu instid0(VALU_DEP_4)
	v_mul_f32_e32 v39, v20, v30
	v_fma_f32 v44, -v10, v36, v11
	v_fma_f32 v45, -v12, v37, v13
	v_fmac_f32_e32 v35, v43, v26
	v_fma_f32 v46, -v14, v38, v15
	v_div_scale_f32 v24, s7, 1.0, v7, 1.0
	v_fmac_f32_e32 v36, v44, v27
	v_fma_f32 v42, -v25, v33, 1.0
	v_fmac_f32_e32 v32, v41, v32
	v_fma_f32 v47, -v19, v39, v20
	v_dual_fmac_f32 v37, v45, v28 :: v_dual_fmac_f32 v38, v46, v29
	v_fma_f32 v48, -v21, v40, v22
	v_fma_f32 v2, -v2, v35, v3
	v_div_scale_f32 v34, s8, 1.0, v9, 1.0
	v_fmac_f32_e32 v33, v42, v33
	v_mul_f32_e32 v41, v24, v32
	v_fma_f32 v3, -v10, v36, v11
	v_dual_fmac_f32 v39, v47, v30 :: v_dual_fmac_f32 v40, v48, v31
	v_fma_f32 v10, -v12, v37, v13
	v_div_fmas_f32 v2, v2, v26, v35
	s_mov_b32 vcc_lo, s2
	v_fma_f32 v11, -v14, v38, v15
	v_mul_f32_e32 v42, v34, v33
	v_fma_f32 v49, -v23, v41, v24
	v_div_fmas_f32 v3, v3, v27, v36
	s_mov_b32 vcc_lo, s3
	v_fma_f32 v12, -v19, v39, v20
	v_div_fmas_f32 v10, v10, v28, v37
	s_mov_b32 vcc_lo, s4
	v_fma_f32 v13, -v21, v40, v22
	v_div_fixup_f32 v2, v2, v4, 1.0
	v_div_fmas_f32 v4, v11, v29, v38
	s_mov_b32 vcc_lo, s5
	v_fma_f32 v50, -v25, v42, v34
	v_fmac_f32_e32 v41, v49, v32
	v_div_fmas_f32 v11, v12, v30, v39
	s_mov_b32 vcc_lo, s6
	v_div_fixup_f32 v5, v10, v5, 1.0
	v_fmac_f32_e32 v42, v50, v33
	v_div_fmas_f32 v10, v13, v31, v40
	v_cmp_class_f32_e64 vcc_lo, v2, 0x1f8
	v_fma_f32 v14, -v23, v41, v24
	v_div_fixup_f32 v3, v3, v0, 1.0
	v_fma_f32 v15, -v25, v42, v34
	v_div_fixup_f32 v4, v4, v1, 1.0
	v_cndmask_b32_e32 v0, 0, v2, vcc_lo
	s_mov_b32 vcc_lo, s7
	v_div_fixup_f32 v6, v11, v6, 1.0
	v_div_fmas_f32 v12, v14, v32, v41
	v_cmp_class_f32_e64 vcc_lo, v3, 0x1f8
	s_delay_alu instid0(VALU_DEP_2)
	v_div_fixup_f32 v7, v12, v7, 1.0
	v_cndmask_b32_e32 v1, 0, v3, vcc_lo
	s_mov_b32 vcc_lo, s8
	v_div_fmas_f32 v11, v15, v33, v42
	v_cmp_class_f32_e64 vcc_lo, v5, 0x1f8
	v_cndmask_b32_e32 v2, 0, v5, vcc_lo
	v_cmp_class_f32_e64 vcc_lo, v4, 0x1f8
	v_div_fixup_f32 v5, v10, v8, 1.0
	v_div_fixup_f32 v8, v11, v9, 1.0
	v_cndmask_b32_e32 v3, 0, v4, vcc_lo
	v_cmp_class_f32_e64 vcc_lo, v6, 0x1f8
	v_cndmask_b32_e32 v4, 0, v6, vcc_lo
	v_cmp_class_f32_e64 vcc_lo, v5, 0x1f8
	;; [unrolled: 2-line block ×4, first 2 shown]
	v_cndmask_b32_e32 v7, 0, v8, vcc_lo
	s_cbranch_scc1 .LBB365_31
; %bb.4:
	v_lshlrev_b32_e32 v12, 2, v18
	s_clause 0x1
	global_load_b128 v[8:11], v12, s[10:11]
	global_load_b128 v[12:15], v12, s[10:11] offset:16
	s_waitcnt vmcnt(1)
	v_dual_add_f32 v9, v9, v1 :: v_dual_add_f32 v8, v8, v0
	v_dual_add_f32 v11, v11, v3 :: v_dual_add_f32 v10, v10, v2
	s_waitcnt vmcnt(0)
	v_dual_add_f32 v13, v13, v5 :: v_dual_add_f32 v12, v12, v4
	v_dual_add_f32 v15, v15, v7 :: v_dual_add_f32 v14, v14, v6
	s_cbranch_execnz .LBB365_6
.LBB365_5:
	v_dual_mov_b32 v15, v7 :: v_dual_mov_b32 v14, v6
	v_dual_mov_b32 v13, v5 :: v_dual_mov_b32 v12, v4
	;; [unrolled: 1-line block ×4, first 2 shown]
.LBB365_6:
	s_load_b128 s[8:11], s[0:1], 0x30
	v_cmp_eq_u32_e64 s2, 0, v17
	s_mov_b32 s6, 0
	s_waitcnt lgkmcnt(0)
	s_bitcmp1_b32 s11, 0
	s_cselect_b32 vcc_lo, -1, 0
	s_cmp_gt_i32 s8, 0
	s_cselect_b32 s5, -1, 0
	s_cmp_lt_i32 s8, 1
	s_cbranch_scc1 .LBB365_32
; %bb.7:
	v_mbcnt_lo_u32_b32 v19, -1, 0
	s_load_b128 s[12:15], s[0:1], 0x20
	s_delay_alu instid0(VALU_DEP_1)
	v_dual_mov_b32 v25, v16 :: v_dual_and_b32 v20, 16, v19
	v_xor_b32_e32 v21, 8, v19
	v_xor_b32_e32 v22, 4, v19
	;; [unrolled: 1-line block ×4, first 2 shown]
	v_add_nc_u32_e32 v20, 16, v20
	s_delay_alu instid0(VALU_DEP_1) | instskip(NEXT) | instid1(VALU_DEP_1)
	v_cmp_lt_i32_e64 s0, v21, v20
	v_cndmask_b32_e64 v21, v19, v21, s0
	v_cmp_lt_i32_e64 s0, v22, v20
	s_delay_alu instid0(VALU_DEP_2) | instskip(NEXT) | instid1(VALU_DEP_2)
	v_lshlrev_b32_e32 v21, 2, v21
	v_cndmask_b32_e64 v22, v19, v22, s0
	v_cmp_lt_i32_e64 s0, v23, v20
	s_delay_alu instid0(VALU_DEP_2) | instskip(NEXT) | instid1(VALU_DEP_2)
	v_lshlrev_b32_e32 v22, 2, v22
	v_cndmask_b32_e64 v23, v19, v23, s0
	v_cmp_lt_i32_e64 s0, v24, v20
	v_mul_lo_u32 v20, v16, s8
	s_delay_alu instid0(VALU_DEP_3) | instskip(NEXT) | instid1(VALU_DEP_3)
	v_lshlrev_b32_e32 v23, 2, v23
	v_cndmask_b32_e64 v19, v19, v24, s0
	s_delay_alu instid0(VALU_DEP_1)
	v_dual_mov_b32 v19, 0 :: v_dual_lshlrev_b32 v24, 2, v19
	s_branch .LBB365_10
.LBB365_8:                              ;   in Loop: Header=BB365_10 Depth=1
	s_or_b32 exec_lo, exec_lo, s1
.LBB365_9:                              ;   in Loop: Header=BB365_10 Depth=1
	v_add_nc_u32_e32 v25, s18, v25
	s_cmp_eq_u32 s8, s6
	s_cbranch_scc1 .LBB365_33
.LBB365_10:                             ; =>This Inner Loop Header: Depth=1
	v_cmp_gt_f32_e64 s0, v9, v8
	s_delay_alu instid0(VALU_DEP_1) | instskip(SKIP_2) | instid1(VALU_DEP_3)
	v_cndmask_b32_e64 v27, v8, v9, s0
	v_cndmask_b32_e64 v26, 0, 1, s0
	;; [unrolled: 1-line block ×3, first 2 shown]
	v_cmp_gt_f32_e64 s1, v10, v27
	s_delay_alu instid0(VALU_DEP_1) | instskip(NEXT) | instid1(VALU_DEP_4)
	v_cndmask_b32_e64 v27, v27, v10, s1
	v_cndmask_b32_e64 v26, v26, 2, s1
	s_delay_alu instid0(VALU_DEP_4) | instskip(NEXT) | instid1(VALU_DEP_3)
	v_cndmask_b32_e64 v28, v28, v2, s1
	v_cmp_gt_f32_e64 s3, v11, v27
	s_delay_alu instid0(VALU_DEP_1) | instskip(NEXT) | instid1(VALU_DEP_4)
	v_cndmask_b32_e64 v27, v27, v11, s3
	v_cndmask_b32_e64 v26, v26, 3, s3
	s_delay_alu instid0(VALU_DEP_4) | instskip(NEXT) | instid1(VALU_DEP_3)
	v_cndmask_b32_e64 v28, v28, v3, s3
	v_cmp_gt_f32_e64 s4, v12, v27
	s_delay_alu instid0(VALU_DEP_1) | instskip(NEXT) | instid1(VALU_DEP_4)
	v_cndmask_b32_e64 v27, v27, v12, s4
	v_cndmask_b32_e64 v26, v26, 4, s4
	s_delay_alu instid0(VALU_DEP_4) | instskip(SKIP_1) | instid1(VALU_DEP_3)
	v_cndmask_b32_e64 v28, v28, v4, s4
	s_mov_b32 s4, exec_lo
	v_cmp_gt_f32_e64 s0, v13, v27
	s_delay_alu instid0(VALU_DEP_1) | instskip(SKIP_2) | instid1(VALU_DEP_3)
	v_cndmask_b32_e64 v27, v27, v13, s0
	v_cndmask_b32_e64 v26, v26, 5, s0
	;; [unrolled: 1-line block ×3, first 2 shown]
	v_cmp_gt_f32_e64 s1, v14, v27
	s_delay_alu instid0(VALU_DEP_1) | instskip(NEXT) | instid1(VALU_DEP_4)
	v_cndmask_b32_e64 v27, v27, v14, s1
	v_cndmask_b32_e64 v26, v26, 6, s1
	s_waitcnt lgkmcnt(0)
	v_cndmask_b32_e64 v29, v28, v6, s1
	s_delay_alu instid0(VALU_DEP_3) | instskip(NEXT) | instid1(VALU_DEP_1)
	v_cmp_gt_f32_e64 s0, v15, v27
	v_cndmask_b32_e64 v26, v26, 7, s0
	v_cndmask_b32_e64 v28, v27, v15, s0
	s_delay_alu instid0(VALU_DEP_4) | instskip(NEXT) | instid1(VALU_DEP_3)
	v_cndmask_b32_e64 v27, v29, v7, s0
	v_or_b32_e32 v26, v18, v26
	ds_bpermute_b32 v29, v21, v28
	ds_bpermute_b32 v31, v21, v27
	;; [unrolled: 1-line block ×3, first 2 shown]
	s_waitcnt lgkmcnt(0)
	v_cmp_lt_f32_e64 s3, v28, v29
	v_cmpx_nlt_f32_e32 v28, v29
; %bb.11:                               ;   in Loop: Header=BB365_10 Depth=1
	v_cmp_eq_f32_e64 s0, v28, v29
	v_cmp_lt_i32_e64 s1, v30, v26
	s_delay_alu instid0(VALU_DEP_1) | instskip(SKIP_2) | instid1(SALU_CYCLE_1)
	s_and_b32 s0, s0, s1
	s_and_not1_b32 s1, s3, exec_lo
	s_and_b32 s0, s0, exec_lo
	s_or_b32 s3, s1, s0
; %bb.12:                               ;   in Loop: Header=BB365_10 Depth=1
	s_or_b32 exec_lo, exec_lo, s4
	s_and_saveexec_b32 s0, s3
; %bb.13:                               ;   in Loop: Header=BB365_10 Depth=1
	v_dual_mov_b32 v27, v31 :: v_dual_mov_b32 v28, v29
	v_mov_b32_e32 v26, v30
; %bb.14:                               ;   in Loop: Header=BB365_10 Depth=1
	s_or_b32 exec_lo, exec_lo, s0
	ds_bpermute_b32 v29, v22, v28
	ds_bpermute_b32 v31, v22, v27
	;; [unrolled: 1-line block ×3, first 2 shown]
	s_mov_b32 s4, exec_lo
	s_waitcnt lgkmcnt(2)
	v_cmp_lt_f32_e64 s3, v28, v29
	v_cmpx_nlt_f32_e32 v28, v29
	s_cbranch_execz .LBB365_16
; %bb.15:                               ;   in Loop: Header=BB365_10 Depth=1
	v_cmp_eq_f32_e64 s0, v28, v29
	s_waitcnt lgkmcnt(0)
	v_cmp_lt_i32_e64 s1, v30, v26
	s_delay_alu instid0(VALU_DEP_1) | instskip(SKIP_2) | instid1(SALU_CYCLE_1)
	s_and_b32 s0, s0, s1
	s_and_not1_b32 s1, s3, exec_lo
	s_and_b32 s0, s0, exec_lo
	s_or_b32 s3, s1, s0
.LBB365_16:                             ;   in Loop: Header=BB365_10 Depth=1
	s_or_b32 exec_lo, exec_lo, s4
	s_delay_alu instid0(VALU_DEP_2)
	s_and_saveexec_b32 s0, s3
	s_cbranch_execz .LBB365_18
; %bb.17:                               ;   in Loop: Header=BB365_10 Depth=1
	s_waitcnt lgkmcnt(1)
	v_dual_mov_b32 v27, v31 :: v_dual_mov_b32 v28, v29
	s_waitcnt lgkmcnt(0)
	v_mov_b32_e32 v26, v30
.LBB365_18:                             ;   in Loop: Header=BB365_10 Depth=1
	s_or_b32 exec_lo, exec_lo, s0
	ds_bpermute_b32 v29, v23, v28
	s_waitcnt lgkmcnt(2)
	ds_bpermute_b32 v31, v23, v27
	s_waitcnt lgkmcnt(2)
	ds_bpermute_b32 v30, v23, v26
	s_mov_b32 s4, exec_lo
	s_waitcnt lgkmcnt(2)
	v_cmp_lt_f32_e64 s3, v28, v29
	v_cmpx_nlt_f32_e32 v28, v29
	s_cbranch_execz .LBB365_20
; %bb.19:                               ;   in Loop: Header=BB365_10 Depth=1
	v_cmp_eq_f32_e64 s0, v28, v29
	s_waitcnt lgkmcnt(0)
	v_cmp_lt_i32_e64 s1, v30, v26
	s_delay_alu instid0(VALU_DEP_1) | instskip(SKIP_2) | instid1(SALU_CYCLE_1)
	s_and_b32 s0, s0, s1
	s_and_not1_b32 s1, s3, exec_lo
	s_and_b32 s0, s0, exec_lo
	s_or_b32 s3, s1, s0
.LBB365_20:                             ;   in Loop: Header=BB365_10 Depth=1
	s_or_b32 exec_lo, exec_lo, s4
	s_delay_alu instid0(VALU_DEP_2)
	s_and_saveexec_b32 s0, s3
	s_cbranch_execz .LBB365_22
; %bb.21:                               ;   in Loop: Header=BB365_10 Depth=1
	s_waitcnt lgkmcnt(1)
	v_dual_mov_b32 v27, v31 :: v_dual_mov_b32 v28, v29
	s_waitcnt lgkmcnt(0)
	v_mov_b32_e32 v26, v30
.LBB365_22:                             ;   in Loop: Header=BB365_10 Depth=1
	s_or_b32 exec_lo, exec_lo, s0
	s_waitcnt lgkmcnt(1)
	ds_bpermute_b32 v31, v24, v28
	ds_bpermute_b32 v29, v24, v27
	s_waitcnt lgkmcnt(2)
	ds_bpermute_b32 v30, v24, v26
	s_mov_b32 s4, exec_lo
	s_waitcnt lgkmcnt(2)
	v_cmp_lt_f32_e64 s3, v28, v31
	v_cmpx_nlt_f32_e32 v28, v31
	s_cbranch_execnz .LBB365_26
; %bb.23:                               ;   in Loop: Header=BB365_10 Depth=1
	s_or_b32 exec_lo, exec_lo, s4
	s_delay_alu instid0(VALU_DEP_2)
	s_and_saveexec_b32 s0, s3
	s_cbranch_execnz .LBB365_27
.LBB365_24:                             ;   in Loop: Header=BB365_10 Depth=1
	s_or_b32 exec_lo, exec_lo, s0
	s_and_saveexec_b32 s3, s2
	s_cbranch_execnz .LBB365_28
.LBB365_25:                             ;   in Loop: Header=BB365_10 Depth=1
	s_or_b32 exec_lo, exec_lo, s3
	s_add_i32 s6, s6, 1
	s_delay_alu instid0(SALU_CYCLE_1)
	s_cmp_ge_i32 s6, s8
	s_cbranch_scc1 .LBB365_9
	s_branch .LBB365_29
.LBB365_26:                             ;   in Loop: Header=BB365_10 Depth=1
	v_cmp_eq_f32_e64 s0, v28, v31
	s_waitcnt lgkmcnt(0)
	v_cmp_lt_i32_e64 s1, v30, v26
	s_delay_alu instid0(VALU_DEP_1) | instskip(SKIP_2) | instid1(SALU_CYCLE_1)
	s_and_b32 s0, s0, s1
	s_and_not1_b32 s1, s3, exec_lo
	s_and_b32 s0, s0, exec_lo
	s_or_b32 s3, s1, s0
	s_or_b32 exec_lo, exec_lo, s4
	s_and_saveexec_b32 s0, s3
	s_cbranch_execz .LBB365_24
.LBB365_27:                             ;   in Loop: Header=BB365_10 Depth=1
	s_waitcnt lgkmcnt(0)
	v_dual_mov_b32 v26, v30 :: v_dual_mov_b32 v27, v29
	s_or_b32 exec_lo, exec_lo, s0
	s_and_saveexec_b32 s3, s2
	s_cbranch_execz .LBB365_25
.LBB365_28:                             ;   in Loop: Header=BB365_10 Depth=1
	v_add_nc_u32_e32 v28, s6, v20
	v_subrev_nc_u32_e32 v32, s9, v26
	v_cmp_le_i32_e64 s0, s9, v26
	v_cmp_gt_i32_e64 s1, s10, v26
	v_add_f32_e32 v36, v19, v27
	s_waitcnt lgkmcnt(1)
	v_ashrrev_i32_e32 v29, 31, v28
	v_ashrrev_i32_e32 v33, 31, v32
	s_and_b32 s0, s0, s1
	v_cndmask_b32_e32 v19, v19, v36, vcc_lo
	s_waitcnt lgkmcnt(0)
	v_lshlrev_b64 v[30:31], 2, v[28:29]
	v_lshlrev_b64 v[28:29], 3, v[28:29]
	s_and_b32 s0, s19, s0
	s_delay_alu instid0(SALU_CYCLE_1) | instskip(SKIP_1) | instid1(VALU_DEP_4)
	v_cndmask_b32_e64 v33, 0, v33, s0
	v_cndmask_b32_e64 v32, 0x80, v32, s0
	v_add_co_u32 v34, s0, s16, v30
	s_delay_alu instid0(VALU_DEP_1) | instskip(SKIP_1) | instid1(VALU_DEP_1)
	v_add_co_ci_u32_e64 v35, s0, s17, v31, s0
	v_add_co_u32 v28, s0, s12, v28
	v_add_co_ci_u32_e64 v29, s0, s13, v29, s0
	v_add_co_u32 v30, s0, s14, v30
	s_delay_alu instid0(VALU_DEP_1)
	v_add_co_ci_u32_e64 v31, s0, s15, v31, s0
	global_store_b32 v[34:35], v27, off
	global_store_b64 v[28:29], v[32:33], off
	global_store_b32 v[30:31], v25, off
	s_or_b32 exec_lo, exec_lo, s3
	s_add_i32 s6, s6, 1
	s_delay_alu instid0(SALU_CYCLE_1)
	s_cmp_ge_i32 s6, s8
	s_cbranch_scc1 .LBB365_9
.LBB365_29:                             ;   in Loop: Header=BB365_10 Depth=1
	v_ashrrev_i32_e32 v28, 31, v26
	s_mov_b32 s1, exec_lo
	s_delay_alu instid0(VALU_DEP_1) | instskip(NEXT) | instid1(VALU_DEP_1)
	v_lshrrev_b32_e32 v27, 29, v28
	v_add_nc_u32_e32 v27, v26, v27
	s_delay_alu instid0(VALU_DEP_1) | instskip(SKIP_1) | instid1(VALU_DEP_1)
	v_ashrrev_i32_e32 v27, 3, v27
	s_waitcnt lgkmcnt(1)
	v_lshrrev_b32_e32 v29, 28, v27
	s_delay_alu instid0(VALU_DEP_1) | instskip(NEXT) | instid1(VALU_DEP_1)
	v_add_nc_u32_e32 v29, v27, v29
	v_and_b32_e32 v29, -16, v29
	s_delay_alu instid0(VALU_DEP_1) | instskip(NEXT) | instid1(VALU_DEP_1)
	v_sub_nc_u32_e32 v29, v27, v29
	v_cmpx_eq_u32_e64 v17, v29
	s_cbranch_execz .LBB365_8
; %bb.30:                               ;   in Loop: Header=BB365_10 Depth=1
	v_lshrrev_b32_e32 v28, 25, v28
	v_lshlrev_b32_e32 v27, 3, v27
	s_delay_alu instid0(VALU_DEP_2) | instskip(NEXT) | instid1(VALU_DEP_2)
	v_add_nc_u32_e32 v28, v26, v28
	v_sub_nc_u32_e32 v26, v26, v27
	s_delay_alu instid0(VALU_DEP_2) | instskip(NEXT) | instid1(VALU_DEP_1)
	v_ashrrev_i32_e32 v27, 7, v28
	v_lshl_add_u32 v26, v27, 3, v26
	s_delay_alu instid0(VALU_DEP_1) | instskip(NEXT) | instid1(VALU_DEP_1)
	v_cmp_ne_u32_e64 s0, 7, v26
	v_cndmask_b32_e64 v15, 0xc61c4000, v15, s0
	v_cmp_ne_u32_e64 s0, 6, v26
	s_delay_alu instid0(VALU_DEP_1) | instskip(SKIP_1) | instid1(VALU_DEP_1)
	v_cndmask_b32_e64 v14, 0xc61c4000, v14, s0
	v_cmp_ne_u32_e64 s0, 5, v26
	v_cndmask_b32_e64 v13, 0xc61c4000, v13, s0
	v_cmp_ne_u32_e64 s0, 4, v26
	s_delay_alu instid0(VALU_DEP_1) | instskip(SKIP_1) | instid1(VALU_DEP_1)
	v_cndmask_b32_e64 v12, 0xc61c4000, v12, s0
	;; [unrolled: 5-line block ×3, first 2 shown]
	v_cmp_ne_u32_e64 s0, 1, v26
	v_cndmask_b32_e64 v9, 0xc61c4000, v9, s0
	v_cmp_ne_u32_e64 s0, 0, v26
	s_delay_alu instid0(VALU_DEP_1)
	v_cndmask_b32_e64 v8, 0xc61c4000, v8, s0
	s_branch .LBB365_8
.LBB365_31:
                                        ; implicit-def: $vgpr8_vgpr9_vgpr10_vgpr11_vgpr12_vgpr13_vgpr14_vgpr15
	s_and_not1_b32 vcc_lo, exec_lo, s9
	s_cbranch_vccz .LBB365_5
	s_branch .LBB365_6
.LBB365_32:
	v_mov_b32_e32 v19, 0
.LBB365_33:
	v_cmp_eq_u32_e64 s0, 0, v17
	s_delay_alu instid0(VALU_DEP_1) | instskip(NEXT) | instid1(SALU_CYCLE_1)
	s_and_b32 s0, s0, vcc_lo
	s_and_b32 exec_lo, exec_lo, s0
	s_cbranch_execz .LBB365_37
; %bb.34:
	s_and_not1_b32 vcc_lo, exec_lo, s5
	s_cbranch_vccnz .LBB365_37
; %bb.35:
	v_mul_lo_u32 v0, v16, s8
	v_cmp_lt_f32_e32 vcc_lo, 0, v19
	v_cndmask_b32_e32 v2, 1.0, v19, vcc_lo
	s_delay_alu instid0(VALU_DEP_3) | instskip(NEXT) | instid1(VALU_DEP_1)
	v_ashrrev_i32_e32 v1, 31, v0
	v_lshlrev_b64 v[0:1], 2, v[0:1]
	s_delay_alu instid0(VALU_DEP_1) | instskip(NEXT) | instid1(VALU_DEP_2)
	v_add_co_u32 v0, vcc_lo, s16, v0
	v_add_co_ci_u32_e32 v1, vcc_lo, s17, v1, vcc_lo
	.p2align	6
.LBB365_36:                             ; =>This Inner Loop Header: Depth=1
	global_load_b32 v3, v[0:1], off
	s_add_i32 s8, s8, -1
	s_delay_alu instid0(SALU_CYCLE_1) | instskip(SKIP_3) | instid1(VALU_DEP_2)
	s_cmp_lg_u32 s8, 0
	s_waitcnt vmcnt(0)
	v_div_scale_f32 v4, null, v2, v2, v3
	v_div_scale_f32 v7, vcc_lo, v3, v2, v3
	v_rcp_f32_e32 v5, v4
	s_waitcnt_depctr 0xfff
	v_fma_f32 v6, -v4, v5, 1.0
	s_delay_alu instid0(VALU_DEP_1) | instskip(NEXT) | instid1(VALU_DEP_1)
	v_fmac_f32_e32 v5, v6, v5
	v_mul_f32_e32 v6, v7, v5
	s_delay_alu instid0(VALU_DEP_1) | instskip(NEXT) | instid1(VALU_DEP_1)
	v_fma_f32 v8, -v4, v6, v7
	v_fmac_f32_e32 v6, v8, v5
	s_delay_alu instid0(VALU_DEP_1) | instskip(NEXT) | instid1(VALU_DEP_1)
	v_fma_f32 v4, -v4, v6, v7
	v_div_fmas_f32 v4, v4, v5, v6
	s_delay_alu instid0(VALU_DEP_1)
	v_div_fixup_f32 v3, v4, v2, v3
	global_store_b32 v[0:1], v3, off
	v_add_co_u32 v0, vcc_lo, v0, 4
	v_add_co_ci_u32_e32 v1, vcc_lo, 0, v1, vcc_lo
	s_cbranch_scc1 .LBB365_36
.LBB365_37:
	s_nop 0
	s_sendmsg sendmsg(MSG_DEALLOC_VGPRS)
	s_endpgm
	.section	.rodata,"a",@progbits
	.p2align	6, 0x0
	.amdhsa_kernel _ZN4vllm3moe10topkGatingILi8ELi128ELi4ELi16ELi64El14__hip_bfloat16LNS0_11ScoringFuncE1EEEvPKT5_PKbPfiPT4_PiiiibPKf
		.amdhsa_group_segment_fixed_size 0
		.amdhsa_private_segment_fixed_size 0
		.amdhsa_kernarg_size 72
		.amdhsa_user_sgpr_count 15
		.amdhsa_user_sgpr_dispatch_ptr 0
		.amdhsa_user_sgpr_queue_ptr 0
		.amdhsa_user_sgpr_kernarg_segment_ptr 1
		.amdhsa_user_sgpr_dispatch_id 0
		.amdhsa_user_sgpr_private_segment_size 0
		.amdhsa_wavefront_size32 1
		.amdhsa_uses_dynamic_stack 0
		.amdhsa_enable_private_segment 0
		.amdhsa_system_sgpr_workgroup_id_x 1
		.amdhsa_system_sgpr_workgroup_id_y 0
		.amdhsa_system_sgpr_workgroup_id_z 0
		.amdhsa_system_sgpr_workgroup_info 0
		.amdhsa_system_vgpr_workitem_id 1
		.amdhsa_next_free_vgpr 51
		.amdhsa_next_free_sgpr 20
		.amdhsa_reserve_vcc 1
		.amdhsa_float_round_mode_32 0
		.amdhsa_float_round_mode_16_64 0
		.amdhsa_float_denorm_mode_32 3
		.amdhsa_float_denorm_mode_16_64 3
		.amdhsa_dx10_clamp 1
		.amdhsa_ieee_mode 1
		.amdhsa_fp16_overflow 0
		.amdhsa_workgroup_processor_mode 1
		.amdhsa_memory_ordered 1
		.amdhsa_forward_progress 0
		.amdhsa_shared_vgpr_count 0
		.amdhsa_exception_fp_ieee_invalid_op 0
		.amdhsa_exception_fp_denorm_src 0
		.amdhsa_exception_fp_ieee_div_zero 0
		.amdhsa_exception_fp_ieee_overflow 0
		.amdhsa_exception_fp_ieee_underflow 0
		.amdhsa_exception_fp_ieee_inexact 0
		.amdhsa_exception_int_div_zero 0
	.end_amdhsa_kernel
	.section	.text._ZN4vllm3moe10topkGatingILi8ELi128ELi4ELi16ELi64El14__hip_bfloat16LNS0_11ScoringFuncE1EEEvPKT5_PKbPfiPT4_PiiiibPKf,"axG",@progbits,_ZN4vllm3moe10topkGatingILi8ELi128ELi4ELi16ELi64El14__hip_bfloat16LNS0_11ScoringFuncE1EEEvPKT5_PKbPfiPT4_PiiiibPKf,comdat
.Lfunc_end365:
	.size	_ZN4vllm3moe10topkGatingILi8ELi128ELi4ELi16ELi64El14__hip_bfloat16LNS0_11ScoringFuncE1EEEvPKT5_PKbPfiPT4_PiiiibPKf, .Lfunc_end365-_ZN4vllm3moe10topkGatingILi8ELi128ELi4ELi16ELi64El14__hip_bfloat16LNS0_11ScoringFuncE1EEEvPKT5_PKbPfiPT4_PiiiibPKf
                                        ; -- End function
	.section	.AMDGPU.csdata,"",@progbits
; Kernel info:
; codeLenInByte = 3120
; NumSgprs: 22
; NumVgprs: 51
; ScratchSize: 0
; MemoryBound: 0
; FloatMode: 240
; IeeeMode: 1
; LDSByteSize: 0 bytes/workgroup (compile time only)
; SGPRBlocks: 2
; VGPRBlocks: 6
; NumSGPRsForWavesPerEU: 22
; NumVGPRsForWavesPerEU: 51
; Occupancy: 16
; WaveLimiterHint : 0
; COMPUTE_PGM_RSRC2:SCRATCH_EN: 0
; COMPUTE_PGM_RSRC2:USER_SGPR: 15
; COMPUTE_PGM_RSRC2:TRAP_HANDLER: 0
; COMPUTE_PGM_RSRC2:TGID_X_EN: 1
; COMPUTE_PGM_RSRC2:TGID_Y_EN: 0
; COMPUTE_PGM_RSRC2:TGID_Z_EN: 0
; COMPUTE_PGM_RSRC2:TIDIG_COMP_CNT: 1
	.section	.text._ZN4vllm3moe10topkGatingILi8ELi128ELi4ELi16ELi32El14__hip_bfloat16LNS0_11ScoringFuncE1EEEvPKT5_PKbPfiPT4_PiiiibPKf,"axG",@progbits,_ZN4vllm3moe10topkGatingILi8ELi128ELi4ELi16ELi32El14__hip_bfloat16LNS0_11ScoringFuncE1EEEvPKT5_PKbPfiPT4_PiiiibPKf,comdat
	.protected	_ZN4vllm3moe10topkGatingILi8ELi128ELi4ELi16ELi32El14__hip_bfloat16LNS0_11ScoringFuncE1EEEvPKT5_PKbPfiPT4_PiiiibPKf ; -- Begin function _ZN4vllm3moe10topkGatingILi8ELi128ELi4ELi16ELi32El14__hip_bfloat16LNS0_11ScoringFuncE1EEEvPKT5_PKbPfiPT4_PiiiibPKf
	.globl	_ZN4vllm3moe10topkGatingILi8ELi128ELi4ELi16ELi32El14__hip_bfloat16LNS0_11ScoringFuncE1EEEvPKT5_PKbPfiPT4_PiiiibPKf
	.p2align	8
	.type	_ZN4vllm3moe10topkGatingILi8ELi128ELi4ELi16ELi32El14__hip_bfloat16LNS0_11ScoringFuncE1EEEvPKT5_PKbPfiPT4_PiiiibPKf,@function
_ZN4vllm3moe10topkGatingILi8ELi128ELi4ELi16ELi32El14__hip_bfloat16LNS0_11ScoringFuncE1EEEvPKT5_PKbPfiPT4_PiiiibPKf: ; @_ZN4vllm3moe10topkGatingILi8ELi128ELi4ELi16ELi32El14__hip_bfloat16LNS0_11ScoringFuncE1EEEvPKT5_PKbPfiPT4_PiiiibPKf
; %bb.0:
	s_load_b32 s18, s[0:1], 0x18
	v_bfe_u32 v1, v0, 10, 10
	v_and_b32_e32 v0, 0x3ff, v0
	s_lshl_b32 s2, s15, 3
	s_delay_alu instid0(VALU_DEP_2) | instskip(NEXT) | instid1(VALU_DEP_2)
	v_lshlrev_b32_e32 v1, 1, v1
	v_lshrrev_b32_e32 v2, 4, v0
	s_delay_alu instid0(VALU_DEP_1) | instskip(SKIP_2) | instid1(VALU_DEP_1)
	v_add3_u32 v16, s2, v1, v2
	s_mov_b32 s2, exec_lo
	s_waitcnt lgkmcnt(0)
	v_cmpx_gt_i32_e64 s18, v16
	s_cbranch_execz .LBB366_37
; %bb.1:
	s_clause 0x1
	s_load_b128 s[4:7], s[0:1], 0x0
	s_load_b64 s[16:17], s[0:1], 0x10
	s_mov_b32 s9, -1
	s_mov_b32 s19, -1
	s_waitcnt lgkmcnt(0)
	s_cmp_eq_u64 s[6:7], 0
	s_cbranch_scc1 .LBB366_3
; %bb.2:
	v_ashrrev_i32_e32 v2, 31, v16
	v_add_co_u32 v1, vcc_lo, s6, v16
	s_delay_alu instid0(VALU_DEP_2) | instskip(SKIP_3) | instid1(VALU_DEP_1)
	v_add_co_ci_u32_e32 v2, vcc_lo, s7, v2, vcc_lo
	global_load_u8 v1, v[1:2], off
	s_waitcnt vmcnt(0)
	v_and_b32_e32 v1, 1, v1
	v_cmp_eq_u32_e32 vcc_lo, 1, v1
	s_xor_b32 s2, vcc_lo, -1
	s_delay_alu instid0(SALU_CYCLE_1)
	s_or_not1_b32 s19, s2, exec_lo
.LBB366_3:
	v_lshlrev_b32_e32 v1, 7, v16
	v_and_b32_e32 v17, 15, v0
	s_load_b64 s[10:11], s[0:1], 0x40
	s_delay_alu instid0(VALU_DEP_2) | instskip(NEXT) | instid1(VALU_DEP_1)
	v_ashrrev_i32_e32 v2, 31, v1
	v_lshlrev_b64 v[0:1], 1, v[1:2]
	s_delay_alu instid0(VALU_DEP_3) | instskip(NEXT) | instid1(VALU_DEP_2)
	v_lshlrev_b32_e32 v2, 4, v17
	v_add_co_u32 v0, vcc_lo, s4, v0
	s_delay_alu instid0(VALU_DEP_3) | instskip(NEXT) | instid1(VALU_DEP_2)
	v_add_co_ci_u32_e32 v1, vcc_lo, s5, v1, vcc_lo
	v_add_co_u32 v0, vcc_lo, v0, v2
	s_delay_alu instid0(VALU_DEP_2)
	v_add_co_ci_u32_e32 v1, vcc_lo, 0, v1, vcc_lo
	s_waitcnt lgkmcnt(0)
	s_cmp_eq_u64 s[10:11], 0
	global_load_b128 v[0:3], v[0:1], off
	s_waitcnt vmcnt(0)
	v_lshlrev_b32_e32 v5, 16, v1
	s_delay_alu instid0(VALU_DEP_1) | instskip(NEXT) | instid1(VALU_DEP_1)
	v_dual_mul_f32 v5, 0xbfb8aa3b, v5 :: v_dual_lshlrev_b32 v4, 16, v0
	v_mul_f32_e32 v4, 0xbfb8aa3b, v4
	s_delay_alu instid0(VALU_DEP_2) | instskip(NEXT) | instid1(VALU_DEP_1)
	v_exp_f32_e32 v5, v5
	v_exp_f32_e32 v4, v4
	v_and_b32_e32 v1, 0xffff0000, v1
	s_waitcnt_depctr 0xfff
	v_dual_add_f32 v5, 1.0, v5 :: v_dual_and_b32 v0, 0xffff0000, v0
	v_add_f32_e32 v4, 1.0, v4
	v_dual_mul_f32 v1, 0xbfb8aa3b, v1 :: v_dual_lshlrev_b32 v6, 16, v2
	s_delay_alu instid0(VALU_DEP_3) | instskip(NEXT) | instid1(VALU_DEP_4)
	v_dual_mul_f32 v0, 0xbfb8aa3b, v0 :: v_dual_lshlrev_b32 v7, 16, v3
	v_div_scale_f32 v12, null, v5, v5, 1.0
	s_delay_alu instid0(VALU_DEP_3) | instskip(SKIP_1) | instid1(VALU_DEP_3)
	v_exp_f32_e32 v1, v1
	v_and_b32_e32 v2, 0xffff0000, v2
	v_exp_f32_e32 v0, v0
	v_and_b32_e32 v3, 0xffff0000, v3
	v_dual_mul_f32 v6, 0xbfb8aa3b, v6 :: v_dual_mul_f32 v7, 0xbfb8aa3b, v7
	v_rcp_f32_e32 v28, v12
	v_div_scale_f32 v13, s3, 1.0, v5, 1.0
	s_delay_alu instid0(VALU_DEP_2) | instskip(SKIP_1) | instid1(TRANS32_DEP_3)
	v_exp_f32_e32 v6, v6
	v_dual_add_f32 v1, 1.0, v1 :: v_dual_mul_f32 v2, 0xbfb8aa3b, v2
	v_dual_add_f32 v0, 1.0, v0 :: v_dual_mul_f32 v3, 0xbfb8aa3b, v3
	v_lshlrev_b32_e32 v18, 3, v17
	v_exp_f32_e32 v7, v7
	s_delay_alu instid0(VALU_DEP_3) | instskip(NEXT) | instid1(VALU_DEP_2)
	v_exp_f32_e32 v2, v2
	v_div_scale_f32 v10, null, v0, v0, 1.0
	v_exp_f32_e32 v3, v3
	v_add_f32_e32 v6, 1.0, v6
	v_div_scale_f32 v14, null, v1, v1, 1.0
	s_delay_alu instid0(VALU_DEP_3) | instskip(SKIP_1) | instid1(TRANS32_DEP_3)
	v_rcp_f32_e32 v27, v10
	v_fma_f32 v37, -v12, v28, 1.0
	v_dual_add_f32 v7, 1.0, v7 :: v_dual_add_f32 v8, 1.0, v2
	v_div_scale_f32 v2, null, v4, v4, 1.0
	s_delay_alu instid0(TRANS32_DEP_2) | instskip(SKIP_1) | instid1(VALU_DEP_4)
	v_add_f32_e32 v9, 1.0, v3
	v_div_scale_f32 v19, null, v6, v6, 1.0
	v_div_scale_f32 v21, null, v8, v8, 1.0
	s_delay_alu instid0(VALU_DEP_4) | instskip(NEXT) | instid1(VALU_DEP_2)
	v_rcp_f32_e32 v26, v2
	v_rcp_f32_e32 v30, v19
	;; [unrolled: 1-line block ×3, first 2 shown]
	s_delay_alu instid0(VALU_DEP_1)
	v_rcp_f32_e32 v31, v21
	v_div_scale_f32 v23, null, v7, v7, 1.0
	v_fma_f32 v36, -v10, v27, 1.0
	v_div_scale_f32 v3, vcc_lo, 1.0, v4, 1.0
	v_div_scale_f32 v11, s2, 1.0, v0, 1.0
	v_fma_f32 v35, -v2, v26, 1.0
	s_delay_alu instid0(TRANS32_DEP_3) | instskip(NEXT) | instid1(TRANS32_DEP_1)
	v_fma_f32 v39, -v19, v30, 1.0
	v_fma_f32 v40, -v21, v31, 1.0
	s_delay_alu instid0(TRANS32_DEP_2) | instskip(SKIP_3) | instid1(VALU_DEP_3)
	v_fma_f32 v38, -v14, v29, 1.0
	v_div_scale_f32 v25, null, v9, v9, 1.0
	v_dual_fmac_f32 v26, v35, v26 :: v_dual_fmac_f32 v27, v36, v27
	v_rcp_f32_e32 v32, v23
	v_dual_fmac_f32 v28, v37, v28 :: v_dual_fmac_f32 v29, v38, v29
	v_div_scale_f32 v22, s6, 1.0, v8, 1.0
	v_dual_fmac_f32 v30, v39, v30 :: v_dual_fmac_f32 v31, v40, v31
	v_mul_f32_e32 v35, v3, v26
	v_div_scale_f32 v15, s4, 1.0, v1, 1.0
	v_rcp_f32_e32 v33, v25
	s_delay_alu instid0(VALU_DEP_3)
	v_mul_f32_e32 v40, v22, v31
	v_dual_mul_f32 v36, v11, v27 :: v_dual_mul_f32 v37, v13, v28
	v_div_scale_f32 v20, s5, 1.0, v6, 1.0
	v_fma_f32 v43, -v2, v35, v3
	v_mul_f32_e32 v38, v15, v29
	v_fma_f32 v41, -v23, v32, 1.0
	s_delay_alu instid0(VALU_DEP_4)
	v_mul_f32_e32 v39, v20, v30
	v_fma_f32 v44, -v10, v36, v11
	v_fma_f32 v45, -v12, v37, v13
	v_fmac_f32_e32 v35, v43, v26
	v_fma_f32 v46, -v14, v38, v15
	v_div_scale_f32 v24, s7, 1.0, v7, 1.0
	v_fmac_f32_e32 v36, v44, v27
	v_fma_f32 v42, -v25, v33, 1.0
	v_fmac_f32_e32 v32, v41, v32
	v_fma_f32 v47, -v19, v39, v20
	v_dual_fmac_f32 v37, v45, v28 :: v_dual_fmac_f32 v38, v46, v29
	v_fma_f32 v48, -v21, v40, v22
	v_fma_f32 v2, -v2, v35, v3
	v_div_scale_f32 v34, s8, 1.0, v9, 1.0
	v_fmac_f32_e32 v33, v42, v33
	v_mul_f32_e32 v41, v24, v32
	v_fma_f32 v3, -v10, v36, v11
	v_dual_fmac_f32 v39, v47, v30 :: v_dual_fmac_f32 v40, v48, v31
	v_fma_f32 v10, -v12, v37, v13
	v_div_fmas_f32 v2, v2, v26, v35
	s_mov_b32 vcc_lo, s2
	v_fma_f32 v11, -v14, v38, v15
	v_mul_f32_e32 v42, v34, v33
	v_fma_f32 v49, -v23, v41, v24
	v_div_fmas_f32 v3, v3, v27, v36
	s_mov_b32 vcc_lo, s3
	v_fma_f32 v12, -v19, v39, v20
	v_div_fmas_f32 v10, v10, v28, v37
	s_mov_b32 vcc_lo, s4
	v_fma_f32 v13, -v21, v40, v22
	v_div_fixup_f32 v2, v2, v4, 1.0
	v_div_fmas_f32 v4, v11, v29, v38
	s_mov_b32 vcc_lo, s5
	v_fma_f32 v50, -v25, v42, v34
	v_fmac_f32_e32 v41, v49, v32
	v_div_fmas_f32 v11, v12, v30, v39
	s_mov_b32 vcc_lo, s6
	v_div_fixup_f32 v5, v10, v5, 1.0
	v_fmac_f32_e32 v42, v50, v33
	v_div_fmas_f32 v10, v13, v31, v40
	v_cmp_class_f32_e64 vcc_lo, v2, 0x1f8
	v_fma_f32 v14, -v23, v41, v24
	v_div_fixup_f32 v3, v3, v0, 1.0
	v_fma_f32 v15, -v25, v42, v34
	v_div_fixup_f32 v4, v4, v1, 1.0
	v_cndmask_b32_e32 v0, 0, v2, vcc_lo
	s_mov_b32 vcc_lo, s7
	v_div_fixup_f32 v6, v11, v6, 1.0
	v_div_fmas_f32 v12, v14, v32, v41
	v_cmp_class_f32_e64 vcc_lo, v3, 0x1f8
	s_delay_alu instid0(VALU_DEP_2)
	v_div_fixup_f32 v7, v12, v7, 1.0
	v_cndmask_b32_e32 v1, 0, v3, vcc_lo
	s_mov_b32 vcc_lo, s8
	v_div_fmas_f32 v11, v15, v33, v42
	v_cmp_class_f32_e64 vcc_lo, v5, 0x1f8
	v_cndmask_b32_e32 v2, 0, v5, vcc_lo
	v_cmp_class_f32_e64 vcc_lo, v4, 0x1f8
	v_div_fixup_f32 v5, v10, v8, 1.0
	v_div_fixup_f32 v8, v11, v9, 1.0
	v_cndmask_b32_e32 v3, 0, v4, vcc_lo
	v_cmp_class_f32_e64 vcc_lo, v6, 0x1f8
	v_cndmask_b32_e32 v4, 0, v6, vcc_lo
	v_cmp_class_f32_e64 vcc_lo, v5, 0x1f8
	;; [unrolled: 2-line block ×4, first 2 shown]
	v_cndmask_b32_e32 v7, 0, v8, vcc_lo
	s_cbranch_scc1 .LBB366_31
; %bb.4:
	v_lshlrev_b32_e32 v12, 2, v18
	s_clause 0x1
	global_load_b128 v[8:11], v12, s[10:11]
	global_load_b128 v[12:15], v12, s[10:11] offset:16
	s_waitcnt vmcnt(1)
	v_dual_add_f32 v9, v9, v1 :: v_dual_add_f32 v8, v8, v0
	v_dual_add_f32 v11, v11, v3 :: v_dual_add_f32 v10, v10, v2
	s_waitcnt vmcnt(0)
	v_dual_add_f32 v13, v13, v5 :: v_dual_add_f32 v12, v12, v4
	v_dual_add_f32 v15, v15, v7 :: v_dual_add_f32 v14, v14, v6
	s_cbranch_execnz .LBB366_6
.LBB366_5:
	v_dual_mov_b32 v15, v7 :: v_dual_mov_b32 v14, v6
	v_dual_mov_b32 v13, v5 :: v_dual_mov_b32 v12, v4
	v_dual_mov_b32 v11, v3 :: v_dual_mov_b32 v10, v2
	v_dual_mov_b32 v9, v1 :: v_dual_mov_b32 v8, v0
.LBB366_6:
	s_load_b128 s[8:11], s[0:1], 0x30
	v_cmp_eq_u32_e64 s2, 0, v17
	s_mov_b32 s6, 0
	s_waitcnt lgkmcnt(0)
	s_bitcmp1_b32 s11, 0
	s_cselect_b32 vcc_lo, -1, 0
	s_cmp_gt_i32 s8, 0
	s_cselect_b32 s5, -1, 0
	s_cmp_lt_i32 s8, 1
	s_cbranch_scc1 .LBB366_32
; %bb.7:
	v_mbcnt_lo_u32_b32 v19, -1, 0
	s_load_b128 s[12:15], s[0:1], 0x20
	s_delay_alu instid0(VALU_DEP_1)
	v_dual_mov_b32 v25, v16 :: v_dual_and_b32 v20, 16, v19
	v_xor_b32_e32 v21, 8, v19
	v_xor_b32_e32 v22, 4, v19
	;; [unrolled: 1-line block ×4, first 2 shown]
	v_add_nc_u32_e32 v20, 16, v20
	s_delay_alu instid0(VALU_DEP_1) | instskip(NEXT) | instid1(VALU_DEP_1)
	v_cmp_lt_i32_e64 s0, v21, v20
	v_cndmask_b32_e64 v21, v19, v21, s0
	v_cmp_lt_i32_e64 s0, v22, v20
	s_delay_alu instid0(VALU_DEP_2) | instskip(NEXT) | instid1(VALU_DEP_2)
	v_lshlrev_b32_e32 v21, 2, v21
	v_cndmask_b32_e64 v22, v19, v22, s0
	v_cmp_lt_i32_e64 s0, v23, v20
	s_delay_alu instid0(VALU_DEP_2) | instskip(NEXT) | instid1(VALU_DEP_2)
	v_lshlrev_b32_e32 v22, 2, v22
	v_cndmask_b32_e64 v23, v19, v23, s0
	v_cmp_lt_i32_e64 s0, v24, v20
	v_mul_lo_u32 v20, v16, s8
	s_delay_alu instid0(VALU_DEP_3) | instskip(NEXT) | instid1(VALU_DEP_3)
	v_lshlrev_b32_e32 v23, 2, v23
	v_cndmask_b32_e64 v19, v19, v24, s0
	s_delay_alu instid0(VALU_DEP_1)
	v_dual_mov_b32 v19, 0 :: v_dual_lshlrev_b32 v24, 2, v19
	s_branch .LBB366_10
.LBB366_8:                              ;   in Loop: Header=BB366_10 Depth=1
	s_or_b32 exec_lo, exec_lo, s1
.LBB366_9:                              ;   in Loop: Header=BB366_10 Depth=1
	v_add_nc_u32_e32 v25, s18, v25
	s_cmp_eq_u32 s8, s6
	s_cbranch_scc1 .LBB366_33
.LBB366_10:                             ; =>This Inner Loop Header: Depth=1
	v_cmp_gt_f32_e64 s0, v9, v8
	s_delay_alu instid0(VALU_DEP_1) | instskip(SKIP_2) | instid1(VALU_DEP_3)
	v_cndmask_b32_e64 v27, v8, v9, s0
	v_cndmask_b32_e64 v26, 0, 1, s0
	;; [unrolled: 1-line block ×3, first 2 shown]
	v_cmp_gt_f32_e64 s1, v10, v27
	s_delay_alu instid0(VALU_DEP_1) | instskip(NEXT) | instid1(VALU_DEP_4)
	v_cndmask_b32_e64 v27, v27, v10, s1
	v_cndmask_b32_e64 v26, v26, 2, s1
	s_delay_alu instid0(VALU_DEP_4) | instskip(NEXT) | instid1(VALU_DEP_3)
	v_cndmask_b32_e64 v28, v28, v2, s1
	v_cmp_gt_f32_e64 s3, v11, v27
	s_delay_alu instid0(VALU_DEP_1) | instskip(NEXT) | instid1(VALU_DEP_4)
	v_cndmask_b32_e64 v27, v27, v11, s3
	v_cndmask_b32_e64 v26, v26, 3, s3
	s_delay_alu instid0(VALU_DEP_4) | instskip(NEXT) | instid1(VALU_DEP_3)
	v_cndmask_b32_e64 v28, v28, v3, s3
	v_cmp_gt_f32_e64 s4, v12, v27
	s_delay_alu instid0(VALU_DEP_1) | instskip(NEXT) | instid1(VALU_DEP_4)
	v_cndmask_b32_e64 v27, v27, v12, s4
	v_cndmask_b32_e64 v26, v26, 4, s4
	s_delay_alu instid0(VALU_DEP_4) | instskip(SKIP_1) | instid1(VALU_DEP_3)
	v_cndmask_b32_e64 v28, v28, v4, s4
	s_mov_b32 s4, exec_lo
	v_cmp_gt_f32_e64 s0, v13, v27
	s_delay_alu instid0(VALU_DEP_1) | instskip(SKIP_2) | instid1(VALU_DEP_3)
	v_cndmask_b32_e64 v27, v27, v13, s0
	v_cndmask_b32_e64 v26, v26, 5, s0
	;; [unrolled: 1-line block ×3, first 2 shown]
	v_cmp_gt_f32_e64 s1, v14, v27
	s_delay_alu instid0(VALU_DEP_1) | instskip(NEXT) | instid1(VALU_DEP_4)
	v_cndmask_b32_e64 v27, v27, v14, s1
	v_cndmask_b32_e64 v26, v26, 6, s1
	s_waitcnt lgkmcnt(0)
	v_cndmask_b32_e64 v29, v28, v6, s1
	s_delay_alu instid0(VALU_DEP_3) | instskip(NEXT) | instid1(VALU_DEP_1)
	v_cmp_gt_f32_e64 s0, v15, v27
	v_cndmask_b32_e64 v26, v26, 7, s0
	v_cndmask_b32_e64 v28, v27, v15, s0
	s_delay_alu instid0(VALU_DEP_4) | instskip(NEXT) | instid1(VALU_DEP_3)
	v_cndmask_b32_e64 v27, v29, v7, s0
	v_or_b32_e32 v26, v18, v26
	ds_bpermute_b32 v29, v21, v28
	ds_bpermute_b32 v31, v21, v27
	;; [unrolled: 1-line block ×3, first 2 shown]
	s_waitcnt lgkmcnt(0)
	v_cmp_lt_f32_e64 s3, v28, v29
	v_cmpx_nlt_f32_e32 v28, v29
; %bb.11:                               ;   in Loop: Header=BB366_10 Depth=1
	v_cmp_eq_f32_e64 s0, v28, v29
	v_cmp_lt_i32_e64 s1, v30, v26
	s_delay_alu instid0(VALU_DEP_1) | instskip(SKIP_2) | instid1(SALU_CYCLE_1)
	s_and_b32 s0, s0, s1
	s_and_not1_b32 s1, s3, exec_lo
	s_and_b32 s0, s0, exec_lo
	s_or_b32 s3, s1, s0
; %bb.12:                               ;   in Loop: Header=BB366_10 Depth=1
	s_or_b32 exec_lo, exec_lo, s4
	s_and_saveexec_b32 s0, s3
; %bb.13:                               ;   in Loop: Header=BB366_10 Depth=1
	v_dual_mov_b32 v27, v31 :: v_dual_mov_b32 v28, v29
	v_mov_b32_e32 v26, v30
; %bb.14:                               ;   in Loop: Header=BB366_10 Depth=1
	s_or_b32 exec_lo, exec_lo, s0
	ds_bpermute_b32 v29, v22, v28
	ds_bpermute_b32 v31, v22, v27
	ds_bpermute_b32 v30, v22, v26
	s_mov_b32 s4, exec_lo
	s_waitcnt lgkmcnt(2)
	v_cmp_lt_f32_e64 s3, v28, v29
	v_cmpx_nlt_f32_e32 v28, v29
	s_cbranch_execz .LBB366_16
; %bb.15:                               ;   in Loop: Header=BB366_10 Depth=1
	v_cmp_eq_f32_e64 s0, v28, v29
	s_waitcnt lgkmcnt(0)
	v_cmp_lt_i32_e64 s1, v30, v26
	s_delay_alu instid0(VALU_DEP_1) | instskip(SKIP_2) | instid1(SALU_CYCLE_1)
	s_and_b32 s0, s0, s1
	s_and_not1_b32 s1, s3, exec_lo
	s_and_b32 s0, s0, exec_lo
	s_or_b32 s3, s1, s0
.LBB366_16:                             ;   in Loop: Header=BB366_10 Depth=1
	s_or_b32 exec_lo, exec_lo, s4
	s_delay_alu instid0(VALU_DEP_2)
	s_and_saveexec_b32 s0, s3
	s_cbranch_execz .LBB366_18
; %bb.17:                               ;   in Loop: Header=BB366_10 Depth=1
	s_waitcnt lgkmcnt(1)
	v_dual_mov_b32 v27, v31 :: v_dual_mov_b32 v28, v29
	s_waitcnt lgkmcnt(0)
	v_mov_b32_e32 v26, v30
.LBB366_18:                             ;   in Loop: Header=BB366_10 Depth=1
	s_or_b32 exec_lo, exec_lo, s0
	ds_bpermute_b32 v29, v23, v28
	s_waitcnt lgkmcnt(2)
	ds_bpermute_b32 v31, v23, v27
	s_waitcnt lgkmcnt(2)
	ds_bpermute_b32 v30, v23, v26
	s_mov_b32 s4, exec_lo
	s_waitcnt lgkmcnt(2)
	v_cmp_lt_f32_e64 s3, v28, v29
	v_cmpx_nlt_f32_e32 v28, v29
	s_cbranch_execz .LBB366_20
; %bb.19:                               ;   in Loop: Header=BB366_10 Depth=1
	v_cmp_eq_f32_e64 s0, v28, v29
	s_waitcnt lgkmcnt(0)
	v_cmp_lt_i32_e64 s1, v30, v26
	s_delay_alu instid0(VALU_DEP_1) | instskip(SKIP_2) | instid1(SALU_CYCLE_1)
	s_and_b32 s0, s0, s1
	s_and_not1_b32 s1, s3, exec_lo
	s_and_b32 s0, s0, exec_lo
	s_or_b32 s3, s1, s0
.LBB366_20:                             ;   in Loop: Header=BB366_10 Depth=1
	s_or_b32 exec_lo, exec_lo, s4
	s_delay_alu instid0(VALU_DEP_2)
	s_and_saveexec_b32 s0, s3
	s_cbranch_execz .LBB366_22
; %bb.21:                               ;   in Loop: Header=BB366_10 Depth=1
	s_waitcnt lgkmcnt(1)
	v_dual_mov_b32 v27, v31 :: v_dual_mov_b32 v28, v29
	s_waitcnt lgkmcnt(0)
	v_mov_b32_e32 v26, v30
.LBB366_22:                             ;   in Loop: Header=BB366_10 Depth=1
	s_or_b32 exec_lo, exec_lo, s0
	s_waitcnt lgkmcnt(1)
	ds_bpermute_b32 v31, v24, v28
	ds_bpermute_b32 v29, v24, v27
	s_waitcnt lgkmcnt(2)
	ds_bpermute_b32 v30, v24, v26
	s_mov_b32 s4, exec_lo
	s_waitcnt lgkmcnt(2)
	v_cmp_lt_f32_e64 s3, v28, v31
	v_cmpx_nlt_f32_e32 v28, v31
	s_cbranch_execnz .LBB366_26
; %bb.23:                               ;   in Loop: Header=BB366_10 Depth=1
	s_or_b32 exec_lo, exec_lo, s4
	s_delay_alu instid0(VALU_DEP_2)
	s_and_saveexec_b32 s0, s3
	s_cbranch_execnz .LBB366_27
.LBB366_24:                             ;   in Loop: Header=BB366_10 Depth=1
	s_or_b32 exec_lo, exec_lo, s0
	s_and_saveexec_b32 s3, s2
	s_cbranch_execnz .LBB366_28
.LBB366_25:                             ;   in Loop: Header=BB366_10 Depth=1
	s_or_b32 exec_lo, exec_lo, s3
	s_add_i32 s6, s6, 1
	s_delay_alu instid0(SALU_CYCLE_1)
	s_cmp_ge_i32 s6, s8
	s_cbranch_scc1 .LBB366_9
	s_branch .LBB366_29
.LBB366_26:                             ;   in Loop: Header=BB366_10 Depth=1
	v_cmp_eq_f32_e64 s0, v28, v31
	s_waitcnt lgkmcnt(0)
	v_cmp_lt_i32_e64 s1, v30, v26
	s_delay_alu instid0(VALU_DEP_1) | instskip(SKIP_2) | instid1(SALU_CYCLE_1)
	s_and_b32 s0, s0, s1
	s_and_not1_b32 s1, s3, exec_lo
	s_and_b32 s0, s0, exec_lo
	s_or_b32 s3, s1, s0
	s_or_b32 exec_lo, exec_lo, s4
	s_and_saveexec_b32 s0, s3
	s_cbranch_execz .LBB366_24
.LBB366_27:                             ;   in Loop: Header=BB366_10 Depth=1
	s_waitcnt lgkmcnt(0)
	v_dual_mov_b32 v26, v30 :: v_dual_mov_b32 v27, v29
	s_or_b32 exec_lo, exec_lo, s0
	s_and_saveexec_b32 s3, s2
	s_cbranch_execz .LBB366_25
.LBB366_28:                             ;   in Loop: Header=BB366_10 Depth=1
	v_add_nc_u32_e32 v28, s6, v20
	v_subrev_nc_u32_e32 v32, s9, v26
	v_cmp_le_i32_e64 s0, s9, v26
	v_cmp_gt_i32_e64 s1, s10, v26
	v_add_f32_e32 v36, v19, v27
	s_waitcnt lgkmcnt(1)
	v_ashrrev_i32_e32 v29, 31, v28
	v_ashrrev_i32_e32 v33, 31, v32
	s_and_b32 s0, s0, s1
	v_cndmask_b32_e32 v19, v19, v36, vcc_lo
	s_waitcnt lgkmcnt(0)
	v_lshlrev_b64 v[30:31], 2, v[28:29]
	v_lshlrev_b64 v[28:29], 3, v[28:29]
	s_and_b32 s0, s19, s0
	s_delay_alu instid0(SALU_CYCLE_1) | instskip(SKIP_1) | instid1(VALU_DEP_4)
	v_cndmask_b32_e64 v33, 0, v33, s0
	v_cndmask_b32_e64 v32, 0x80, v32, s0
	v_add_co_u32 v34, s0, s16, v30
	s_delay_alu instid0(VALU_DEP_1) | instskip(SKIP_1) | instid1(VALU_DEP_1)
	v_add_co_ci_u32_e64 v35, s0, s17, v31, s0
	v_add_co_u32 v28, s0, s12, v28
	v_add_co_ci_u32_e64 v29, s0, s13, v29, s0
	v_add_co_u32 v30, s0, s14, v30
	s_delay_alu instid0(VALU_DEP_1)
	v_add_co_ci_u32_e64 v31, s0, s15, v31, s0
	global_store_b32 v[34:35], v27, off
	global_store_b64 v[28:29], v[32:33], off
	global_store_b32 v[30:31], v25, off
	s_or_b32 exec_lo, exec_lo, s3
	s_add_i32 s6, s6, 1
	s_delay_alu instid0(SALU_CYCLE_1)
	s_cmp_ge_i32 s6, s8
	s_cbranch_scc1 .LBB366_9
.LBB366_29:                             ;   in Loop: Header=BB366_10 Depth=1
	v_ashrrev_i32_e32 v28, 31, v26
	s_mov_b32 s1, exec_lo
	s_delay_alu instid0(VALU_DEP_1) | instskip(NEXT) | instid1(VALU_DEP_1)
	v_lshrrev_b32_e32 v27, 29, v28
	v_add_nc_u32_e32 v27, v26, v27
	s_delay_alu instid0(VALU_DEP_1) | instskip(SKIP_1) | instid1(VALU_DEP_1)
	v_ashrrev_i32_e32 v27, 3, v27
	s_waitcnt lgkmcnt(1)
	v_lshrrev_b32_e32 v29, 28, v27
	s_delay_alu instid0(VALU_DEP_1) | instskip(NEXT) | instid1(VALU_DEP_1)
	v_add_nc_u32_e32 v29, v27, v29
	v_and_b32_e32 v29, -16, v29
	s_delay_alu instid0(VALU_DEP_1) | instskip(NEXT) | instid1(VALU_DEP_1)
	v_sub_nc_u32_e32 v29, v27, v29
	v_cmpx_eq_u32_e64 v17, v29
	s_cbranch_execz .LBB366_8
; %bb.30:                               ;   in Loop: Header=BB366_10 Depth=1
	v_lshrrev_b32_e32 v28, 25, v28
	v_lshlrev_b32_e32 v27, 3, v27
	s_delay_alu instid0(VALU_DEP_2) | instskip(NEXT) | instid1(VALU_DEP_2)
	v_add_nc_u32_e32 v28, v26, v28
	v_sub_nc_u32_e32 v26, v26, v27
	s_delay_alu instid0(VALU_DEP_2) | instskip(NEXT) | instid1(VALU_DEP_1)
	v_ashrrev_i32_e32 v27, 7, v28
	v_lshl_add_u32 v26, v27, 3, v26
	s_delay_alu instid0(VALU_DEP_1) | instskip(NEXT) | instid1(VALU_DEP_1)
	v_cmp_ne_u32_e64 s0, 7, v26
	v_cndmask_b32_e64 v15, 0xc61c4000, v15, s0
	v_cmp_ne_u32_e64 s0, 6, v26
	s_delay_alu instid0(VALU_DEP_1) | instskip(SKIP_1) | instid1(VALU_DEP_1)
	v_cndmask_b32_e64 v14, 0xc61c4000, v14, s0
	v_cmp_ne_u32_e64 s0, 5, v26
	v_cndmask_b32_e64 v13, 0xc61c4000, v13, s0
	v_cmp_ne_u32_e64 s0, 4, v26
	s_delay_alu instid0(VALU_DEP_1) | instskip(SKIP_1) | instid1(VALU_DEP_1)
	v_cndmask_b32_e64 v12, 0xc61c4000, v12, s0
	;; [unrolled: 5-line block ×3, first 2 shown]
	v_cmp_ne_u32_e64 s0, 1, v26
	v_cndmask_b32_e64 v9, 0xc61c4000, v9, s0
	v_cmp_ne_u32_e64 s0, 0, v26
	s_delay_alu instid0(VALU_DEP_1)
	v_cndmask_b32_e64 v8, 0xc61c4000, v8, s0
	s_branch .LBB366_8
.LBB366_31:
                                        ; implicit-def: $vgpr8_vgpr9_vgpr10_vgpr11_vgpr12_vgpr13_vgpr14_vgpr15
	s_and_not1_b32 vcc_lo, exec_lo, s9
	s_cbranch_vccz .LBB366_5
	s_branch .LBB366_6
.LBB366_32:
	v_mov_b32_e32 v19, 0
.LBB366_33:
	v_cmp_eq_u32_e64 s0, 0, v17
	s_delay_alu instid0(VALU_DEP_1) | instskip(NEXT) | instid1(SALU_CYCLE_1)
	s_and_b32 s0, s0, vcc_lo
	s_and_b32 exec_lo, exec_lo, s0
	s_cbranch_execz .LBB366_37
; %bb.34:
	s_and_not1_b32 vcc_lo, exec_lo, s5
	s_cbranch_vccnz .LBB366_37
; %bb.35:
	v_mul_lo_u32 v0, v16, s8
	v_cmp_lt_f32_e32 vcc_lo, 0, v19
	v_cndmask_b32_e32 v2, 1.0, v19, vcc_lo
	s_delay_alu instid0(VALU_DEP_3) | instskip(NEXT) | instid1(VALU_DEP_1)
	v_ashrrev_i32_e32 v1, 31, v0
	v_lshlrev_b64 v[0:1], 2, v[0:1]
	s_delay_alu instid0(VALU_DEP_1) | instskip(NEXT) | instid1(VALU_DEP_2)
	v_add_co_u32 v0, vcc_lo, s16, v0
	v_add_co_ci_u32_e32 v1, vcc_lo, s17, v1, vcc_lo
	.p2align	6
.LBB366_36:                             ; =>This Inner Loop Header: Depth=1
	global_load_b32 v3, v[0:1], off
	s_add_i32 s8, s8, -1
	s_delay_alu instid0(SALU_CYCLE_1) | instskip(SKIP_3) | instid1(VALU_DEP_2)
	s_cmp_lg_u32 s8, 0
	s_waitcnt vmcnt(0)
	v_div_scale_f32 v4, null, v2, v2, v3
	v_div_scale_f32 v7, vcc_lo, v3, v2, v3
	v_rcp_f32_e32 v5, v4
	s_waitcnt_depctr 0xfff
	v_fma_f32 v6, -v4, v5, 1.0
	s_delay_alu instid0(VALU_DEP_1) | instskip(NEXT) | instid1(VALU_DEP_1)
	v_fmac_f32_e32 v5, v6, v5
	v_mul_f32_e32 v6, v7, v5
	s_delay_alu instid0(VALU_DEP_1) | instskip(NEXT) | instid1(VALU_DEP_1)
	v_fma_f32 v8, -v4, v6, v7
	v_fmac_f32_e32 v6, v8, v5
	s_delay_alu instid0(VALU_DEP_1) | instskip(NEXT) | instid1(VALU_DEP_1)
	v_fma_f32 v4, -v4, v6, v7
	v_div_fmas_f32 v4, v4, v5, v6
	s_delay_alu instid0(VALU_DEP_1)
	v_div_fixup_f32 v3, v4, v2, v3
	global_store_b32 v[0:1], v3, off
	v_add_co_u32 v0, vcc_lo, v0, 4
	v_add_co_ci_u32_e32 v1, vcc_lo, 0, v1, vcc_lo
	s_cbranch_scc1 .LBB366_36
.LBB366_37:
	s_nop 0
	s_sendmsg sendmsg(MSG_DEALLOC_VGPRS)
	s_endpgm
	.section	.rodata,"a",@progbits
	.p2align	6, 0x0
	.amdhsa_kernel _ZN4vllm3moe10topkGatingILi8ELi128ELi4ELi16ELi32El14__hip_bfloat16LNS0_11ScoringFuncE1EEEvPKT5_PKbPfiPT4_PiiiibPKf
		.amdhsa_group_segment_fixed_size 0
		.amdhsa_private_segment_fixed_size 0
		.amdhsa_kernarg_size 72
		.amdhsa_user_sgpr_count 15
		.amdhsa_user_sgpr_dispatch_ptr 0
		.amdhsa_user_sgpr_queue_ptr 0
		.amdhsa_user_sgpr_kernarg_segment_ptr 1
		.amdhsa_user_sgpr_dispatch_id 0
		.amdhsa_user_sgpr_private_segment_size 0
		.amdhsa_wavefront_size32 1
		.amdhsa_uses_dynamic_stack 0
		.amdhsa_enable_private_segment 0
		.amdhsa_system_sgpr_workgroup_id_x 1
		.amdhsa_system_sgpr_workgroup_id_y 0
		.amdhsa_system_sgpr_workgroup_id_z 0
		.amdhsa_system_sgpr_workgroup_info 0
		.amdhsa_system_vgpr_workitem_id 1
		.amdhsa_next_free_vgpr 51
		.amdhsa_next_free_sgpr 20
		.amdhsa_reserve_vcc 1
		.amdhsa_float_round_mode_32 0
		.amdhsa_float_round_mode_16_64 0
		.amdhsa_float_denorm_mode_32 3
		.amdhsa_float_denorm_mode_16_64 3
		.amdhsa_dx10_clamp 1
		.amdhsa_ieee_mode 1
		.amdhsa_fp16_overflow 0
		.amdhsa_workgroup_processor_mode 1
		.amdhsa_memory_ordered 1
		.amdhsa_forward_progress 0
		.amdhsa_shared_vgpr_count 0
		.amdhsa_exception_fp_ieee_invalid_op 0
		.amdhsa_exception_fp_denorm_src 0
		.amdhsa_exception_fp_ieee_div_zero 0
		.amdhsa_exception_fp_ieee_overflow 0
		.amdhsa_exception_fp_ieee_underflow 0
		.amdhsa_exception_fp_ieee_inexact 0
		.amdhsa_exception_int_div_zero 0
	.end_amdhsa_kernel
	.section	.text._ZN4vllm3moe10topkGatingILi8ELi128ELi4ELi16ELi32El14__hip_bfloat16LNS0_11ScoringFuncE1EEEvPKT5_PKbPfiPT4_PiiiibPKf,"axG",@progbits,_ZN4vllm3moe10topkGatingILi8ELi128ELi4ELi16ELi32El14__hip_bfloat16LNS0_11ScoringFuncE1EEEvPKT5_PKbPfiPT4_PiiiibPKf,comdat
.Lfunc_end366:
	.size	_ZN4vllm3moe10topkGatingILi8ELi128ELi4ELi16ELi32El14__hip_bfloat16LNS0_11ScoringFuncE1EEEvPKT5_PKbPfiPT4_PiiiibPKf, .Lfunc_end366-_ZN4vllm3moe10topkGatingILi8ELi128ELi4ELi16ELi32El14__hip_bfloat16LNS0_11ScoringFuncE1EEEvPKT5_PKbPfiPT4_PiiiibPKf
                                        ; -- End function
	.section	.AMDGPU.csdata,"",@progbits
; Kernel info:
; codeLenInByte = 3120
; NumSgprs: 22
; NumVgprs: 51
; ScratchSize: 0
; MemoryBound: 0
; FloatMode: 240
; IeeeMode: 1
; LDSByteSize: 0 bytes/workgroup (compile time only)
; SGPRBlocks: 2
; VGPRBlocks: 6
; NumSGPRsForWavesPerEU: 22
; NumVGPRsForWavesPerEU: 51
; Occupancy: 16
; WaveLimiterHint : 0
; COMPUTE_PGM_RSRC2:SCRATCH_EN: 0
; COMPUTE_PGM_RSRC2:USER_SGPR: 15
; COMPUTE_PGM_RSRC2:TRAP_HANDLER: 0
; COMPUTE_PGM_RSRC2:TGID_X_EN: 1
; COMPUTE_PGM_RSRC2:TGID_Y_EN: 0
; COMPUTE_PGM_RSRC2:TGID_Z_EN: 0
; COMPUTE_PGM_RSRC2:TIDIG_COMP_CNT: 1
	.section	.text._ZN4vllm3moe10topkGatingILi8ELi256ELi4ELi16ELi64El14__hip_bfloat16LNS0_11ScoringFuncE1EEEvPKT5_PKbPfiPT4_PiiiibPKf,"axG",@progbits,_ZN4vllm3moe10topkGatingILi8ELi256ELi4ELi16ELi64El14__hip_bfloat16LNS0_11ScoringFuncE1EEEvPKT5_PKbPfiPT4_PiiiibPKf,comdat
	.protected	_ZN4vllm3moe10topkGatingILi8ELi256ELi4ELi16ELi64El14__hip_bfloat16LNS0_11ScoringFuncE1EEEvPKT5_PKbPfiPT4_PiiiibPKf ; -- Begin function _ZN4vllm3moe10topkGatingILi8ELi256ELi4ELi16ELi64El14__hip_bfloat16LNS0_11ScoringFuncE1EEEvPKT5_PKbPfiPT4_PiiiibPKf
	.globl	_ZN4vllm3moe10topkGatingILi8ELi256ELi4ELi16ELi64El14__hip_bfloat16LNS0_11ScoringFuncE1EEEvPKT5_PKbPfiPT4_PiiiibPKf
	.p2align	8
	.type	_ZN4vllm3moe10topkGatingILi8ELi256ELi4ELi16ELi64El14__hip_bfloat16LNS0_11ScoringFuncE1EEEvPKT5_PKbPfiPT4_PiiiibPKf,@function
_ZN4vllm3moe10topkGatingILi8ELi256ELi4ELi16ELi64El14__hip_bfloat16LNS0_11ScoringFuncE1EEEvPKT5_PKbPfiPT4_PiiiibPKf: ; @_ZN4vllm3moe10topkGatingILi8ELi256ELi4ELi16ELi64El14__hip_bfloat16LNS0_11ScoringFuncE1EEEvPKT5_PKbPfiPT4_PiiiibPKf
; %bb.0:
	s_load_b32 s18, s[0:1], 0x18
	v_bfe_u32 v1, v0, 10, 10
	v_and_b32_e32 v0, 0x3ff, v0
	s_lshl_b32 s2, s15, 3
	s_delay_alu instid0(VALU_DEP_2) | instskip(NEXT) | instid1(VALU_DEP_2)
	v_lshlrev_b32_e32 v1, 1, v1
	v_lshrrev_b32_e32 v2, 5, v0
	s_delay_alu instid0(VALU_DEP_1) | instskip(SKIP_2) | instid1(VALU_DEP_1)
	v_add3_u32 v16, s2, v1, v2
	s_mov_b32 s2, exec_lo
	s_waitcnt lgkmcnt(0)
	v_cmpx_gt_i32_e64 s18, v16
	s_cbranch_execz .LBB367_41
; %bb.1:
	s_clause 0x1
	s_load_b128 s[4:7], s[0:1], 0x0
	s_load_b64 s[16:17], s[0:1], 0x10
	s_mov_b32 s9, -1
	s_mov_b32 s19, -1
	s_waitcnt lgkmcnt(0)
	s_cmp_eq_u64 s[6:7], 0
	s_cbranch_scc1 .LBB367_3
; %bb.2:
	v_ashrrev_i32_e32 v2, 31, v16
	v_add_co_u32 v1, vcc_lo, s6, v16
	s_delay_alu instid0(VALU_DEP_2) | instskip(SKIP_3) | instid1(VALU_DEP_1)
	v_add_co_ci_u32_e32 v2, vcc_lo, s7, v2, vcc_lo
	global_load_u8 v1, v[1:2], off
	s_waitcnt vmcnt(0)
	v_and_b32_e32 v1, 1, v1
	v_cmp_eq_u32_e32 vcc_lo, 1, v1
	s_xor_b32 s2, vcc_lo, -1
	s_delay_alu instid0(SALU_CYCLE_1)
	s_or_not1_b32 s19, s2, exec_lo
.LBB367_3:
	v_lshlrev_b32_e32 v1, 8, v16
	v_and_b32_e32 v17, 31, v0
	s_load_b64 s[10:11], s[0:1], 0x40
	s_delay_alu instid0(VALU_DEP_2) | instskip(NEXT) | instid1(VALU_DEP_1)
	v_ashrrev_i32_e32 v2, 31, v1
	v_lshlrev_b64 v[0:1], 1, v[1:2]
	s_delay_alu instid0(VALU_DEP_3) | instskip(NEXT) | instid1(VALU_DEP_2)
	v_lshlrev_b32_e32 v2, 4, v17
	v_add_co_u32 v0, vcc_lo, s4, v0
	s_delay_alu instid0(VALU_DEP_3) | instskip(NEXT) | instid1(VALU_DEP_2)
	v_add_co_ci_u32_e32 v1, vcc_lo, s5, v1, vcc_lo
	v_add_co_u32 v0, vcc_lo, v0, v2
	s_delay_alu instid0(VALU_DEP_2)
	v_add_co_ci_u32_e32 v1, vcc_lo, 0, v1, vcc_lo
	s_waitcnt lgkmcnt(0)
	s_cmp_eq_u64 s[10:11], 0
	global_load_b128 v[0:3], v[0:1], off
	s_waitcnt vmcnt(0)
	v_lshlrev_b32_e32 v5, 16, v1
	s_delay_alu instid0(VALU_DEP_1) | instskip(NEXT) | instid1(VALU_DEP_1)
	v_dual_mul_f32 v5, 0xbfb8aa3b, v5 :: v_dual_lshlrev_b32 v4, 16, v0
	v_mul_f32_e32 v4, 0xbfb8aa3b, v4
	s_delay_alu instid0(VALU_DEP_2) | instskip(NEXT) | instid1(VALU_DEP_1)
	v_exp_f32_e32 v5, v5
	v_exp_f32_e32 v4, v4
	v_and_b32_e32 v1, 0xffff0000, v1
	s_waitcnt_depctr 0xfff
	v_dual_add_f32 v5, 1.0, v5 :: v_dual_and_b32 v0, 0xffff0000, v0
	v_add_f32_e32 v4, 1.0, v4
	v_dual_mul_f32 v1, 0xbfb8aa3b, v1 :: v_dual_lshlrev_b32 v6, 16, v2
	s_delay_alu instid0(VALU_DEP_3) | instskip(NEXT) | instid1(VALU_DEP_4)
	v_dual_mul_f32 v0, 0xbfb8aa3b, v0 :: v_dual_lshlrev_b32 v7, 16, v3
	v_div_scale_f32 v12, null, v5, v5, 1.0
	s_delay_alu instid0(VALU_DEP_3) | instskip(SKIP_1) | instid1(VALU_DEP_3)
	v_exp_f32_e32 v1, v1
	v_and_b32_e32 v2, 0xffff0000, v2
	v_exp_f32_e32 v0, v0
	v_and_b32_e32 v3, 0xffff0000, v3
	v_dual_mul_f32 v6, 0xbfb8aa3b, v6 :: v_dual_mul_f32 v7, 0xbfb8aa3b, v7
	v_rcp_f32_e32 v28, v12
	v_div_scale_f32 v13, s3, 1.0, v5, 1.0
	s_delay_alu instid0(VALU_DEP_2) | instskip(SKIP_1) | instid1(TRANS32_DEP_3)
	v_exp_f32_e32 v6, v6
	v_dual_add_f32 v1, 1.0, v1 :: v_dual_mul_f32 v2, 0xbfb8aa3b, v2
	v_dual_add_f32 v0, 1.0, v0 :: v_dual_mul_f32 v3, 0xbfb8aa3b, v3
	v_lshlrev_b32_e32 v18, 3, v17
	v_exp_f32_e32 v7, v7
	s_delay_alu instid0(VALU_DEP_3) | instskip(NEXT) | instid1(VALU_DEP_2)
	v_exp_f32_e32 v2, v2
	v_div_scale_f32 v10, null, v0, v0, 1.0
	v_exp_f32_e32 v3, v3
	v_add_f32_e32 v6, 1.0, v6
	v_div_scale_f32 v14, null, v1, v1, 1.0
	s_delay_alu instid0(VALU_DEP_3) | instskip(SKIP_1) | instid1(TRANS32_DEP_3)
	v_rcp_f32_e32 v27, v10
	v_fma_f32 v37, -v12, v28, 1.0
	v_dual_add_f32 v7, 1.0, v7 :: v_dual_add_f32 v8, 1.0, v2
	v_div_scale_f32 v2, null, v4, v4, 1.0
	s_delay_alu instid0(TRANS32_DEP_2) | instskip(SKIP_1) | instid1(VALU_DEP_4)
	v_add_f32_e32 v9, 1.0, v3
	v_div_scale_f32 v19, null, v6, v6, 1.0
	v_div_scale_f32 v21, null, v8, v8, 1.0
	s_delay_alu instid0(VALU_DEP_4) | instskip(NEXT) | instid1(VALU_DEP_2)
	v_rcp_f32_e32 v26, v2
	v_rcp_f32_e32 v30, v19
	;; [unrolled: 1-line block ×3, first 2 shown]
	s_delay_alu instid0(VALU_DEP_1)
	v_rcp_f32_e32 v31, v21
	v_div_scale_f32 v23, null, v7, v7, 1.0
	v_fma_f32 v36, -v10, v27, 1.0
	v_div_scale_f32 v3, vcc_lo, 1.0, v4, 1.0
	v_div_scale_f32 v11, s2, 1.0, v0, 1.0
	v_fma_f32 v35, -v2, v26, 1.0
	s_delay_alu instid0(TRANS32_DEP_3) | instskip(NEXT) | instid1(TRANS32_DEP_1)
	v_fma_f32 v39, -v19, v30, 1.0
	v_fma_f32 v40, -v21, v31, 1.0
	s_delay_alu instid0(TRANS32_DEP_2) | instskip(SKIP_3) | instid1(VALU_DEP_3)
	v_fma_f32 v38, -v14, v29, 1.0
	v_div_scale_f32 v25, null, v9, v9, 1.0
	v_dual_fmac_f32 v26, v35, v26 :: v_dual_fmac_f32 v27, v36, v27
	v_rcp_f32_e32 v32, v23
	v_dual_fmac_f32 v28, v37, v28 :: v_dual_fmac_f32 v29, v38, v29
	v_div_scale_f32 v22, s6, 1.0, v8, 1.0
	v_dual_fmac_f32 v30, v39, v30 :: v_dual_fmac_f32 v31, v40, v31
	v_mul_f32_e32 v35, v3, v26
	v_div_scale_f32 v15, s4, 1.0, v1, 1.0
	v_rcp_f32_e32 v33, v25
	s_delay_alu instid0(VALU_DEP_3)
	v_mul_f32_e32 v40, v22, v31
	v_dual_mul_f32 v36, v11, v27 :: v_dual_mul_f32 v37, v13, v28
	v_div_scale_f32 v20, s5, 1.0, v6, 1.0
	v_fma_f32 v43, -v2, v35, v3
	v_mul_f32_e32 v38, v15, v29
	v_fma_f32 v41, -v23, v32, 1.0
	s_delay_alu instid0(VALU_DEP_4)
	v_mul_f32_e32 v39, v20, v30
	v_fma_f32 v44, -v10, v36, v11
	v_fma_f32 v45, -v12, v37, v13
	v_fmac_f32_e32 v35, v43, v26
	v_fma_f32 v46, -v14, v38, v15
	v_div_scale_f32 v24, s7, 1.0, v7, 1.0
	v_fmac_f32_e32 v36, v44, v27
	v_fma_f32 v42, -v25, v33, 1.0
	v_fmac_f32_e32 v32, v41, v32
	v_fma_f32 v47, -v19, v39, v20
	v_dual_fmac_f32 v37, v45, v28 :: v_dual_fmac_f32 v38, v46, v29
	v_fma_f32 v48, -v21, v40, v22
	v_fma_f32 v2, -v2, v35, v3
	v_div_scale_f32 v34, s8, 1.0, v9, 1.0
	v_fmac_f32_e32 v33, v42, v33
	v_mul_f32_e32 v41, v24, v32
	v_fma_f32 v3, -v10, v36, v11
	v_dual_fmac_f32 v39, v47, v30 :: v_dual_fmac_f32 v40, v48, v31
	v_fma_f32 v10, -v12, v37, v13
	v_div_fmas_f32 v2, v2, v26, v35
	s_mov_b32 vcc_lo, s2
	v_fma_f32 v11, -v14, v38, v15
	v_mul_f32_e32 v42, v34, v33
	v_fma_f32 v49, -v23, v41, v24
	v_div_fmas_f32 v3, v3, v27, v36
	s_mov_b32 vcc_lo, s3
	v_fma_f32 v12, -v19, v39, v20
	v_div_fmas_f32 v10, v10, v28, v37
	s_mov_b32 vcc_lo, s4
	v_fma_f32 v13, -v21, v40, v22
	v_div_fixup_f32 v2, v2, v4, 1.0
	v_div_fmas_f32 v4, v11, v29, v38
	s_mov_b32 vcc_lo, s5
	v_fma_f32 v50, -v25, v42, v34
	v_fmac_f32_e32 v41, v49, v32
	v_div_fmas_f32 v11, v12, v30, v39
	s_mov_b32 vcc_lo, s6
	v_div_fixup_f32 v5, v10, v5, 1.0
	v_fmac_f32_e32 v42, v50, v33
	v_div_fmas_f32 v10, v13, v31, v40
	v_cmp_class_f32_e64 vcc_lo, v2, 0x1f8
	v_fma_f32 v14, -v23, v41, v24
	v_div_fixup_f32 v3, v3, v0, 1.0
	v_fma_f32 v15, -v25, v42, v34
	v_div_fixup_f32 v4, v4, v1, 1.0
	v_cndmask_b32_e32 v0, 0, v2, vcc_lo
	s_mov_b32 vcc_lo, s7
	v_div_fixup_f32 v6, v11, v6, 1.0
	v_div_fmas_f32 v12, v14, v32, v41
	v_cmp_class_f32_e64 vcc_lo, v3, 0x1f8
	s_delay_alu instid0(VALU_DEP_2)
	v_div_fixup_f32 v7, v12, v7, 1.0
	v_cndmask_b32_e32 v1, 0, v3, vcc_lo
	s_mov_b32 vcc_lo, s8
	v_div_fmas_f32 v11, v15, v33, v42
	v_cmp_class_f32_e64 vcc_lo, v5, 0x1f8
	v_cndmask_b32_e32 v2, 0, v5, vcc_lo
	v_cmp_class_f32_e64 vcc_lo, v4, 0x1f8
	v_div_fixup_f32 v5, v10, v8, 1.0
	v_div_fixup_f32 v8, v11, v9, 1.0
	v_cndmask_b32_e32 v3, 0, v4, vcc_lo
	v_cmp_class_f32_e64 vcc_lo, v6, 0x1f8
	v_cndmask_b32_e32 v4, 0, v6, vcc_lo
	v_cmp_class_f32_e64 vcc_lo, v5, 0x1f8
	;; [unrolled: 2-line block ×4, first 2 shown]
	v_cndmask_b32_e32 v7, 0, v8, vcc_lo
	s_cbranch_scc1 .LBB367_35
; %bb.4:
	v_lshlrev_b32_e32 v12, 2, v18
	s_clause 0x1
	global_load_b128 v[8:11], v12, s[10:11]
	global_load_b128 v[12:15], v12, s[10:11] offset:16
	s_waitcnt vmcnt(1)
	v_dual_add_f32 v9, v9, v1 :: v_dual_add_f32 v8, v8, v0
	v_dual_add_f32 v11, v11, v3 :: v_dual_add_f32 v10, v10, v2
	s_waitcnt vmcnt(0)
	v_dual_add_f32 v13, v13, v5 :: v_dual_add_f32 v12, v12, v4
	v_dual_add_f32 v15, v15, v7 :: v_dual_add_f32 v14, v14, v6
	s_cbranch_execnz .LBB367_6
.LBB367_5:
	v_dual_mov_b32 v15, v7 :: v_dual_mov_b32 v14, v6
	v_dual_mov_b32 v13, v5 :: v_dual_mov_b32 v12, v4
	;; [unrolled: 1-line block ×4, first 2 shown]
.LBB367_6:
	s_load_b128 s[8:11], s[0:1], 0x30
	v_cmp_eq_u32_e64 s2, 0, v17
	s_mov_b32 s6, 0
	s_waitcnt lgkmcnt(0)
	s_bitcmp1_b32 s11, 0
	s_cselect_b32 vcc_lo, -1, 0
	s_cmp_gt_i32 s8, 0
	s_cselect_b32 s5, -1, 0
	s_cmp_lt_i32 s8, 1
	s_cbranch_scc1 .LBB367_36
; %bb.7:
	v_mbcnt_lo_u32_b32 v20, -1, 0
	s_load_b128 s[12:15], s[0:1], 0x20
	v_mul_lo_u32 v19, v16, s8
	v_mov_b32_e32 v26, v16
	s_delay_alu instid0(VALU_DEP_3)
	v_xor_b32_e32 v21, 16, v20
	v_xor_b32_e32 v22, 8, v20
	;; [unrolled: 1-line block ×5, first 2 shown]
	v_cmp_gt_i32_e64 s0, 32, v21
	s_delay_alu instid0(VALU_DEP_1) | instskip(SKIP_1) | instid1(VALU_DEP_2)
	v_cndmask_b32_e64 v21, v20, v21, s0
	v_cmp_gt_i32_e64 s0, 32, v22
	v_lshlrev_b32_e32 v21, 2, v21
	s_delay_alu instid0(VALU_DEP_2) | instskip(SKIP_1) | instid1(VALU_DEP_2)
	v_cndmask_b32_e64 v22, v20, v22, s0
	v_cmp_gt_i32_e64 s0, 32, v23
	v_lshlrev_b32_e32 v22, 2, v22
	s_delay_alu instid0(VALU_DEP_2) | instskip(SKIP_1) | instid1(VALU_DEP_2)
	;; [unrolled: 4-line block ×3, first 2 shown]
	v_cndmask_b32_e64 v24, v20, v24, s0
	v_cmp_gt_i32_e64 s0, 32, v25
	v_lshlrev_b32_e32 v24, 2, v24
	s_delay_alu instid0(VALU_DEP_2) | instskip(NEXT) | instid1(VALU_DEP_1)
	v_cndmask_b32_e64 v20, v20, v25, s0
	v_dual_mov_b32 v20, 0 :: v_dual_lshlrev_b32 v25, 2, v20
	s_branch .LBB367_10
.LBB367_8:                              ;   in Loop: Header=BB367_10 Depth=1
	s_or_b32 exec_lo, exec_lo, s1
.LBB367_9:                              ;   in Loop: Header=BB367_10 Depth=1
	v_add_nc_u32_e32 v26, s18, v26
	s_cmp_eq_u32 s8, s6
	s_cbranch_scc1 .LBB367_37
.LBB367_10:                             ; =>This Inner Loop Header: Depth=1
	v_cmp_gt_f32_e64 s0, v9, v8
	s_delay_alu instid0(VALU_DEP_1) | instskip(SKIP_2) | instid1(VALU_DEP_3)
	v_cndmask_b32_e64 v28, v8, v9, s0
	v_cndmask_b32_e64 v27, 0, 1, s0
	;; [unrolled: 1-line block ×3, first 2 shown]
	v_cmp_gt_f32_e64 s1, v10, v28
	s_delay_alu instid0(VALU_DEP_1) | instskip(NEXT) | instid1(VALU_DEP_4)
	v_cndmask_b32_e64 v28, v28, v10, s1
	v_cndmask_b32_e64 v27, v27, 2, s1
	s_delay_alu instid0(VALU_DEP_4) | instskip(NEXT) | instid1(VALU_DEP_3)
	v_cndmask_b32_e64 v29, v29, v2, s1
	v_cmp_gt_f32_e64 s3, v11, v28
	s_delay_alu instid0(VALU_DEP_1) | instskip(NEXT) | instid1(VALU_DEP_4)
	v_cndmask_b32_e64 v28, v28, v11, s3
	v_cndmask_b32_e64 v27, v27, 3, s3
	s_delay_alu instid0(VALU_DEP_4) | instskip(NEXT) | instid1(VALU_DEP_3)
	v_cndmask_b32_e64 v29, v29, v3, s3
	v_cmp_gt_f32_e64 s4, v12, v28
	s_delay_alu instid0(VALU_DEP_1) | instskip(NEXT) | instid1(VALU_DEP_4)
	v_cndmask_b32_e64 v28, v28, v12, s4
	v_cndmask_b32_e64 v27, v27, 4, s4
	s_delay_alu instid0(VALU_DEP_4) | instskip(SKIP_1) | instid1(VALU_DEP_3)
	v_cndmask_b32_e64 v29, v29, v4, s4
	s_mov_b32 s4, exec_lo
	v_cmp_gt_f32_e64 s0, v13, v28
	s_delay_alu instid0(VALU_DEP_1) | instskip(SKIP_2) | instid1(VALU_DEP_3)
	v_cndmask_b32_e64 v28, v28, v13, s0
	v_cndmask_b32_e64 v27, v27, 5, s0
	v_cndmask_b32_e64 v29, v29, v5, s0
	v_cmp_gt_f32_e64 s1, v14, v28
	s_delay_alu instid0(VALU_DEP_1) | instskip(NEXT) | instid1(VALU_DEP_4)
	v_cndmask_b32_e64 v28, v28, v14, s1
	v_cndmask_b32_e64 v27, v27, 6, s1
	s_waitcnt lgkmcnt(0)
	v_cndmask_b32_e64 v30, v29, v6, s1
	s_delay_alu instid0(VALU_DEP_3) | instskip(NEXT) | instid1(VALU_DEP_1)
	v_cmp_gt_f32_e64 s0, v15, v28
	v_cndmask_b32_e64 v27, v27, 7, s0
	v_cndmask_b32_e64 v29, v28, v15, s0
	s_delay_alu instid0(VALU_DEP_4) | instskip(NEXT) | instid1(VALU_DEP_3)
	v_cndmask_b32_e64 v28, v30, v7, s0
	v_or_b32_e32 v27, v18, v27
	ds_bpermute_b32 v30, v21, v29
	ds_bpermute_b32 v32, v21, v28
	;; [unrolled: 1-line block ×3, first 2 shown]
	s_waitcnt lgkmcnt(0)
	v_cmp_lt_f32_e64 s3, v29, v30
	v_cmpx_nlt_f32_e32 v29, v30
; %bb.11:                               ;   in Loop: Header=BB367_10 Depth=1
	v_cmp_eq_f32_e64 s0, v29, v30
	v_cmp_lt_i32_e64 s1, v31, v27
	s_delay_alu instid0(VALU_DEP_1) | instskip(SKIP_2) | instid1(SALU_CYCLE_1)
	s_and_b32 s0, s0, s1
	s_and_not1_b32 s1, s3, exec_lo
	s_and_b32 s0, s0, exec_lo
	s_or_b32 s3, s1, s0
; %bb.12:                               ;   in Loop: Header=BB367_10 Depth=1
	s_or_b32 exec_lo, exec_lo, s4
	s_and_saveexec_b32 s0, s3
; %bb.13:                               ;   in Loop: Header=BB367_10 Depth=1
	v_dual_mov_b32 v28, v32 :: v_dual_mov_b32 v29, v30
	v_mov_b32_e32 v27, v31
; %bb.14:                               ;   in Loop: Header=BB367_10 Depth=1
	s_or_b32 exec_lo, exec_lo, s0
	ds_bpermute_b32 v30, v22, v29
	ds_bpermute_b32 v32, v22, v28
	;; [unrolled: 1-line block ×3, first 2 shown]
	s_mov_b32 s4, exec_lo
	s_waitcnt lgkmcnt(2)
	v_cmp_lt_f32_e64 s3, v29, v30
	v_cmpx_nlt_f32_e32 v29, v30
	s_cbranch_execz .LBB367_16
; %bb.15:                               ;   in Loop: Header=BB367_10 Depth=1
	v_cmp_eq_f32_e64 s0, v29, v30
	s_waitcnt lgkmcnt(0)
	v_cmp_lt_i32_e64 s1, v31, v27
	s_delay_alu instid0(VALU_DEP_1) | instskip(SKIP_2) | instid1(SALU_CYCLE_1)
	s_and_b32 s0, s0, s1
	s_and_not1_b32 s1, s3, exec_lo
	s_and_b32 s0, s0, exec_lo
	s_or_b32 s3, s1, s0
.LBB367_16:                             ;   in Loop: Header=BB367_10 Depth=1
	s_or_b32 exec_lo, exec_lo, s4
	s_delay_alu instid0(VALU_DEP_2)
	s_and_saveexec_b32 s0, s3
	s_cbranch_execz .LBB367_18
; %bb.17:                               ;   in Loop: Header=BB367_10 Depth=1
	s_waitcnt lgkmcnt(1)
	v_dual_mov_b32 v28, v32 :: v_dual_mov_b32 v29, v30
	s_waitcnt lgkmcnt(0)
	v_mov_b32_e32 v27, v31
.LBB367_18:                             ;   in Loop: Header=BB367_10 Depth=1
	s_or_b32 exec_lo, exec_lo, s0
	ds_bpermute_b32 v30, v23, v29
	s_waitcnt lgkmcnt(2)
	ds_bpermute_b32 v32, v23, v28
	s_waitcnt lgkmcnt(2)
	ds_bpermute_b32 v31, v23, v27
	s_mov_b32 s4, exec_lo
	s_waitcnt lgkmcnt(2)
	v_cmp_lt_f32_e64 s3, v29, v30
	v_cmpx_nlt_f32_e32 v29, v30
	s_cbranch_execz .LBB367_20
; %bb.19:                               ;   in Loop: Header=BB367_10 Depth=1
	v_cmp_eq_f32_e64 s0, v29, v30
	s_waitcnt lgkmcnt(0)
	v_cmp_lt_i32_e64 s1, v31, v27
	s_delay_alu instid0(VALU_DEP_1) | instskip(SKIP_2) | instid1(SALU_CYCLE_1)
	s_and_b32 s0, s0, s1
	s_and_not1_b32 s1, s3, exec_lo
	s_and_b32 s0, s0, exec_lo
	s_or_b32 s3, s1, s0
.LBB367_20:                             ;   in Loop: Header=BB367_10 Depth=1
	s_or_b32 exec_lo, exec_lo, s4
	s_delay_alu instid0(VALU_DEP_2)
	s_and_saveexec_b32 s0, s3
	s_cbranch_execz .LBB367_22
; %bb.21:                               ;   in Loop: Header=BB367_10 Depth=1
	s_waitcnt lgkmcnt(1)
	v_dual_mov_b32 v28, v32 :: v_dual_mov_b32 v29, v30
	s_waitcnt lgkmcnt(0)
	v_mov_b32_e32 v27, v31
.LBB367_22:                             ;   in Loop: Header=BB367_10 Depth=1
	s_or_b32 exec_lo, exec_lo, s0
	ds_bpermute_b32 v30, v24, v29
	s_waitcnt lgkmcnt(2)
	ds_bpermute_b32 v32, v24, v28
	s_waitcnt lgkmcnt(2)
	ds_bpermute_b32 v31, v24, v27
	s_mov_b32 s4, exec_lo
	s_waitcnt lgkmcnt(2)
	v_cmp_lt_f32_e64 s3, v29, v30
	v_cmpx_nlt_f32_e32 v29, v30
	s_cbranch_execz .LBB367_24
; %bb.23:                               ;   in Loop: Header=BB367_10 Depth=1
	v_cmp_eq_f32_e64 s0, v29, v30
	s_waitcnt lgkmcnt(0)
	v_cmp_lt_i32_e64 s1, v31, v27
	s_delay_alu instid0(VALU_DEP_1) | instskip(SKIP_2) | instid1(SALU_CYCLE_1)
	s_and_b32 s0, s0, s1
	s_and_not1_b32 s1, s3, exec_lo
	s_and_b32 s0, s0, exec_lo
	s_or_b32 s3, s1, s0
.LBB367_24:                             ;   in Loop: Header=BB367_10 Depth=1
	s_or_b32 exec_lo, exec_lo, s4
	s_delay_alu instid0(VALU_DEP_2)
	s_and_saveexec_b32 s0, s3
	s_cbranch_execz .LBB367_26
; %bb.25:                               ;   in Loop: Header=BB367_10 Depth=1
	s_waitcnt lgkmcnt(1)
	v_dual_mov_b32 v28, v32 :: v_dual_mov_b32 v29, v30
	s_waitcnt lgkmcnt(0)
	v_mov_b32_e32 v27, v31
.LBB367_26:                             ;   in Loop: Header=BB367_10 Depth=1
	s_or_b32 exec_lo, exec_lo, s0
	s_waitcnt lgkmcnt(1)
	ds_bpermute_b32 v32, v25, v29
	ds_bpermute_b32 v30, v25, v28
	s_waitcnt lgkmcnt(2)
	ds_bpermute_b32 v31, v25, v27
	s_mov_b32 s4, exec_lo
	s_waitcnt lgkmcnt(2)
	v_cmp_lt_f32_e64 s3, v29, v32
	v_cmpx_nlt_f32_e32 v29, v32
	s_cbranch_execnz .LBB367_30
; %bb.27:                               ;   in Loop: Header=BB367_10 Depth=1
	s_or_b32 exec_lo, exec_lo, s4
	s_delay_alu instid0(VALU_DEP_2)
	s_and_saveexec_b32 s0, s3
	s_cbranch_execnz .LBB367_31
.LBB367_28:                             ;   in Loop: Header=BB367_10 Depth=1
	s_or_b32 exec_lo, exec_lo, s0
	s_and_saveexec_b32 s3, s2
	s_cbranch_execnz .LBB367_32
.LBB367_29:                             ;   in Loop: Header=BB367_10 Depth=1
	s_or_b32 exec_lo, exec_lo, s3
	s_add_i32 s6, s6, 1
	s_delay_alu instid0(SALU_CYCLE_1)
	s_cmp_ge_i32 s6, s8
	s_cbranch_scc1 .LBB367_9
	s_branch .LBB367_33
.LBB367_30:                             ;   in Loop: Header=BB367_10 Depth=1
	v_cmp_eq_f32_e64 s0, v29, v32
	s_waitcnt lgkmcnt(0)
	v_cmp_lt_i32_e64 s1, v31, v27
	s_delay_alu instid0(VALU_DEP_1) | instskip(SKIP_2) | instid1(SALU_CYCLE_1)
	s_and_b32 s0, s0, s1
	s_and_not1_b32 s1, s3, exec_lo
	s_and_b32 s0, s0, exec_lo
	s_or_b32 s3, s1, s0
	s_or_b32 exec_lo, exec_lo, s4
	s_and_saveexec_b32 s0, s3
	s_cbranch_execz .LBB367_28
.LBB367_31:                             ;   in Loop: Header=BB367_10 Depth=1
	s_waitcnt lgkmcnt(0)
	v_dual_mov_b32 v27, v31 :: v_dual_mov_b32 v28, v30
	s_or_b32 exec_lo, exec_lo, s0
	s_and_saveexec_b32 s3, s2
	s_cbranch_execz .LBB367_29
.LBB367_32:                             ;   in Loop: Header=BB367_10 Depth=1
	s_delay_alu instid0(VALU_DEP_1)
	v_add_f32_e32 v37, v20, v28
	v_add_nc_u32_e32 v29, s6, v19
	v_subrev_nc_u32_e32 v33, s9, v27
	v_cmp_le_i32_e64 s0, s9, v27
	v_cmp_gt_i32_e64 s1, s10, v27
	v_cndmask_b32_e32 v20, v20, v37, vcc_lo
	s_waitcnt lgkmcnt(1)
	v_ashrrev_i32_e32 v30, 31, v29
	v_ashrrev_i32_e32 v34, 31, v33
	s_and_b32 s0, s0, s1
	s_waitcnt lgkmcnt(0)
	s_delay_alu instid0(VALU_DEP_2) | instskip(SKIP_2) | instid1(SALU_CYCLE_1)
	v_lshlrev_b64 v[31:32], 2, v[29:30]
	v_lshlrev_b64 v[29:30], 3, v[29:30]
	s_and_b32 s0, s19, s0
	v_cndmask_b32_e64 v34, 0, v34, s0
	v_cndmask_b32_e64 v33, 0x100, v33, s0
	s_delay_alu instid0(VALU_DEP_4) | instskip(NEXT) | instid1(VALU_DEP_1)
	v_add_co_u32 v35, s0, s16, v31
	v_add_co_ci_u32_e64 v36, s0, s17, v32, s0
	v_add_co_u32 v29, s0, s12, v29
	s_delay_alu instid0(VALU_DEP_1) | instskip(SKIP_1) | instid1(VALU_DEP_1)
	v_add_co_ci_u32_e64 v30, s0, s13, v30, s0
	v_add_co_u32 v31, s0, s14, v31
	v_add_co_ci_u32_e64 v32, s0, s15, v32, s0
	global_store_b32 v[35:36], v28, off
	global_store_b64 v[29:30], v[33:34], off
	global_store_b32 v[31:32], v26, off
	s_or_b32 exec_lo, exec_lo, s3
	s_add_i32 s6, s6, 1
	s_delay_alu instid0(SALU_CYCLE_1)
	s_cmp_ge_i32 s6, s8
	s_cbranch_scc1 .LBB367_9
.LBB367_33:                             ;   in Loop: Header=BB367_10 Depth=1
	v_ashrrev_i32_e32 v28, 31, v27
	s_mov_b32 s1, exec_lo
	s_delay_alu instid0(VALU_DEP_1) | instskip(NEXT) | instid1(VALU_DEP_1)
	v_lshrrev_b32_e32 v29, 29, v28
	v_add_nc_u32_e32 v29, v27, v29
	s_waitcnt lgkmcnt(1)
	s_delay_alu instid0(VALU_DEP_1) | instskip(SKIP_1) | instid1(VALU_DEP_2)
	v_ashrrev_i32_e32 v30, 31, v29
	v_ashrrev_i32_e32 v29, 3, v29
	v_lshrrev_b32_e32 v30, 27, v30
	s_delay_alu instid0(VALU_DEP_1) | instskip(NEXT) | instid1(VALU_DEP_1)
	v_add_nc_u32_e32 v30, v29, v30
	v_and_b32_e32 v30, 0xffffffe0, v30
	s_delay_alu instid0(VALU_DEP_1) | instskip(NEXT) | instid1(VALU_DEP_1)
	v_sub_nc_u32_e32 v30, v29, v30
	v_cmpx_eq_u32_e64 v17, v30
	s_cbranch_execz .LBB367_8
; %bb.34:                               ;   in Loop: Header=BB367_10 Depth=1
	v_lshrrev_b32_e32 v28, 24, v28
	v_lshlrev_b32_e32 v29, 3, v29
	s_delay_alu instid0(VALU_DEP_2) | instskip(NEXT) | instid1(VALU_DEP_2)
	v_add_nc_u32_e32 v28, v27, v28
	v_sub_nc_u32_e32 v27, v27, v29
	s_delay_alu instid0(VALU_DEP_2) | instskip(NEXT) | instid1(VALU_DEP_1)
	v_ashrrev_i32_e32 v28, 8, v28
	v_lshl_add_u32 v27, v28, 3, v27
	s_delay_alu instid0(VALU_DEP_1) | instskip(NEXT) | instid1(VALU_DEP_1)
	v_cmp_ne_u32_e64 s0, 7, v27
	v_cndmask_b32_e64 v15, 0xc61c4000, v15, s0
	v_cmp_ne_u32_e64 s0, 6, v27
	s_delay_alu instid0(VALU_DEP_1) | instskip(SKIP_1) | instid1(VALU_DEP_1)
	v_cndmask_b32_e64 v14, 0xc61c4000, v14, s0
	v_cmp_ne_u32_e64 s0, 5, v27
	v_cndmask_b32_e64 v13, 0xc61c4000, v13, s0
	v_cmp_ne_u32_e64 s0, 4, v27
	s_delay_alu instid0(VALU_DEP_1) | instskip(SKIP_1) | instid1(VALU_DEP_1)
	v_cndmask_b32_e64 v12, 0xc61c4000, v12, s0
	;; [unrolled: 5-line block ×3, first 2 shown]
	v_cmp_ne_u32_e64 s0, 1, v27
	v_cndmask_b32_e64 v9, 0xc61c4000, v9, s0
	v_cmp_ne_u32_e64 s0, 0, v27
	s_delay_alu instid0(VALU_DEP_1)
	v_cndmask_b32_e64 v8, 0xc61c4000, v8, s0
	s_branch .LBB367_8
.LBB367_35:
                                        ; implicit-def: $vgpr8_vgpr9_vgpr10_vgpr11_vgpr12_vgpr13_vgpr14_vgpr15
	s_and_not1_b32 vcc_lo, exec_lo, s9
	s_cbranch_vccz .LBB367_5
	s_branch .LBB367_6
.LBB367_36:
	v_mov_b32_e32 v20, 0
.LBB367_37:
	v_cmp_eq_u32_e64 s0, 0, v17
	s_delay_alu instid0(VALU_DEP_1) | instskip(NEXT) | instid1(SALU_CYCLE_1)
	s_and_b32 s0, s0, vcc_lo
	s_and_b32 exec_lo, exec_lo, s0
	s_cbranch_execz .LBB367_41
; %bb.38:
	s_and_not1_b32 vcc_lo, exec_lo, s5
	s_cbranch_vccnz .LBB367_41
; %bb.39:
	v_mul_lo_u32 v0, v16, s8
	v_cmp_lt_f32_e32 vcc_lo, 0, v20
	v_cndmask_b32_e32 v2, 1.0, v20, vcc_lo
	s_delay_alu instid0(VALU_DEP_3) | instskip(NEXT) | instid1(VALU_DEP_1)
	v_ashrrev_i32_e32 v1, 31, v0
	v_lshlrev_b64 v[0:1], 2, v[0:1]
	s_delay_alu instid0(VALU_DEP_1) | instskip(NEXT) | instid1(VALU_DEP_2)
	v_add_co_u32 v0, vcc_lo, s16, v0
	v_add_co_ci_u32_e32 v1, vcc_lo, s17, v1, vcc_lo
	.p2align	6
.LBB367_40:                             ; =>This Inner Loop Header: Depth=1
	global_load_b32 v3, v[0:1], off
	s_add_i32 s8, s8, -1
	s_delay_alu instid0(SALU_CYCLE_1) | instskip(SKIP_3) | instid1(VALU_DEP_2)
	s_cmp_lg_u32 s8, 0
	s_waitcnt vmcnt(0)
	v_div_scale_f32 v4, null, v2, v2, v3
	v_div_scale_f32 v7, vcc_lo, v3, v2, v3
	v_rcp_f32_e32 v5, v4
	s_waitcnt_depctr 0xfff
	v_fma_f32 v6, -v4, v5, 1.0
	s_delay_alu instid0(VALU_DEP_1) | instskip(NEXT) | instid1(VALU_DEP_1)
	v_fmac_f32_e32 v5, v6, v5
	v_mul_f32_e32 v6, v7, v5
	s_delay_alu instid0(VALU_DEP_1) | instskip(NEXT) | instid1(VALU_DEP_1)
	v_fma_f32 v8, -v4, v6, v7
	v_fmac_f32_e32 v6, v8, v5
	s_delay_alu instid0(VALU_DEP_1) | instskip(NEXT) | instid1(VALU_DEP_1)
	v_fma_f32 v4, -v4, v6, v7
	v_div_fmas_f32 v4, v4, v5, v6
	s_delay_alu instid0(VALU_DEP_1)
	v_div_fixup_f32 v3, v4, v2, v3
	global_store_b32 v[0:1], v3, off
	v_add_co_u32 v0, vcc_lo, v0, 4
	v_add_co_ci_u32_e32 v1, vcc_lo, 0, v1, vcc_lo
	s_cbranch_scc1 .LBB367_40
.LBB367_41:
	s_nop 0
	s_sendmsg sendmsg(MSG_DEALLOC_VGPRS)
	s_endpgm
	.section	.rodata,"a",@progbits
	.p2align	6, 0x0
	.amdhsa_kernel _ZN4vllm3moe10topkGatingILi8ELi256ELi4ELi16ELi64El14__hip_bfloat16LNS0_11ScoringFuncE1EEEvPKT5_PKbPfiPT4_PiiiibPKf
		.amdhsa_group_segment_fixed_size 0
		.amdhsa_private_segment_fixed_size 0
		.amdhsa_kernarg_size 72
		.amdhsa_user_sgpr_count 15
		.amdhsa_user_sgpr_dispatch_ptr 0
		.amdhsa_user_sgpr_queue_ptr 0
		.amdhsa_user_sgpr_kernarg_segment_ptr 1
		.amdhsa_user_sgpr_dispatch_id 0
		.amdhsa_user_sgpr_private_segment_size 0
		.amdhsa_wavefront_size32 1
		.amdhsa_uses_dynamic_stack 0
		.amdhsa_enable_private_segment 0
		.amdhsa_system_sgpr_workgroup_id_x 1
		.amdhsa_system_sgpr_workgroup_id_y 0
		.amdhsa_system_sgpr_workgroup_id_z 0
		.amdhsa_system_sgpr_workgroup_info 0
		.amdhsa_system_vgpr_workitem_id 1
		.amdhsa_next_free_vgpr 51
		.amdhsa_next_free_sgpr 20
		.amdhsa_reserve_vcc 1
		.amdhsa_float_round_mode_32 0
		.amdhsa_float_round_mode_16_64 0
		.amdhsa_float_denorm_mode_32 3
		.amdhsa_float_denorm_mode_16_64 3
		.amdhsa_dx10_clamp 1
		.amdhsa_ieee_mode 1
		.amdhsa_fp16_overflow 0
		.amdhsa_workgroup_processor_mode 1
		.amdhsa_memory_ordered 1
		.amdhsa_forward_progress 0
		.amdhsa_shared_vgpr_count 0
		.amdhsa_exception_fp_ieee_invalid_op 0
		.amdhsa_exception_fp_denorm_src 0
		.amdhsa_exception_fp_ieee_div_zero 0
		.amdhsa_exception_fp_ieee_overflow 0
		.amdhsa_exception_fp_ieee_underflow 0
		.amdhsa_exception_fp_ieee_inexact 0
		.amdhsa_exception_int_div_zero 0
	.end_amdhsa_kernel
	.section	.text._ZN4vllm3moe10topkGatingILi8ELi256ELi4ELi16ELi64El14__hip_bfloat16LNS0_11ScoringFuncE1EEEvPKT5_PKbPfiPT4_PiiiibPKf,"axG",@progbits,_ZN4vllm3moe10topkGatingILi8ELi256ELi4ELi16ELi64El14__hip_bfloat16LNS0_11ScoringFuncE1EEEvPKT5_PKbPfiPT4_PiiiibPKf,comdat
.Lfunc_end367:
	.size	_ZN4vllm3moe10topkGatingILi8ELi256ELi4ELi16ELi64El14__hip_bfloat16LNS0_11ScoringFuncE1EEEvPKT5_PKbPfiPT4_PiiiibPKf, .Lfunc_end367-_ZN4vllm3moe10topkGatingILi8ELi256ELi4ELi16ELi64El14__hip_bfloat16LNS0_11ScoringFuncE1EEEvPKT5_PKbPfiPT4_PiiiibPKf
                                        ; -- End function
	.section	.AMDGPU.csdata,"",@progbits
; Kernel info:
; codeLenInByte = 3284
; NumSgprs: 22
; NumVgprs: 51
; ScratchSize: 0
; MemoryBound: 0
; FloatMode: 240
; IeeeMode: 1
; LDSByteSize: 0 bytes/workgroup (compile time only)
; SGPRBlocks: 2
; VGPRBlocks: 6
; NumSGPRsForWavesPerEU: 22
; NumVGPRsForWavesPerEU: 51
; Occupancy: 16
; WaveLimiterHint : 0
; COMPUTE_PGM_RSRC2:SCRATCH_EN: 0
; COMPUTE_PGM_RSRC2:USER_SGPR: 15
; COMPUTE_PGM_RSRC2:TRAP_HANDLER: 0
; COMPUTE_PGM_RSRC2:TGID_X_EN: 1
; COMPUTE_PGM_RSRC2:TGID_Y_EN: 0
; COMPUTE_PGM_RSRC2:TGID_Z_EN: 0
; COMPUTE_PGM_RSRC2:TIDIG_COMP_CNT: 1
	.section	.text._ZN4vllm3moe10topkGatingILi8ELi256ELi4ELi16ELi32El14__hip_bfloat16LNS0_11ScoringFuncE1EEEvPKT5_PKbPfiPT4_PiiiibPKf,"axG",@progbits,_ZN4vllm3moe10topkGatingILi8ELi256ELi4ELi16ELi32El14__hip_bfloat16LNS0_11ScoringFuncE1EEEvPKT5_PKbPfiPT4_PiiiibPKf,comdat
	.protected	_ZN4vllm3moe10topkGatingILi8ELi256ELi4ELi16ELi32El14__hip_bfloat16LNS0_11ScoringFuncE1EEEvPKT5_PKbPfiPT4_PiiiibPKf ; -- Begin function _ZN4vllm3moe10topkGatingILi8ELi256ELi4ELi16ELi32El14__hip_bfloat16LNS0_11ScoringFuncE1EEEvPKT5_PKbPfiPT4_PiiiibPKf
	.globl	_ZN4vllm3moe10topkGatingILi8ELi256ELi4ELi16ELi32El14__hip_bfloat16LNS0_11ScoringFuncE1EEEvPKT5_PKbPfiPT4_PiiiibPKf
	.p2align	8
	.type	_ZN4vllm3moe10topkGatingILi8ELi256ELi4ELi16ELi32El14__hip_bfloat16LNS0_11ScoringFuncE1EEEvPKT5_PKbPfiPT4_PiiiibPKf,@function
_ZN4vllm3moe10topkGatingILi8ELi256ELi4ELi16ELi32El14__hip_bfloat16LNS0_11ScoringFuncE1EEEvPKT5_PKbPfiPT4_PiiiibPKf: ; @_ZN4vllm3moe10topkGatingILi8ELi256ELi4ELi16ELi32El14__hip_bfloat16LNS0_11ScoringFuncE1EEEvPKT5_PKbPfiPT4_PiiiibPKf
; %bb.0:
	s_load_b32 s18, s[0:1], 0x18
	v_and_b32_e32 v1, 0x3ff, v0
	v_bfe_u32 v0, v0, 10, 10
	s_lshl_b32 s2, s15, 2
	s_delay_alu instid0(VALU_DEP_2) | instskip(NEXT) | instid1(VALU_DEP_1)
	v_lshrrev_b32_e32 v2, 5, v1
	v_add3_u32 v16, s2, v0, v2
	s_mov_b32 s2, exec_lo
	s_waitcnt lgkmcnt(0)
	s_delay_alu instid0(VALU_DEP_1)
	v_cmpx_gt_i32_e64 s18, v16
	s_cbranch_execz .LBB368_41
; %bb.1:
	s_clause 0x1
	s_load_b128 s[4:7], s[0:1], 0x0
	s_load_b64 s[16:17], s[0:1], 0x10
	s_mov_b32 s9, -1
	s_mov_b32 s19, -1
	s_waitcnt lgkmcnt(0)
	s_cmp_eq_u64 s[6:7], 0
	s_cbranch_scc1 .LBB368_3
; %bb.2:
	v_ashrrev_i32_e32 v0, 31, v16
	v_add_co_u32 v2, vcc_lo, s6, v16
	s_delay_alu instid0(VALU_DEP_2) | instskip(SKIP_3) | instid1(VALU_DEP_1)
	v_add_co_ci_u32_e32 v3, vcc_lo, s7, v0, vcc_lo
	global_load_u8 v0, v[2:3], off
	s_waitcnt vmcnt(0)
	v_and_b32_e32 v0, 1, v0
	v_cmp_eq_u32_e32 vcc_lo, 1, v0
	s_xor_b32 s2, vcc_lo, -1
	s_delay_alu instid0(SALU_CYCLE_1)
	s_or_not1_b32 s19, s2, exec_lo
.LBB368_3:
	v_lshlrev_b32_e32 v2, 8, v16
	v_and_b32_e32 v17, 31, v1
	s_load_b64 s[10:11], s[0:1], 0x40
	s_delay_alu instid0(VALU_DEP_2) | instskip(NEXT) | instid1(VALU_DEP_1)
	v_ashrrev_i32_e32 v3, 31, v2
	v_lshlrev_b64 v[0:1], 1, v[2:3]
	s_delay_alu instid0(VALU_DEP_3) | instskip(NEXT) | instid1(VALU_DEP_2)
	v_lshlrev_b32_e32 v2, 4, v17
	v_add_co_u32 v0, vcc_lo, s4, v0
	s_delay_alu instid0(VALU_DEP_3) | instskip(NEXT) | instid1(VALU_DEP_2)
	v_add_co_ci_u32_e32 v1, vcc_lo, s5, v1, vcc_lo
	v_add_co_u32 v0, vcc_lo, v0, v2
	s_delay_alu instid0(VALU_DEP_2)
	v_add_co_ci_u32_e32 v1, vcc_lo, 0, v1, vcc_lo
	s_waitcnt lgkmcnt(0)
	s_cmp_eq_u64 s[10:11], 0
	global_load_b128 v[0:3], v[0:1], off
	s_waitcnt vmcnt(0)
	v_lshlrev_b32_e32 v5, 16, v1
	v_and_b32_e32 v1, 0xffff0000, v1
	v_lshlrev_b32_e32 v4, 16, v0
	v_lshlrev_b32_e32 v7, 16, v3
	s_delay_alu instid0(VALU_DEP_4) | instskip(NEXT) | instid1(VALU_DEP_3)
	v_mul_f32_e32 v5, 0xbfb8aa3b, v5
	v_dual_mul_f32 v1, 0xbfb8aa3b, v1 :: v_dual_mul_f32 v4, 0xbfb8aa3b, v4
	s_delay_alu instid0(VALU_DEP_2) | instskip(SKIP_1) | instid1(VALU_DEP_2)
	v_exp_f32_e32 v5, v5
	v_and_b32_e32 v0, 0xffff0000, v0
	v_exp_f32_e32 v1, v1
	s_delay_alu instid0(VALU_DEP_2)
	v_exp_f32_e32 v4, v4
	s_delay_alu instid0(TRANS32_DEP_3) | instid1(VALU_DEP_1)
	v_dual_add_f32 v5, 1.0, v5 :: v_dual_mul_f32 v0, 0xbfb8aa3b, v0
	s_waitcnt_depctr 0xfff
	v_dual_add_f32 v1, 1.0, v1 :: v_dual_add_f32 v4, 1.0, v4
	v_div_scale_f32 v12, null, v5, v5, 1.0
	v_exp_f32_e32 v0, v0
	v_and_b32_e32 v3, 0xffff0000, v3
	v_div_scale_f32 v13, s3, 1.0, v5, 1.0
	s_delay_alu instid0(VALU_DEP_3)
	v_rcp_f32_e32 v28, v12
	v_div_scale_f32 v14, null, v1, v1, 1.0
	v_div_scale_f32 v15, s4, 1.0, v1, 1.0
	s_waitcnt_depctr 0xfff
	v_add_f32_e32 v0, 1.0, v0
	v_dual_mul_f32 v3, 0xbfb8aa3b, v3 :: v_dual_lshlrev_b32 v6, 16, v2
	v_and_b32_e32 v2, 0xffff0000, v2
	v_fma_f32 v37, -v12, v28, 1.0
	s_delay_alu instid0(VALU_DEP_4) | instskip(NEXT) | instid1(VALU_DEP_4)
	v_div_scale_f32 v10, null, v0, v0, 1.0
	v_dual_mul_f32 v6, 0xbfb8aa3b, v6 :: v_dual_mul_f32 v7, 0xbfb8aa3b, v7
	v_rcp_f32_e32 v29, v14
	v_exp_f32_e32 v3, v3
	s_delay_alu instid0(VALU_DEP_2) | instskip(NEXT) | instid1(VALU_DEP_1)
	v_rcp_f32_e32 v27, v10
	v_exp_f32_e32 v6, v6
	v_exp_f32_e32 v7, v7
	v_mul_f32_e32 v2, 0xbfb8aa3b, v2
	v_lshlrev_b32_e32 v18, 3, v17
	v_div_scale_f32 v11, s2, 1.0, v0, 1.0
	v_fma_f32 v38, -v14, v29, 1.0
	v_add_f32_e32 v9, 1.0, v3
	s_delay_alu instid0(TRANS32_DEP_3) | instskip(NEXT) | instid1(TRANS32_DEP_1)
	v_fma_f32 v36, -v10, v27, 1.0
	v_dual_add_f32 v6, 1.0, v6 :: v_dual_add_f32 v7, 1.0, v7
	v_exp_f32_e32 v2, v2
	s_delay_alu instid0(VALU_DEP_3) | instskip(NEXT) | instid1(VALU_DEP_3)
	v_div_scale_f32 v25, null, v9, v9, 1.0
	v_fmac_f32_e32 v27, v36, v27
	s_delay_alu instid0(VALU_DEP_3) | instskip(SKIP_2) | instid1(VALU_DEP_3)
	v_div_scale_f32 v23, null, v7, v7, 1.0
	v_fmac_f32_e32 v29, v38, v29
	v_div_scale_f32 v19, null, v6, v6, 1.0
	v_rcp_f32_e32 v32, v23
	s_delay_alu instid0(TRANS32_DEP_2) | instskip(SKIP_1) | instid1(VALU_DEP_3)
	v_add_f32_e32 v8, 1.0, v2
	v_div_scale_f32 v2, null, v4, v4, 1.0
	v_rcp_f32_e32 v30, v19
	v_rcp_f32_e32 v33, v25
	s_delay_alu instid0(VALU_DEP_2) | instskip(NEXT) | instid1(VALU_DEP_2)
	v_div_scale_f32 v21, null, v8, v8, 1.0
	v_rcp_f32_e32 v26, v2
	v_div_scale_f32 v3, vcc_lo, 1.0, v4, 1.0
	s_delay_alu instid0(VALU_DEP_2) | instskip(SKIP_3) | instid1(TRANS32_DEP_3)
	v_rcp_f32_e32 v31, v21
	v_fma_f32 v41, -v23, v32, 1.0
	v_div_scale_f32 v20, s5, 1.0, v6, 1.0
	v_fma_f32 v39, -v19, v30, 1.0
	v_fma_f32 v42, -v25, v33, 1.0
	v_fmac_f32_e32 v28, v37, v28
	s_delay_alu instid0(TRANS32_DEP_2) | instskip(SKIP_1) | instid1(VALU_DEP_4)
	v_fma_f32 v35, -v2, v26, 1.0
	v_div_scale_f32 v22, s6, 1.0, v8, 1.0
	v_fmac_f32_e32 v33, v42, v33
	s_delay_alu instid0(TRANS32_DEP_1) | instskip(NEXT) | instid1(VALU_DEP_4)
	v_fma_f32 v40, -v21, v31, 1.0
	v_fmac_f32_e32 v26, v35, v26
	v_dual_fmac_f32 v30, v39, v30 :: v_dual_mul_f32 v37, v13, v28
	v_mul_f32_e32 v36, v11, v27
	s_delay_alu instid0(VALU_DEP_4) | instskip(NEXT) | instid1(VALU_DEP_4)
	v_dual_fmac_f32 v31, v40, v31 :: v_dual_fmac_f32 v32, v41, v32
	v_mul_f32_e32 v35, v3, v26
	v_div_scale_f32 v24, s7, 1.0, v7, 1.0
	v_dual_mul_f32 v38, v15, v29 :: v_dual_mul_f32 v39, v20, v30
	s_delay_alu instid0(VALU_DEP_3) | instskip(NEXT) | instid1(VALU_DEP_3)
	v_fma_f32 v43, -v2, v35, v3
	v_mul_f32_e32 v41, v24, v32
	v_fma_f32 v44, -v10, v36, v11
	v_div_scale_f32 v34, s8, 1.0, v9, 1.0
	v_fma_f32 v45, -v12, v37, v13
	v_dual_mul_f32 v40, v22, v31 :: v_dual_fmac_f32 v35, v43, v26
	v_fma_f32 v46, -v14, v38, v15
	v_fma_f32 v47, -v19, v39, v20
	v_fmac_f32_e32 v36, v44, v27
	v_dual_mul_f32 v42, v34, v33 :: v_dual_fmac_f32 v37, v45, v28
	v_fma_f32 v2, -v2, v35, v3
	v_fma_f32 v49, -v23, v41, v24
	v_dual_fmac_f32 v38, v46, v29 :: v_dual_fmac_f32 v39, v47, v30
	v_fma_f32 v3, -v10, v36, v11
	v_fma_f32 v10, -v12, v37, v13
	s_delay_alu instid0(VALU_DEP_4)
	v_fmac_f32_e32 v41, v49, v32
	v_div_fmas_f32 v2, v2, v26, v35
	s_mov_b32 vcc_lo, s2
	v_fma_f32 v11, -v14, v38, v15
	v_div_fmas_f32 v3, v3, v27, v36
	s_mov_b32 vcc_lo, s3
	v_fma_f32 v48, -v21, v40, v22
	v_div_fmas_f32 v10, v10, v28, v37
	s_mov_b32 vcc_lo, s4
	v_div_fixup_f32 v2, v2, v4, 1.0
	v_div_fmas_f32 v4, v11, v29, v38
	v_fma_f32 v12, -v19, v39, v20
	s_mov_b32 vcc_lo, s5
	v_div_fixup_f32 v5, v10, v5, 1.0
	v_fma_f32 v50, -v25, v42, v34
	v_div_fixup_f32 v4, v4, v1, 1.0
	v_fmac_f32_e32 v40, v48, v31
	v_div_fmas_f32 v11, v12, v30, v39
	s_mov_b32 vcc_lo, s6
	v_fma_f32 v14, -v23, v41, v24
	v_div_fixup_f32 v3, v3, v0, 1.0
	v_fma_f32 v13, -v21, v40, v22
	v_div_fixup_f32 v6, v11, v6, 1.0
	s_delay_alu instid0(VALU_DEP_2)
	v_div_fmas_f32 v10, v13, v31, v40
	v_cmp_class_f32_e64 vcc_lo, v2, 0x1f8
	v_cndmask_b32_e32 v0, 0, v2, vcc_lo
	s_mov_b32 vcc_lo, s7
	v_div_fmas_f32 v12, v14, v32, v41
	v_cmp_class_f32_e64 vcc_lo, v3, 0x1f8
	v_fmac_f32_e32 v42, v50, v33
	s_delay_alu instid0(VALU_DEP_3) | instskip(SKIP_1) | instid1(VALU_DEP_3)
	v_div_fixup_f32 v7, v12, v7, 1.0
	v_cndmask_b32_e32 v1, 0, v3, vcc_lo
	v_fma_f32 v15, -v25, v42, v34
	s_mov_b32 vcc_lo, s8
	s_delay_alu instid0(VALU_DEP_1)
	v_div_fmas_f32 v11, v15, v33, v42
	v_cmp_class_f32_e64 vcc_lo, v5, 0x1f8
	v_cndmask_b32_e32 v2, 0, v5, vcc_lo
	v_cmp_class_f32_e64 vcc_lo, v4, 0x1f8
	v_div_fixup_f32 v5, v10, v8, 1.0
	v_div_fixup_f32 v8, v11, v9, 1.0
	v_cndmask_b32_e32 v3, 0, v4, vcc_lo
	v_cmp_class_f32_e64 vcc_lo, v6, 0x1f8
	v_cndmask_b32_e32 v4, 0, v6, vcc_lo
	v_cmp_class_f32_e64 vcc_lo, v5, 0x1f8
	v_cndmask_b32_e32 v5, 0, v5, vcc_lo
	v_cmp_class_f32_e64 vcc_lo, v7, 0x1f8
	v_cndmask_b32_e32 v6, 0, v7, vcc_lo
	v_cmp_class_f32_e64 vcc_lo, v8, 0x1f8
	v_cndmask_b32_e32 v7, 0, v8, vcc_lo
	s_cbranch_scc1 .LBB368_35
; %bb.4:
	v_lshlrev_b32_e32 v12, 2, v18
	s_clause 0x1
	global_load_b128 v[8:11], v12, s[10:11]
	global_load_b128 v[12:15], v12, s[10:11] offset:16
	s_waitcnt vmcnt(1)
	v_dual_add_f32 v9, v9, v1 :: v_dual_add_f32 v8, v8, v0
	v_dual_add_f32 v11, v11, v3 :: v_dual_add_f32 v10, v10, v2
	s_waitcnt vmcnt(0)
	v_dual_add_f32 v13, v13, v5 :: v_dual_add_f32 v12, v12, v4
	v_dual_add_f32 v15, v15, v7 :: v_dual_add_f32 v14, v14, v6
	s_cbranch_execnz .LBB368_6
.LBB368_5:
	v_dual_mov_b32 v15, v7 :: v_dual_mov_b32 v14, v6
	v_dual_mov_b32 v13, v5 :: v_dual_mov_b32 v12, v4
	;; [unrolled: 1-line block ×4, first 2 shown]
.LBB368_6:
	s_load_b128 s[8:11], s[0:1], 0x30
	v_cmp_eq_u32_e64 s2, 0, v17
	s_mov_b32 s6, 0
	s_waitcnt lgkmcnt(0)
	s_bitcmp1_b32 s11, 0
	s_cselect_b32 vcc_lo, -1, 0
	s_cmp_gt_i32 s8, 0
	s_cselect_b32 s5, -1, 0
	s_cmp_lt_i32 s8, 1
	s_cbranch_scc1 .LBB368_36
; %bb.7:
	v_mbcnt_lo_u32_b32 v20, -1, 0
	s_load_b128 s[12:15], s[0:1], 0x20
	v_mul_lo_u32 v19, v16, s8
	v_mov_b32_e32 v26, v16
	s_delay_alu instid0(VALU_DEP_3)
	v_xor_b32_e32 v21, 16, v20
	v_xor_b32_e32 v22, 8, v20
	;; [unrolled: 1-line block ×5, first 2 shown]
	v_cmp_gt_i32_e64 s0, 32, v21
	s_delay_alu instid0(VALU_DEP_1) | instskip(SKIP_1) | instid1(VALU_DEP_2)
	v_cndmask_b32_e64 v21, v20, v21, s0
	v_cmp_gt_i32_e64 s0, 32, v22
	v_lshlrev_b32_e32 v21, 2, v21
	s_delay_alu instid0(VALU_DEP_2) | instskip(SKIP_1) | instid1(VALU_DEP_2)
	v_cndmask_b32_e64 v22, v20, v22, s0
	v_cmp_gt_i32_e64 s0, 32, v23
	v_lshlrev_b32_e32 v22, 2, v22
	s_delay_alu instid0(VALU_DEP_2) | instskip(SKIP_1) | instid1(VALU_DEP_2)
	;; [unrolled: 4-line block ×3, first 2 shown]
	v_cndmask_b32_e64 v24, v20, v24, s0
	v_cmp_gt_i32_e64 s0, 32, v25
	v_lshlrev_b32_e32 v24, 2, v24
	s_delay_alu instid0(VALU_DEP_2) | instskip(NEXT) | instid1(VALU_DEP_1)
	v_cndmask_b32_e64 v20, v20, v25, s0
	v_dual_mov_b32 v20, 0 :: v_dual_lshlrev_b32 v25, 2, v20
	s_branch .LBB368_10
.LBB368_8:                              ;   in Loop: Header=BB368_10 Depth=1
	s_or_b32 exec_lo, exec_lo, s1
.LBB368_9:                              ;   in Loop: Header=BB368_10 Depth=1
	v_add_nc_u32_e32 v26, s18, v26
	s_cmp_eq_u32 s8, s6
	s_cbranch_scc1 .LBB368_37
.LBB368_10:                             ; =>This Inner Loop Header: Depth=1
	v_cmp_gt_f32_e64 s0, v9, v8
	s_delay_alu instid0(VALU_DEP_1) | instskip(SKIP_2) | instid1(VALU_DEP_3)
	v_cndmask_b32_e64 v28, v8, v9, s0
	v_cndmask_b32_e64 v27, 0, 1, s0
	;; [unrolled: 1-line block ×3, first 2 shown]
	v_cmp_gt_f32_e64 s1, v10, v28
	s_delay_alu instid0(VALU_DEP_1) | instskip(NEXT) | instid1(VALU_DEP_4)
	v_cndmask_b32_e64 v28, v28, v10, s1
	v_cndmask_b32_e64 v27, v27, 2, s1
	s_delay_alu instid0(VALU_DEP_4) | instskip(NEXT) | instid1(VALU_DEP_3)
	v_cndmask_b32_e64 v29, v29, v2, s1
	v_cmp_gt_f32_e64 s3, v11, v28
	s_delay_alu instid0(VALU_DEP_1) | instskip(NEXT) | instid1(VALU_DEP_4)
	v_cndmask_b32_e64 v28, v28, v11, s3
	v_cndmask_b32_e64 v27, v27, 3, s3
	s_delay_alu instid0(VALU_DEP_4) | instskip(NEXT) | instid1(VALU_DEP_3)
	v_cndmask_b32_e64 v29, v29, v3, s3
	v_cmp_gt_f32_e64 s4, v12, v28
	s_delay_alu instid0(VALU_DEP_1) | instskip(NEXT) | instid1(VALU_DEP_4)
	v_cndmask_b32_e64 v28, v28, v12, s4
	v_cndmask_b32_e64 v27, v27, 4, s4
	s_delay_alu instid0(VALU_DEP_4) | instskip(SKIP_1) | instid1(VALU_DEP_3)
	v_cndmask_b32_e64 v29, v29, v4, s4
	s_mov_b32 s4, exec_lo
	v_cmp_gt_f32_e64 s0, v13, v28
	s_delay_alu instid0(VALU_DEP_1) | instskip(SKIP_2) | instid1(VALU_DEP_3)
	v_cndmask_b32_e64 v28, v28, v13, s0
	v_cndmask_b32_e64 v27, v27, 5, s0
	;; [unrolled: 1-line block ×3, first 2 shown]
	v_cmp_gt_f32_e64 s1, v14, v28
	s_delay_alu instid0(VALU_DEP_1) | instskip(NEXT) | instid1(VALU_DEP_4)
	v_cndmask_b32_e64 v28, v28, v14, s1
	v_cndmask_b32_e64 v27, v27, 6, s1
	s_waitcnt lgkmcnt(0)
	v_cndmask_b32_e64 v30, v29, v6, s1
	s_delay_alu instid0(VALU_DEP_3) | instskip(NEXT) | instid1(VALU_DEP_1)
	v_cmp_gt_f32_e64 s0, v15, v28
	v_cndmask_b32_e64 v27, v27, 7, s0
	v_cndmask_b32_e64 v29, v28, v15, s0
	s_delay_alu instid0(VALU_DEP_4) | instskip(NEXT) | instid1(VALU_DEP_3)
	v_cndmask_b32_e64 v28, v30, v7, s0
	v_or_b32_e32 v27, v18, v27
	ds_bpermute_b32 v30, v21, v29
	ds_bpermute_b32 v32, v21, v28
	;; [unrolled: 1-line block ×3, first 2 shown]
	s_waitcnt lgkmcnt(0)
	v_cmp_lt_f32_e64 s3, v29, v30
	v_cmpx_nlt_f32_e32 v29, v30
; %bb.11:                               ;   in Loop: Header=BB368_10 Depth=1
	v_cmp_eq_f32_e64 s0, v29, v30
	v_cmp_lt_i32_e64 s1, v31, v27
	s_delay_alu instid0(VALU_DEP_1) | instskip(SKIP_2) | instid1(SALU_CYCLE_1)
	s_and_b32 s0, s0, s1
	s_and_not1_b32 s1, s3, exec_lo
	s_and_b32 s0, s0, exec_lo
	s_or_b32 s3, s1, s0
; %bb.12:                               ;   in Loop: Header=BB368_10 Depth=1
	s_or_b32 exec_lo, exec_lo, s4
	s_and_saveexec_b32 s0, s3
; %bb.13:                               ;   in Loop: Header=BB368_10 Depth=1
	v_dual_mov_b32 v28, v32 :: v_dual_mov_b32 v29, v30
	v_mov_b32_e32 v27, v31
; %bb.14:                               ;   in Loop: Header=BB368_10 Depth=1
	s_or_b32 exec_lo, exec_lo, s0
	ds_bpermute_b32 v30, v22, v29
	ds_bpermute_b32 v32, v22, v28
	;; [unrolled: 1-line block ×3, first 2 shown]
	s_mov_b32 s4, exec_lo
	s_waitcnt lgkmcnt(2)
	v_cmp_lt_f32_e64 s3, v29, v30
	v_cmpx_nlt_f32_e32 v29, v30
	s_cbranch_execz .LBB368_16
; %bb.15:                               ;   in Loop: Header=BB368_10 Depth=1
	v_cmp_eq_f32_e64 s0, v29, v30
	s_waitcnt lgkmcnt(0)
	v_cmp_lt_i32_e64 s1, v31, v27
	s_delay_alu instid0(VALU_DEP_1) | instskip(SKIP_2) | instid1(SALU_CYCLE_1)
	s_and_b32 s0, s0, s1
	s_and_not1_b32 s1, s3, exec_lo
	s_and_b32 s0, s0, exec_lo
	s_or_b32 s3, s1, s0
.LBB368_16:                             ;   in Loop: Header=BB368_10 Depth=1
	s_or_b32 exec_lo, exec_lo, s4
	s_delay_alu instid0(VALU_DEP_2)
	s_and_saveexec_b32 s0, s3
	s_cbranch_execz .LBB368_18
; %bb.17:                               ;   in Loop: Header=BB368_10 Depth=1
	s_waitcnt lgkmcnt(1)
	v_dual_mov_b32 v28, v32 :: v_dual_mov_b32 v29, v30
	s_waitcnt lgkmcnt(0)
	v_mov_b32_e32 v27, v31
.LBB368_18:                             ;   in Loop: Header=BB368_10 Depth=1
	s_or_b32 exec_lo, exec_lo, s0
	ds_bpermute_b32 v30, v23, v29
	s_waitcnt lgkmcnt(2)
	ds_bpermute_b32 v32, v23, v28
	s_waitcnt lgkmcnt(2)
	ds_bpermute_b32 v31, v23, v27
	s_mov_b32 s4, exec_lo
	s_waitcnt lgkmcnt(2)
	v_cmp_lt_f32_e64 s3, v29, v30
	v_cmpx_nlt_f32_e32 v29, v30
	s_cbranch_execz .LBB368_20
; %bb.19:                               ;   in Loop: Header=BB368_10 Depth=1
	v_cmp_eq_f32_e64 s0, v29, v30
	s_waitcnt lgkmcnt(0)
	v_cmp_lt_i32_e64 s1, v31, v27
	s_delay_alu instid0(VALU_DEP_1) | instskip(SKIP_2) | instid1(SALU_CYCLE_1)
	s_and_b32 s0, s0, s1
	s_and_not1_b32 s1, s3, exec_lo
	s_and_b32 s0, s0, exec_lo
	s_or_b32 s3, s1, s0
.LBB368_20:                             ;   in Loop: Header=BB368_10 Depth=1
	s_or_b32 exec_lo, exec_lo, s4
	s_delay_alu instid0(VALU_DEP_2)
	s_and_saveexec_b32 s0, s3
	s_cbranch_execz .LBB368_22
; %bb.21:                               ;   in Loop: Header=BB368_10 Depth=1
	s_waitcnt lgkmcnt(1)
	v_dual_mov_b32 v28, v32 :: v_dual_mov_b32 v29, v30
	s_waitcnt lgkmcnt(0)
	v_mov_b32_e32 v27, v31
.LBB368_22:                             ;   in Loop: Header=BB368_10 Depth=1
	s_or_b32 exec_lo, exec_lo, s0
	ds_bpermute_b32 v30, v24, v29
	s_waitcnt lgkmcnt(2)
	ds_bpermute_b32 v32, v24, v28
	s_waitcnt lgkmcnt(2)
	ds_bpermute_b32 v31, v24, v27
	s_mov_b32 s4, exec_lo
	s_waitcnt lgkmcnt(2)
	v_cmp_lt_f32_e64 s3, v29, v30
	v_cmpx_nlt_f32_e32 v29, v30
	s_cbranch_execz .LBB368_24
; %bb.23:                               ;   in Loop: Header=BB368_10 Depth=1
	v_cmp_eq_f32_e64 s0, v29, v30
	s_waitcnt lgkmcnt(0)
	v_cmp_lt_i32_e64 s1, v31, v27
	s_delay_alu instid0(VALU_DEP_1) | instskip(SKIP_2) | instid1(SALU_CYCLE_1)
	s_and_b32 s0, s0, s1
	s_and_not1_b32 s1, s3, exec_lo
	s_and_b32 s0, s0, exec_lo
	s_or_b32 s3, s1, s0
.LBB368_24:                             ;   in Loop: Header=BB368_10 Depth=1
	s_or_b32 exec_lo, exec_lo, s4
	s_delay_alu instid0(VALU_DEP_2)
	s_and_saveexec_b32 s0, s3
	s_cbranch_execz .LBB368_26
; %bb.25:                               ;   in Loop: Header=BB368_10 Depth=1
	s_waitcnt lgkmcnt(1)
	v_dual_mov_b32 v28, v32 :: v_dual_mov_b32 v29, v30
	s_waitcnt lgkmcnt(0)
	v_mov_b32_e32 v27, v31
.LBB368_26:                             ;   in Loop: Header=BB368_10 Depth=1
	s_or_b32 exec_lo, exec_lo, s0
	s_waitcnt lgkmcnt(1)
	ds_bpermute_b32 v32, v25, v29
	ds_bpermute_b32 v30, v25, v28
	s_waitcnt lgkmcnt(2)
	ds_bpermute_b32 v31, v25, v27
	s_mov_b32 s4, exec_lo
	s_waitcnt lgkmcnt(2)
	v_cmp_lt_f32_e64 s3, v29, v32
	v_cmpx_nlt_f32_e32 v29, v32
	s_cbranch_execnz .LBB368_30
; %bb.27:                               ;   in Loop: Header=BB368_10 Depth=1
	s_or_b32 exec_lo, exec_lo, s4
	s_delay_alu instid0(VALU_DEP_2)
	s_and_saveexec_b32 s0, s3
	s_cbranch_execnz .LBB368_31
.LBB368_28:                             ;   in Loop: Header=BB368_10 Depth=1
	s_or_b32 exec_lo, exec_lo, s0
	s_and_saveexec_b32 s3, s2
	s_cbranch_execnz .LBB368_32
.LBB368_29:                             ;   in Loop: Header=BB368_10 Depth=1
	s_or_b32 exec_lo, exec_lo, s3
	s_add_i32 s6, s6, 1
	s_delay_alu instid0(SALU_CYCLE_1)
	s_cmp_ge_i32 s6, s8
	s_cbranch_scc1 .LBB368_9
	s_branch .LBB368_33
.LBB368_30:                             ;   in Loop: Header=BB368_10 Depth=1
	v_cmp_eq_f32_e64 s0, v29, v32
	s_waitcnt lgkmcnt(0)
	v_cmp_lt_i32_e64 s1, v31, v27
	s_delay_alu instid0(VALU_DEP_1) | instskip(SKIP_2) | instid1(SALU_CYCLE_1)
	s_and_b32 s0, s0, s1
	s_and_not1_b32 s1, s3, exec_lo
	s_and_b32 s0, s0, exec_lo
	s_or_b32 s3, s1, s0
	s_or_b32 exec_lo, exec_lo, s4
	s_and_saveexec_b32 s0, s3
	s_cbranch_execz .LBB368_28
.LBB368_31:                             ;   in Loop: Header=BB368_10 Depth=1
	s_waitcnt lgkmcnt(0)
	v_dual_mov_b32 v27, v31 :: v_dual_mov_b32 v28, v30
	s_or_b32 exec_lo, exec_lo, s0
	s_and_saveexec_b32 s3, s2
	s_cbranch_execz .LBB368_29
.LBB368_32:                             ;   in Loop: Header=BB368_10 Depth=1
	s_delay_alu instid0(VALU_DEP_1)
	v_add_f32_e32 v37, v20, v28
	v_add_nc_u32_e32 v29, s6, v19
	v_subrev_nc_u32_e32 v33, s9, v27
	v_cmp_le_i32_e64 s0, s9, v27
	v_cmp_gt_i32_e64 s1, s10, v27
	v_cndmask_b32_e32 v20, v20, v37, vcc_lo
	s_waitcnt lgkmcnt(1)
	v_ashrrev_i32_e32 v30, 31, v29
	v_ashrrev_i32_e32 v34, 31, v33
	s_and_b32 s0, s0, s1
	s_waitcnt lgkmcnt(0)
	s_delay_alu instid0(VALU_DEP_2) | instskip(SKIP_2) | instid1(SALU_CYCLE_1)
	v_lshlrev_b64 v[31:32], 2, v[29:30]
	v_lshlrev_b64 v[29:30], 3, v[29:30]
	s_and_b32 s0, s19, s0
	v_cndmask_b32_e64 v34, 0, v34, s0
	v_cndmask_b32_e64 v33, 0x100, v33, s0
	s_delay_alu instid0(VALU_DEP_4) | instskip(NEXT) | instid1(VALU_DEP_1)
	v_add_co_u32 v35, s0, s16, v31
	v_add_co_ci_u32_e64 v36, s0, s17, v32, s0
	v_add_co_u32 v29, s0, s12, v29
	s_delay_alu instid0(VALU_DEP_1) | instskip(SKIP_1) | instid1(VALU_DEP_1)
	v_add_co_ci_u32_e64 v30, s0, s13, v30, s0
	v_add_co_u32 v31, s0, s14, v31
	v_add_co_ci_u32_e64 v32, s0, s15, v32, s0
	global_store_b32 v[35:36], v28, off
	global_store_b64 v[29:30], v[33:34], off
	global_store_b32 v[31:32], v26, off
	s_or_b32 exec_lo, exec_lo, s3
	s_add_i32 s6, s6, 1
	s_delay_alu instid0(SALU_CYCLE_1)
	s_cmp_ge_i32 s6, s8
	s_cbranch_scc1 .LBB368_9
.LBB368_33:                             ;   in Loop: Header=BB368_10 Depth=1
	v_ashrrev_i32_e32 v28, 31, v27
	s_mov_b32 s1, exec_lo
	s_delay_alu instid0(VALU_DEP_1) | instskip(NEXT) | instid1(VALU_DEP_1)
	v_lshrrev_b32_e32 v29, 29, v28
	v_add_nc_u32_e32 v29, v27, v29
	s_waitcnt lgkmcnt(1)
	s_delay_alu instid0(VALU_DEP_1) | instskip(SKIP_1) | instid1(VALU_DEP_2)
	v_ashrrev_i32_e32 v30, 31, v29
	v_ashrrev_i32_e32 v29, 3, v29
	v_lshrrev_b32_e32 v30, 27, v30
	s_delay_alu instid0(VALU_DEP_1) | instskip(NEXT) | instid1(VALU_DEP_1)
	v_add_nc_u32_e32 v30, v29, v30
	v_and_b32_e32 v30, 0xffffffe0, v30
	s_delay_alu instid0(VALU_DEP_1) | instskip(NEXT) | instid1(VALU_DEP_1)
	v_sub_nc_u32_e32 v30, v29, v30
	v_cmpx_eq_u32_e64 v17, v30
	s_cbranch_execz .LBB368_8
; %bb.34:                               ;   in Loop: Header=BB368_10 Depth=1
	v_lshrrev_b32_e32 v28, 24, v28
	v_lshlrev_b32_e32 v29, 3, v29
	s_delay_alu instid0(VALU_DEP_2) | instskip(NEXT) | instid1(VALU_DEP_2)
	v_add_nc_u32_e32 v28, v27, v28
	v_sub_nc_u32_e32 v27, v27, v29
	s_delay_alu instid0(VALU_DEP_2) | instskip(NEXT) | instid1(VALU_DEP_1)
	v_ashrrev_i32_e32 v28, 8, v28
	v_lshl_add_u32 v27, v28, 3, v27
	s_delay_alu instid0(VALU_DEP_1) | instskip(NEXT) | instid1(VALU_DEP_1)
	v_cmp_ne_u32_e64 s0, 7, v27
	v_cndmask_b32_e64 v15, 0xc61c4000, v15, s0
	v_cmp_ne_u32_e64 s0, 6, v27
	s_delay_alu instid0(VALU_DEP_1) | instskip(SKIP_1) | instid1(VALU_DEP_1)
	v_cndmask_b32_e64 v14, 0xc61c4000, v14, s0
	v_cmp_ne_u32_e64 s0, 5, v27
	v_cndmask_b32_e64 v13, 0xc61c4000, v13, s0
	v_cmp_ne_u32_e64 s0, 4, v27
	s_delay_alu instid0(VALU_DEP_1) | instskip(SKIP_1) | instid1(VALU_DEP_1)
	v_cndmask_b32_e64 v12, 0xc61c4000, v12, s0
	;; [unrolled: 5-line block ×3, first 2 shown]
	v_cmp_ne_u32_e64 s0, 1, v27
	v_cndmask_b32_e64 v9, 0xc61c4000, v9, s0
	v_cmp_ne_u32_e64 s0, 0, v27
	s_delay_alu instid0(VALU_DEP_1)
	v_cndmask_b32_e64 v8, 0xc61c4000, v8, s0
	s_branch .LBB368_8
.LBB368_35:
                                        ; implicit-def: $vgpr8_vgpr9_vgpr10_vgpr11_vgpr12_vgpr13_vgpr14_vgpr15
	s_and_not1_b32 vcc_lo, exec_lo, s9
	s_cbranch_vccz .LBB368_5
	s_branch .LBB368_6
.LBB368_36:
	v_mov_b32_e32 v20, 0
.LBB368_37:
	v_cmp_eq_u32_e64 s0, 0, v17
	s_delay_alu instid0(VALU_DEP_1) | instskip(NEXT) | instid1(SALU_CYCLE_1)
	s_and_b32 s0, s0, vcc_lo
	s_and_b32 exec_lo, exec_lo, s0
	s_cbranch_execz .LBB368_41
; %bb.38:
	s_and_not1_b32 vcc_lo, exec_lo, s5
	s_cbranch_vccnz .LBB368_41
; %bb.39:
	v_mul_lo_u32 v0, v16, s8
	v_cmp_lt_f32_e32 vcc_lo, 0, v20
	v_cndmask_b32_e32 v2, 1.0, v20, vcc_lo
	s_delay_alu instid0(VALU_DEP_3) | instskip(NEXT) | instid1(VALU_DEP_1)
	v_ashrrev_i32_e32 v1, 31, v0
	v_lshlrev_b64 v[0:1], 2, v[0:1]
	s_delay_alu instid0(VALU_DEP_1) | instskip(NEXT) | instid1(VALU_DEP_2)
	v_add_co_u32 v0, vcc_lo, s16, v0
	v_add_co_ci_u32_e32 v1, vcc_lo, s17, v1, vcc_lo
	.p2align	6
.LBB368_40:                             ; =>This Inner Loop Header: Depth=1
	global_load_b32 v3, v[0:1], off
	s_add_i32 s8, s8, -1
	s_delay_alu instid0(SALU_CYCLE_1) | instskip(SKIP_3) | instid1(VALU_DEP_2)
	s_cmp_lg_u32 s8, 0
	s_waitcnt vmcnt(0)
	v_div_scale_f32 v4, null, v2, v2, v3
	v_div_scale_f32 v7, vcc_lo, v3, v2, v3
	v_rcp_f32_e32 v5, v4
	s_waitcnt_depctr 0xfff
	v_fma_f32 v6, -v4, v5, 1.0
	s_delay_alu instid0(VALU_DEP_1) | instskip(NEXT) | instid1(VALU_DEP_1)
	v_fmac_f32_e32 v5, v6, v5
	v_mul_f32_e32 v6, v7, v5
	s_delay_alu instid0(VALU_DEP_1) | instskip(NEXT) | instid1(VALU_DEP_1)
	v_fma_f32 v8, -v4, v6, v7
	v_fmac_f32_e32 v6, v8, v5
	s_delay_alu instid0(VALU_DEP_1) | instskip(NEXT) | instid1(VALU_DEP_1)
	v_fma_f32 v4, -v4, v6, v7
	v_div_fmas_f32 v4, v4, v5, v6
	s_delay_alu instid0(VALU_DEP_1)
	v_div_fixup_f32 v3, v4, v2, v3
	global_store_b32 v[0:1], v3, off
	v_add_co_u32 v0, vcc_lo, v0, 4
	v_add_co_ci_u32_e32 v1, vcc_lo, 0, v1, vcc_lo
	s_cbranch_scc1 .LBB368_40
.LBB368_41:
	s_nop 0
	s_sendmsg sendmsg(MSG_DEALLOC_VGPRS)
	s_endpgm
	.section	.rodata,"a",@progbits
	.p2align	6, 0x0
	.amdhsa_kernel _ZN4vllm3moe10topkGatingILi8ELi256ELi4ELi16ELi32El14__hip_bfloat16LNS0_11ScoringFuncE1EEEvPKT5_PKbPfiPT4_PiiiibPKf
		.amdhsa_group_segment_fixed_size 0
		.amdhsa_private_segment_fixed_size 0
		.amdhsa_kernarg_size 72
		.amdhsa_user_sgpr_count 15
		.amdhsa_user_sgpr_dispatch_ptr 0
		.amdhsa_user_sgpr_queue_ptr 0
		.amdhsa_user_sgpr_kernarg_segment_ptr 1
		.amdhsa_user_sgpr_dispatch_id 0
		.amdhsa_user_sgpr_private_segment_size 0
		.amdhsa_wavefront_size32 1
		.amdhsa_uses_dynamic_stack 0
		.amdhsa_enable_private_segment 0
		.amdhsa_system_sgpr_workgroup_id_x 1
		.amdhsa_system_sgpr_workgroup_id_y 0
		.amdhsa_system_sgpr_workgroup_id_z 0
		.amdhsa_system_sgpr_workgroup_info 0
		.amdhsa_system_vgpr_workitem_id 1
		.amdhsa_next_free_vgpr 51
		.amdhsa_next_free_sgpr 20
		.amdhsa_reserve_vcc 1
		.amdhsa_float_round_mode_32 0
		.amdhsa_float_round_mode_16_64 0
		.amdhsa_float_denorm_mode_32 3
		.amdhsa_float_denorm_mode_16_64 3
		.amdhsa_dx10_clamp 1
		.amdhsa_ieee_mode 1
		.amdhsa_fp16_overflow 0
		.amdhsa_workgroup_processor_mode 1
		.amdhsa_memory_ordered 1
		.amdhsa_forward_progress 0
		.amdhsa_shared_vgpr_count 0
		.amdhsa_exception_fp_ieee_invalid_op 0
		.amdhsa_exception_fp_denorm_src 0
		.amdhsa_exception_fp_ieee_div_zero 0
		.amdhsa_exception_fp_ieee_overflow 0
		.amdhsa_exception_fp_ieee_underflow 0
		.amdhsa_exception_fp_ieee_inexact 0
		.amdhsa_exception_int_div_zero 0
	.end_amdhsa_kernel
	.section	.text._ZN4vllm3moe10topkGatingILi8ELi256ELi4ELi16ELi32El14__hip_bfloat16LNS0_11ScoringFuncE1EEEvPKT5_PKbPfiPT4_PiiiibPKf,"axG",@progbits,_ZN4vllm3moe10topkGatingILi8ELi256ELi4ELi16ELi32El14__hip_bfloat16LNS0_11ScoringFuncE1EEEvPKT5_PKbPfiPT4_PiiiibPKf,comdat
.Lfunc_end368:
	.size	_ZN4vllm3moe10topkGatingILi8ELi256ELi4ELi16ELi32El14__hip_bfloat16LNS0_11ScoringFuncE1EEEvPKT5_PKbPfiPT4_PiiiibPKf, .Lfunc_end368-_ZN4vllm3moe10topkGatingILi8ELi256ELi4ELi16ELi32El14__hip_bfloat16LNS0_11ScoringFuncE1EEEvPKT5_PKbPfiPT4_PiiiibPKf
                                        ; -- End function
	.section	.AMDGPU.csdata,"",@progbits
; Kernel info:
; codeLenInByte = 3304
; NumSgprs: 22
; NumVgprs: 51
; ScratchSize: 0
; MemoryBound: 0
; FloatMode: 240
; IeeeMode: 1
; LDSByteSize: 0 bytes/workgroup (compile time only)
; SGPRBlocks: 2
; VGPRBlocks: 6
; NumSGPRsForWavesPerEU: 22
; NumVGPRsForWavesPerEU: 51
; Occupancy: 16
; WaveLimiterHint : 0
; COMPUTE_PGM_RSRC2:SCRATCH_EN: 0
; COMPUTE_PGM_RSRC2:USER_SGPR: 15
; COMPUTE_PGM_RSRC2:TRAP_HANDLER: 0
; COMPUTE_PGM_RSRC2:TGID_X_EN: 1
; COMPUTE_PGM_RSRC2:TGID_Y_EN: 0
; COMPUTE_PGM_RSRC2:TGID_Z_EN: 0
; COMPUTE_PGM_RSRC2:TIDIG_COMP_CNT: 1
	.section	.text._ZN4vllm3moe10topkGatingILi8ELi512ELi4ELi16ELi64El14__hip_bfloat16LNS0_11ScoringFuncE1EEEvPKT5_PKbPfiPT4_PiiiibPKf,"axG",@progbits,_ZN4vllm3moe10topkGatingILi8ELi512ELi4ELi16ELi64El14__hip_bfloat16LNS0_11ScoringFuncE1EEEvPKT5_PKbPfiPT4_PiiiibPKf,comdat
	.protected	_ZN4vllm3moe10topkGatingILi8ELi512ELi4ELi16ELi64El14__hip_bfloat16LNS0_11ScoringFuncE1EEEvPKT5_PKbPfiPT4_PiiiibPKf ; -- Begin function _ZN4vllm3moe10topkGatingILi8ELi512ELi4ELi16ELi64El14__hip_bfloat16LNS0_11ScoringFuncE1EEEvPKT5_PKbPfiPT4_PiiiibPKf
	.globl	_ZN4vllm3moe10topkGatingILi8ELi512ELi4ELi16ELi64El14__hip_bfloat16LNS0_11ScoringFuncE1EEEvPKT5_PKbPfiPT4_PiiiibPKf
	.p2align	8
	.type	_ZN4vllm3moe10topkGatingILi8ELi512ELi4ELi16ELi64El14__hip_bfloat16LNS0_11ScoringFuncE1EEEvPKT5_PKbPfiPT4_PiiiibPKf,@function
_ZN4vllm3moe10topkGatingILi8ELi512ELi4ELi16ELi64El14__hip_bfloat16LNS0_11ScoringFuncE1EEEvPKT5_PKbPfiPT4_PiiiibPKf: ; @_ZN4vllm3moe10topkGatingILi8ELi512ELi4ELi16ELi64El14__hip_bfloat16LNS0_11ScoringFuncE1EEEvPKT5_PKbPfiPT4_PiiiibPKf
; %bb.0:
	s_load_b32 s18, s[0:1], 0x18
	v_and_b32_e32 v1, 0x3ff, v0
	v_bfe_u32 v0, v0, 10, 10
	s_lshl_b32 s2, s15, 2
	s_delay_alu instid0(VALU_DEP_2) | instskip(NEXT) | instid1(VALU_DEP_1)
	v_lshrrev_b32_e32 v2, 6, v1
	v_add3_u32 v16, s2, v0, v2
	s_mov_b32 s2, exec_lo
	s_waitcnt lgkmcnt(0)
	s_delay_alu instid0(VALU_DEP_1)
	v_cmpx_gt_i32_e64 s18, v16
	s_cbranch_execz .LBB369_45
; %bb.1:
	s_clause 0x1
	s_load_b128 s[4:7], s[0:1], 0x0
	s_load_b64 s[16:17], s[0:1], 0x10
	s_mov_b32 s9, -1
	s_mov_b32 s19, -1
	s_waitcnt lgkmcnt(0)
	s_cmp_eq_u64 s[6:7], 0
	s_cbranch_scc1 .LBB369_3
; %bb.2:
	v_ashrrev_i32_e32 v0, 31, v16
	v_add_co_u32 v2, vcc_lo, s6, v16
	s_delay_alu instid0(VALU_DEP_2) | instskip(SKIP_3) | instid1(VALU_DEP_1)
	v_add_co_ci_u32_e32 v3, vcc_lo, s7, v0, vcc_lo
	global_load_u8 v0, v[2:3], off
	s_waitcnt vmcnt(0)
	v_and_b32_e32 v0, 1, v0
	v_cmp_eq_u32_e32 vcc_lo, 1, v0
	s_xor_b32 s2, vcc_lo, -1
	s_delay_alu instid0(SALU_CYCLE_1)
	s_or_not1_b32 s19, s2, exec_lo
.LBB369_3:
	v_lshlrev_b32_e32 v2, 9, v16
	v_and_b32_e32 v17, 63, v1
	s_load_b64 s[10:11], s[0:1], 0x40
	s_delay_alu instid0(VALU_DEP_2) | instskip(NEXT) | instid1(VALU_DEP_1)
	v_ashrrev_i32_e32 v3, 31, v2
	v_lshlrev_b64 v[0:1], 1, v[2:3]
	s_delay_alu instid0(VALU_DEP_3) | instskip(NEXT) | instid1(VALU_DEP_2)
	v_lshlrev_b32_e32 v2, 4, v17
	v_add_co_u32 v0, vcc_lo, s4, v0
	s_delay_alu instid0(VALU_DEP_3) | instskip(NEXT) | instid1(VALU_DEP_2)
	v_add_co_ci_u32_e32 v1, vcc_lo, s5, v1, vcc_lo
	v_add_co_u32 v0, vcc_lo, v0, v2
	s_delay_alu instid0(VALU_DEP_2)
	v_add_co_ci_u32_e32 v1, vcc_lo, 0, v1, vcc_lo
	s_waitcnt lgkmcnt(0)
	s_cmp_eq_u64 s[10:11], 0
	global_load_b128 v[0:3], v[0:1], off
	s_waitcnt vmcnt(0)
	v_lshlrev_b32_e32 v5, 16, v1
	v_and_b32_e32 v1, 0xffff0000, v1
	v_lshlrev_b32_e32 v4, 16, v0
	v_lshlrev_b32_e32 v7, 16, v3
	s_delay_alu instid0(VALU_DEP_4) | instskip(NEXT) | instid1(VALU_DEP_3)
	v_mul_f32_e32 v5, 0xbfb8aa3b, v5
	v_dual_mul_f32 v1, 0xbfb8aa3b, v1 :: v_dual_mul_f32 v4, 0xbfb8aa3b, v4
	s_delay_alu instid0(VALU_DEP_2) | instskip(SKIP_1) | instid1(VALU_DEP_2)
	v_exp_f32_e32 v5, v5
	v_and_b32_e32 v0, 0xffff0000, v0
	v_exp_f32_e32 v1, v1
	s_delay_alu instid0(VALU_DEP_2)
	v_exp_f32_e32 v4, v4
	s_delay_alu instid0(TRANS32_DEP_3) | instid1(VALU_DEP_1)
	v_dual_add_f32 v5, 1.0, v5 :: v_dual_mul_f32 v0, 0xbfb8aa3b, v0
	s_waitcnt_depctr 0xfff
	v_dual_add_f32 v1, 1.0, v1 :: v_dual_add_f32 v4, 1.0, v4
	v_div_scale_f32 v12, null, v5, v5, 1.0
	v_exp_f32_e32 v0, v0
	v_and_b32_e32 v3, 0xffff0000, v3
	v_div_scale_f32 v13, s3, 1.0, v5, 1.0
	s_delay_alu instid0(VALU_DEP_3)
	v_rcp_f32_e32 v28, v12
	v_div_scale_f32 v14, null, v1, v1, 1.0
	v_div_scale_f32 v15, s4, 1.0, v1, 1.0
	s_waitcnt_depctr 0xfff
	v_add_f32_e32 v0, 1.0, v0
	v_dual_mul_f32 v3, 0xbfb8aa3b, v3 :: v_dual_lshlrev_b32 v6, 16, v2
	v_and_b32_e32 v2, 0xffff0000, v2
	v_fma_f32 v37, -v12, v28, 1.0
	s_delay_alu instid0(VALU_DEP_4) | instskip(NEXT) | instid1(VALU_DEP_4)
	v_div_scale_f32 v10, null, v0, v0, 1.0
	v_dual_mul_f32 v6, 0xbfb8aa3b, v6 :: v_dual_mul_f32 v7, 0xbfb8aa3b, v7
	v_rcp_f32_e32 v29, v14
	v_exp_f32_e32 v3, v3
	s_delay_alu instid0(VALU_DEP_2) | instskip(NEXT) | instid1(VALU_DEP_1)
	v_rcp_f32_e32 v27, v10
	v_exp_f32_e32 v6, v6
	v_exp_f32_e32 v7, v7
	v_mul_f32_e32 v2, 0xbfb8aa3b, v2
	v_lshlrev_b32_e32 v18, 3, v17
	v_div_scale_f32 v11, s2, 1.0, v0, 1.0
	v_fma_f32 v38, -v14, v29, 1.0
	v_add_f32_e32 v9, 1.0, v3
	s_delay_alu instid0(TRANS32_DEP_3) | instskip(NEXT) | instid1(TRANS32_DEP_1)
	v_fma_f32 v36, -v10, v27, 1.0
	v_dual_add_f32 v6, 1.0, v6 :: v_dual_add_f32 v7, 1.0, v7
	v_exp_f32_e32 v2, v2
	s_delay_alu instid0(VALU_DEP_3) | instskip(NEXT) | instid1(VALU_DEP_3)
	v_div_scale_f32 v25, null, v9, v9, 1.0
	v_fmac_f32_e32 v27, v36, v27
	s_delay_alu instid0(VALU_DEP_3) | instskip(SKIP_2) | instid1(VALU_DEP_3)
	v_div_scale_f32 v23, null, v7, v7, 1.0
	v_fmac_f32_e32 v29, v38, v29
	v_div_scale_f32 v19, null, v6, v6, 1.0
	v_rcp_f32_e32 v32, v23
	s_delay_alu instid0(TRANS32_DEP_2) | instskip(SKIP_1) | instid1(VALU_DEP_3)
	v_add_f32_e32 v8, 1.0, v2
	v_div_scale_f32 v2, null, v4, v4, 1.0
	v_rcp_f32_e32 v30, v19
	v_rcp_f32_e32 v33, v25
	s_delay_alu instid0(VALU_DEP_2) | instskip(NEXT) | instid1(VALU_DEP_2)
	v_div_scale_f32 v21, null, v8, v8, 1.0
	v_rcp_f32_e32 v26, v2
	v_div_scale_f32 v3, vcc_lo, 1.0, v4, 1.0
	s_delay_alu instid0(VALU_DEP_2) | instskip(SKIP_3) | instid1(TRANS32_DEP_3)
	v_rcp_f32_e32 v31, v21
	v_fma_f32 v41, -v23, v32, 1.0
	v_div_scale_f32 v20, s5, 1.0, v6, 1.0
	v_fma_f32 v39, -v19, v30, 1.0
	v_fma_f32 v42, -v25, v33, 1.0
	v_fmac_f32_e32 v28, v37, v28
	s_delay_alu instid0(TRANS32_DEP_2) | instskip(SKIP_1) | instid1(VALU_DEP_4)
	v_fma_f32 v35, -v2, v26, 1.0
	v_div_scale_f32 v22, s6, 1.0, v8, 1.0
	v_fmac_f32_e32 v33, v42, v33
	s_delay_alu instid0(TRANS32_DEP_1) | instskip(NEXT) | instid1(VALU_DEP_4)
	v_fma_f32 v40, -v21, v31, 1.0
	v_fmac_f32_e32 v26, v35, v26
	v_dual_fmac_f32 v30, v39, v30 :: v_dual_mul_f32 v37, v13, v28
	v_mul_f32_e32 v36, v11, v27
	s_delay_alu instid0(VALU_DEP_4) | instskip(NEXT) | instid1(VALU_DEP_4)
	v_dual_fmac_f32 v31, v40, v31 :: v_dual_fmac_f32 v32, v41, v32
	v_mul_f32_e32 v35, v3, v26
	v_div_scale_f32 v24, s7, 1.0, v7, 1.0
	v_dual_mul_f32 v38, v15, v29 :: v_dual_mul_f32 v39, v20, v30
	s_delay_alu instid0(VALU_DEP_3) | instskip(NEXT) | instid1(VALU_DEP_3)
	v_fma_f32 v43, -v2, v35, v3
	v_mul_f32_e32 v41, v24, v32
	v_fma_f32 v44, -v10, v36, v11
	v_div_scale_f32 v34, s8, 1.0, v9, 1.0
	v_fma_f32 v45, -v12, v37, v13
	v_dual_mul_f32 v40, v22, v31 :: v_dual_fmac_f32 v35, v43, v26
	v_fma_f32 v46, -v14, v38, v15
	v_fma_f32 v47, -v19, v39, v20
	v_fmac_f32_e32 v36, v44, v27
	v_dual_mul_f32 v42, v34, v33 :: v_dual_fmac_f32 v37, v45, v28
	v_fma_f32 v2, -v2, v35, v3
	v_fma_f32 v49, -v23, v41, v24
	v_dual_fmac_f32 v38, v46, v29 :: v_dual_fmac_f32 v39, v47, v30
	v_fma_f32 v3, -v10, v36, v11
	v_fma_f32 v10, -v12, v37, v13
	s_delay_alu instid0(VALU_DEP_4)
	v_fmac_f32_e32 v41, v49, v32
	v_div_fmas_f32 v2, v2, v26, v35
	s_mov_b32 vcc_lo, s2
	v_fma_f32 v11, -v14, v38, v15
	v_div_fmas_f32 v3, v3, v27, v36
	s_mov_b32 vcc_lo, s3
	v_fma_f32 v48, -v21, v40, v22
	v_div_fmas_f32 v10, v10, v28, v37
	s_mov_b32 vcc_lo, s4
	v_div_fixup_f32 v2, v2, v4, 1.0
	v_div_fmas_f32 v4, v11, v29, v38
	v_fma_f32 v12, -v19, v39, v20
	s_mov_b32 vcc_lo, s5
	v_div_fixup_f32 v5, v10, v5, 1.0
	v_fma_f32 v50, -v25, v42, v34
	v_div_fixup_f32 v4, v4, v1, 1.0
	v_fmac_f32_e32 v40, v48, v31
	v_div_fmas_f32 v11, v12, v30, v39
	s_mov_b32 vcc_lo, s6
	v_fma_f32 v14, -v23, v41, v24
	v_div_fixup_f32 v3, v3, v0, 1.0
	v_fma_f32 v13, -v21, v40, v22
	v_div_fixup_f32 v6, v11, v6, 1.0
	s_delay_alu instid0(VALU_DEP_2)
	v_div_fmas_f32 v10, v13, v31, v40
	v_cmp_class_f32_e64 vcc_lo, v2, 0x1f8
	v_cndmask_b32_e32 v0, 0, v2, vcc_lo
	s_mov_b32 vcc_lo, s7
	v_div_fmas_f32 v12, v14, v32, v41
	v_cmp_class_f32_e64 vcc_lo, v3, 0x1f8
	v_fmac_f32_e32 v42, v50, v33
	s_delay_alu instid0(VALU_DEP_3) | instskip(SKIP_1) | instid1(VALU_DEP_3)
	v_div_fixup_f32 v7, v12, v7, 1.0
	v_cndmask_b32_e32 v1, 0, v3, vcc_lo
	v_fma_f32 v15, -v25, v42, v34
	s_mov_b32 vcc_lo, s8
	s_delay_alu instid0(VALU_DEP_1)
	v_div_fmas_f32 v11, v15, v33, v42
	v_cmp_class_f32_e64 vcc_lo, v5, 0x1f8
	v_cndmask_b32_e32 v2, 0, v5, vcc_lo
	v_cmp_class_f32_e64 vcc_lo, v4, 0x1f8
	v_div_fixup_f32 v5, v10, v8, 1.0
	v_div_fixup_f32 v8, v11, v9, 1.0
	v_cndmask_b32_e32 v3, 0, v4, vcc_lo
	v_cmp_class_f32_e64 vcc_lo, v6, 0x1f8
	v_cndmask_b32_e32 v4, 0, v6, vcc_lo
	v_cmp_class_f32_e64 vcc_lo, v5, 0x1f8
	;; [unrolled: 2-line block ×4, first 2 shown]
	v_cndmask_b32_e32 v7, 0, v8, vcc_lo
	s_cbranch_scc1 .LBB369_39
; %bb.4:
	v_lshlrev_b32_e32 v12, 2, v18
	s_clause 0x1
	global_load_b128 v[8:11], v12, s[10:11]
	global_load_b128 v[12:15], v12, s[10:11] offset:16
	s_waitcnt vmcnt(1)
	v_dual_add_f32 v9, v9, v1 :: v_dual_add_f32 v8, v8, v0
	v_dual_add_f32 v11, v11, v3 :: v_dual_add_f32 v10, v10, v2
	s_waitcnt vmcnt(0)
	v_dual_add_f32 v13, v13, v5 :: v_dual_add_f32 v12, v12, v4
	v_dual_add_f32 v15, v15, v7 :: v_dual_add_f32 v14, v14, v6
	s_cbranch_execnz .LBB369_6
.LBB369_5:
	v_dual_mov_b32 v15, v7 :: v_dual_mov_b32 v14, v6
	v_dual_mov_b32 v13, v5 :: v_dual_mov_b32 v12, v4
	;; [unrolled: 1-line block ×4, first 2 shown]
.LBB369_6:
	s_load_b128 s[8:11], s[0:1], 0x30
	v_cmp_eq_u32_e64 s2, 0, v17
	s_mov_b32 s6, 0
	s_waitcnt lgkmcnt(0)
	s_bitcmp1_b32 s11, 0
	s_cselect_b32 vcc_lo, -1, 0
	s_cmp_gt_i32 s8, 0
	s_cselect_b32 s5, -1, 0
	s_cmp_lt_i32 s8, 1
	s_cbranch_scc1 .LBB369_40
; %bb.7:
	v_mbcnt_lo_u32_b32 v20, -1, 0
	s_load_b128 s[12:15], s[0:1], 0x20
	v_mul_lo_u32 v19, v16, s8
	v_mov_b32_e32 v27, v16
	s_delay_alu instid0(VALU_DEP_3)
	v_or_b32_e32 v21, 32, v20
	v_xor_b32_e32 v22, 16, v20
	v_xor_b32_e32 v23, 8, v20
	v_xor_b32_e32 v24, 4, v20
	v_xor_b32_e32 v25, 2, v20
	v_cmp_gt_i32_e64 s0, 64, v21
	v_xor_b32_e32 v26, 1, v20
	s_delay_alu instid0(VALU_DEP_2) | instskip(SKIP_1) | instid1(VALU_DEP_2)
	v_cndmask_b32_e64 v21, v20, v21, s0
	v_cmp_gt_i32_e64 s0, 64, v22
	v_lshlrev_b32_e32 v21, 2, v21
	s_delay_alu instid0(VALU_DEP_2) | instskip(SKIP_1) | instid1(VALU_DEP_2)
	v_cndmask_b32_e64 v22, v20, v22, s0
	v_cmp_gt_i32_e64 s0, 64, v23
	v_lshlrev_b32_e32 v22, 2, v22
	;; [unrolled: 4-line block ×5, first 2 shown]
	s_delay_alu instid0(VALU_DEP_2) | instskip(NEXT) | instid1(VALU_DEP_1)
	v_cndmask_b32_e64 v20, v20, v26, s0
	v_lshlrev_b32_e32 v26, 2, v20
	v_mov_b32_e32 v20, 0
	s_branch .LBB369_10
.LBB369_8:                              ;   in Loop: Header=BB369_10 Depth=1
	s_or_b32 exec_lo, exec_lo, s1
.LBB369_9:                              ;   in Loop: Header=BB369_10 Depth=1
	v_add_nc_u32_e32 v27, s18, v27
	s_cmp_eq_u32 s8, s6
	s_cbranch_scc1 .LBB369_41
.LBB369_10:                             ; =>This Inner Loop Header: Depth=1
	v_cmp_gt_f32_e64 s0, v9, v8
	s_delay_alu instid0(VALU_DEP_1) | instskip(SKIP_2) | instid1(VALU_DEP_3)
	v_cndmask_b32_e64 v29, v8, v9, s0
	v_cndmask_b32_e64 v28, 0, 1, s0
	;; [unrolled: 1-line block ×3, first 2 shown]
	v_cmp_gt_f32_e64 s1, v10, v29
	s_delay_alu instid0(VALU_DEP_1) | instskip(NEXT) | instid1(VALU_DEP_4)
	v_cndmask_b32_e64 v29, v29, v10, s1
	v_cndmask_b32_e64 v28, v28, 2, s1
	s_delay_alu instid0(VALU_DEP_4) | instskip(NEXT) | instid1(VALU_DEP_3)
	v_cndmask_b32_e64 v30, v30, v2, s1
	v_cmp_gt_f32_e64 s3, v11, v29
	s_delay_alu instid0(VALU_DEP_1) | instskip(NEXT) | instid1(VALU_DEP_4)
	v_cndmask_b32_e64 v29, v29, v11, s3
	v_cndmask_b32_e64 v28, v28, 3, s3
	s_delay_alu instid0(VALU_DEP_4) | instskip(NEXT) | instid1(VALU_DEP_3)
	v_cndmask_b32_e64 v30, v30, v3, s3
	v_cmp_gt_f32_e64 s4, v12, v29
	s_delay_alu instid0(VALU_DEP_1) | instskip(NEXT) | instid1(VALU_DEP_4)
	v_cndmask_b32_e64 v29, v29, v12, s4
	v_cndmask_b32_e64 v28, v28, 4, s4
	s_delay_alu instid0(VALU_DEP_4) | instskip(SKIP_1) | instid1(VALU_DEP_3)
	v_cndmask_b32_e64 v30, v30, v4, s4
	s_mov_b32 s4, exec_lo
	v_cmp_gt_f32_e64 s0, v13, v29
	s_delay_alu instid0(VALU_DEP_1) | instskip(SKIP_2) | instid1(VALU_DEP_3)
	v_cndmask_b32_e64 v29, v29, v13, s0
	v_cndmask_b32_e64 v28, v28, 5, s0
	;; [unrolled: 1-line block ×3, first 2 shown]
	v_cmp_gt_f32_e64 s1, v14, v29
	s_delay_alu instid0(VALU_DEP_1) | instskip(NEXT) | instid1(VALU_DEP_4)
	v_cndmask_b32_e64 v29, v29, v14, s1
	v_cndmask_b32_e64 v28, v28, 6, s1
	s_waitcnt lgkmcnt(0)
	v_cndmask_b32_e64 v31, v30, v6, s1
	s_delay_alu instid0(VALU_DEP_3) | instskip(NEXT) | instid1(VALU_DEP_1)
	v_cmp_gt_f32_e64 s0, v15, v29
	v_cndmask_b32_e64 v28, v28, 7, s0
	v_cndmask_b32_e64 v30, v29, v15, s0
	s_delay_alu instid0(VALU_DEP_4) | instskip(NEXT) | instid1(VALU_DEP_3)
	v_cndmask_b32_e64 v29, v31, v7, s0
	v_or_b32_e32 v28, v18, v28
	ds_bpermute_b32 v31, v21, v30
	ds_bpermute_b32 v33, v21, v29
	ds_bpermute_b32 v32, v21, v28
	s_waitcnt lgkmcnt(0)
	v_cmp_lt_f32_e64 s3, v30, v31
	v_cmpx_nlt_f32_e32 v30, v31
; %bb.11:                               ;   in Loop: Header=BB369_10 Depth=1
	v_cmp_eq_f32_e64 s0, v30, v31
	v_cmp_lt_i32_e64 s1, v32, v28
	s_delay_alu instid0(VALU_DEP_1) | instskip(SKIP_2) | instid1(SALU_CYCLE_1)
	s_and_b32 s0, s0, s1
	s_and_not1_b32 s1, s3, exec_lo
	s_and_b32 s0, s0, exec_lo
	s_or_b32 s3, s1, s0
; %bb.12:                               ;   in Loop: Header=BB369_10 Depth=1
	s_or_b32 exec_lo, exec_lo, s4
	s_and_saveexec_b32 s0, s3
; %bb.13:                               ;   in Loop: Header=BB369_10 Depth=1
	v_dual_mov_b32 v29, v33 :: v_dual_mov_b32 v30, v31
	v_mov_b32_e32 v28, v32
; %bb.14:                               ;   in Loop: Header=BB369_10 Depth=1
	s_or_b32 exec_lo, exec_lo, s0
	ds_bpermute_b32 v31, v22, v30
	ds_bpermute_b32 v33, v22, v29
	;; [unrolled: 1-line block ×3, first 2 shown]
	s_mov_b32 s4, exec_lo
	s_waitcnt lgkmcnt(2)
	v_cmp_lt_f32_e64 s3, v30, v31
	v_cmpx_nlt_f32_e32 v30, v31
	s_cbranch_execz .LBB369_16
; %bb.15:                               ;   in Loop: Header=BB369_10 Depth=1
	v_cmp_eq_f32_e64 s0, v30, v31
	s_waitcnt lgkmcnt(0)
	v_cmp_lt_i32_e64 s1, v32, v28
	s_delay_alu instid0(VALU_DEP_1) | instskip(SKIP_2) | instid1(SALU_CYCLE_1)
	s_and_b32 s0, s0, s1
	s_and_not1_b32 s1, s3, exec_lo
	s_and_b32 s0, s0, exec_lo
	s_or_b32 s3, s1, s0
.LBB369_16:                             ;   in Loop: Header=BB369_10 Depth=1
	s_or_b32 exec_lo, exec_lo, s4
	s_delay_alu instid0(VALU_DEP_2)
	s_and_saveexec_b32 s0, s3
	s_cbranch_execz .LBB369_18
; %bb.17:                               ;   in Loop: Header=BB369_10 Depth=1
	s_waitcnt lgkmcnt(1)
	v_dual_mov_b32 v29, v33 :: v_dual_mov_b32 v30, v31
	s_waitcnt lgkmcnt(0)
	v_mov_b32_e32 v28, v32
.LBB369_18:                             ;   in Loop: Header=BB369_10 Depth=1
	s_or_b32 exec_lo, exec_lo, s0
	ds_bpermute_b32 v31, v23, v30
	s_waitcnt lgkmcnt(2)
	ds_bpermute_b32 v33, v23, v29
	s_waitcnt lgkmcnt(2)
	ds_bpermute_b32 v32, v23, v28
	s_mov_b32 s4, exec_lo
	s_waitcnt lgkmcnt(2)
	v_cmp_lt_f32_e64 s3, v30, v31
	v_cmpx_nlt_f32_e32 v30, v31
	s_cbranch_execz .LBB369_20
; %bb.19:                               ;   in Loop: Header=BB369_10 Depth=1
	v_cmp_eq_f32_e64 s0, v30, v31
	s_waitcnt lgkmcnt(0)
	v_cmp_lt_i32_e64 s1, v32, v28
	s_delay_alu instid0(VALU_DEP_1) | instskip(SKIP_2) | instid1(SALU_CYCLE_1)
	s_and_b32 s0, s0, s1
	s_and_not1_b32 s1, s3, exec_lo
	s_and_b32 s0, s0, exec_lo
	s_or_b32 s3, s1, s0
.LBB369_20:                             ;   in Loop: Header=BB369_10 Depth=1
	s_or_b32 exec_lo, exec_lo, s4
	s_delay_alu instid0(VALU_DEP_2)
	s_and_saveexec_b32 s0, s3
	s_cbranch_execz .LBB369_22
; %bb.21:                               ;   in Loop: Header=BB369_10 Depth=1
	s_waitcnt lgkmcnt(1)
	v_dual_mov_b32 v29, v33 :: v_dual_mov_b32 v30, v31
	s_waitcnt lgkmcnt(0)
	v_mov_b32_e32 v28, v32
.LBB369_22:                             ;   in Loop: Header=BB369_10 Depth=1
	s_or_b32 exec_lo, exec_lo, s0
	ds_bpermute_b32 v31, v24, v30
	s_waitcnt lgkmcnt(2)
	ds_bpermute_b32 v33, v24, v29
	s_waitcnt lgkmcnt(2)
	ds_bpermute_b32 v32, v24, v28
	;; [unrolled: 31-line block ×3, first 2 shown]
	s_mov_b32 s4, exec_lo
	s_waitcnt lgkmcnt(2)
	v_cmp_lt_f32_e64 s3, v30, v31
	v_cmpx_nlt_f32_e32 v30, v31
	s_cbranch_execz .LBB369_28
; %bb.27:                               ;   in Loop: Header=BB369_10 Depth=1
	v_cmp_eq_f32_e64 s0, v30, v31
	s_waitcnt lgkmcnt(0)
	v_cmp_lt_i32_e64 s1, v32, v28
	s_delay_alu instid0(VALU_DEP_1) | instskip(SKIP_2) | instid1(SALU_CYCLE_1)
	s_and_b32 s0, s0, s1
	s_and_not1_b32 s1, s3, exec_lo
	s_and_b32 s0, s0, exec_lo
	s_or_b32 s3, s1, s0
.LBB369_28:                             ;   in Loop: Header=BB369_10 Depth=1
	s_or_b32 exec_lo, exec_lo, s4
	s_delay_alu instid0(VALU_DEP_2)
	s_and_saveexec_b32 s0, s3
	s_cbranch_execz .LBB369_30
; %bb.29:                               ;   in Loop: Header=BB369_10 Depth=1
	s_waitcnt lgkmcnt(1)
	v_dual_mov_b32 v29, v33 :: v_dual_mov_b32 v30, v31
	s_waitcnt lgkmcnt(0)
	v_mov_b32_e32 v28, v32
.LBB369_30:                             ;   in Loop: Header=BB369_10 Depth=1
	s_or_b32 exec_lo, exec_lo, s0
	s_waitcnt lgkmcnt(1)
	ds_bpermute_b32 v33, v26, v30
	ds_bpermute_b32 v31, v26, v29
	s_waitcnt lgkmcnt(2)
	ds_bpermute_b32 v32, v26, v28
	s_mov_b32 s4, exec_lo
	s_waitcnt lgkmcnt(2)
	v_cmp_lt_f32_e64 s3, v30, v33
	v_cmpx_nlt_f32_e32 v30, v33
	s_cbranch_execnz .LBB369_34
; %bb.31:                               ;   in Loop: Header=BB369_10 Depth=1
	s_or_b32 exec_lo, exec_lo, s4
	s_delay_alu instid0(VALU_DEP_2)
	s_and_saveexec_b32 s0, s3
	s_cbranch_execnz .LBB369_35
.LBB369_32:                             ;   in Loop: Header=BB369_10 Depth=1
	s_or_b32 exec_lo, exec_lo, s0
	s_and_saveexec_b32 s3, s2
	s_cbranch_execnz .LBB369_36
.LBB369_33:                             ;   in Loop: Header=BB369_10 Depth=1
	s_or_b32 exec_lo, exec_lo, s3
	s_add_i32 s6, s6, 1
	s_delay_alu instid0(SALU_CYCLE_1)
	s_cmp_ge_i32 s6, s8
	s_cbranch_scc1 .LBB369_9
	s_branch .LBB369_37
.LBB369_34:                             ;   in Loop: Header=BB369_10 Depth=1
	v_cmp_eq_f32_e64 s0, v30, v33
	s_waitcnt lgkmcnt(0)
	v_cmp_lt_i32_e64 s1, v32, v28
	s_delay_alu instid0(VALU_DEP_1) | instskip(SKIP_2) | instid1(SALU_CYCLE_1)
	s_and_b32 s0, s0, s1
	s_and_not1_b32 s1, s3, exec_lo
	s_and_b32 s0, s0, exec_lo
	s_or_b32 s3, s1, s0
	s_or_b32 exec_lo, exec_lo, s4
	s_and_saveexec_b32 s0, s3
	s_cbranch_execz .LBB369_32
.LBB369_35:                             ;   in Loop: Header=BB369_10 Depth=1
	s_waitcnt lgkmcnt(0)
	v_dual_mov_b32 v28, v32 :: v_dual_mov_b32 v29, v31
	s_or_b32 exec_lo, exec_lo, s0
	s_and_saveexec_b32 s3, s2
	s_cbranch_execz .LBB369_33
.LBB369_36:                             ;   in Loop: Header=BB369_10 Depth=1
	v_add_nc_u32_e32 v30, s6, v19
	v_subrev_nc_u32_e32 v34, s9, v28
	v_cmp_le_i32_e64 s0, s9, v28
	v_cmp_gt_i32_e64 s1, s10, v28
	v_add_f32_e32 v38, v20, v29
	s_waitcnt lgkmcnt(1)
	v_ashrrev_i32_e32 v31, 31, v30
	v_ashrrev_i32_e32 v35, 31, v34
	s_and_b32 s0, s0, s1
	v_cndmask_b32_e32 v20, v20, v38, vcc_lo
	s_waitcnt lgkmcnt(0)
	v_lshlrev_b64 v[32:33], 2, v[30:31]
	v_lshlrev_b64 v[30:31], 3, v[30:31]
	s_and_b32 s0, s19, s0
	s_delay_alu instid0(SALU_CYCLE_1) | instskip(SKIP_1) | instid1(VALU_DEP_4)
	v_cndmask_b32_e64 v35, 0, v35, s0
	v_cndmask_b32_e64 v34, 0x200, v34, s0
	v_add_co_u32 v36, s0, s16, v32
	s_delay_alu instid0(VALU_DEP_1) | instskip(SKIP_1) | instid1(VALU_DEP_1)
	v_add_co_ci_u32_e64 v37, s0, s17, v33, s0
	v_add_co_u32 v30, s0, s12, v30
	v_add_co_ci_u32_e64 v31, s0, s13, v31, s0
	v_add_co_u32 v32, s0, s14, v32
	s_delay_alu instid0(VALU_DEP_1)
	v_add_co_ci_u32_e64 v33, s0, s15, v33, s0
	global_store_b32 v[36:37], v29, off
	global_store_b64 v[30:31], v[34:35], off
	global_store_b32 v[32:33], v27, off
	s_or_b32 exec_lo, exec_lo, s3
	s_add_i32 s6, s6, 1
	s_delay_alu instid0(SALU_CYCLE_1)
	s_cmp_ge_i32 s6, s8
	s_cbranch_scc1 .LBB369_9
.LBB369_37:                             ;   in Loop: Header=BB369_10 Depth=1
	v_ashrrev_i32_e32 v29, 31, v28
	s_mov_b32 s1, exec_lo
	s_delay_alu instid0(VALU_DEP_1) | instskip(NEXT) | instid1(VALU_DEP_1)
	v_lshrrev_b32_e32 v30, 29, v29
	v_add_nc_u32_e32 v30, v28, v30
	s_waitcnt lgkmcnt(1)
	s_delay_alu instid0(VALU_DEP_1) | instskip(SKIP_1) | instid1(VALU_DEP_2)
	v_ashrrev_i32_e32 v31, 31, v30
	v_ashrrev_i32_e32 v30, 3, v30
	v_lshrrev_b32_e32 v31, 26, v31
	s_delay_alu instid0(VALU_DEP_1) | instskip(NEXT) | instid1(VALU_DEP_1)
	v_add_nc_u32_e32 v31, v30, v31
	v_and_b32_e32 v31, 0xffffffc0, v31
	s_delay_alu instid0(VALU_DEP_1) | instskip(NEXT) | instid1(VALU_DEP_1)
	v_sub_nc_u32_e32 v31, v30, v31
	v_cmpx_eq_u32_e64 v17, v31
	s_cbranch_execz .LBB369_8
; %bb.38:                               ;   in Loop: Header=BB369_10 Depth=1
	v_lshrrev_b32_e32 v29, 23, v29
	v_lshlrev_b32_e32 v30, 3, v30
	s_delay_alu instid0(VALU_DEP_2) | instskip(NEXT) | instid1(VALU_DEP_2)
	v_add_nc_u32_e32 v29, v28, v29
	v_sub_nc_u32_e32 v28, v28, v30
	s_delay_alu instid0(VALU_DEP_2) | instskip(NEXT) | instid1(VALU_DEP_1)
	v_ashrrev_i32_e32 v29, 9, v29
	v_lshl_add_u32 v28, v29, 3, v28
	s_delay_alu instid0(VALU_DEP_1) | instskip(NEXT) | instid1(VALU_DEP_1)
	v_cmp_ne_u32_e64 s0, 7, v28
	v_cndmask_b32_e64 v15, 0xc61c4000, v15, s0
	v_cmp_ne_u32_e64 s0, 6, v28
	s_delay_alu instid0(VALU_DEP_1) | instskip(SKIP_1) | instid1(VALU_DEP_1)
	v_cndmask_b32_e64 v14, 0xc61c4000, v14, s0
	v_cmp_ne_u32_e64 s0, 5, v28
	v_cndmask_b32_e64 v13, 0xc61c4000, v13, s0
	v_cmp_ne_u32_e64 s0, 4, v28
	s_delay_alu instid0(VALU_DEP_1) | instskip(SKIP_1) | instid1(VALU_DEP_1)
	v_cndmask_b32_e64 v12, 0xc61c4000, v12, s0
	;; [unrolled: 5-line block ×3, first 2 shown]
	v_cmp_ne_u32_e64 s0, 1, v28
	v_cndmask_b32_e64 v9, 0xc61c4000, v9, s0
	v_cmp_ne_u32_e64 s0, 0, v28
	s_delay_alu instid0(VALU_DEP_1)
	v_cndmask_b32_e64 v8, 0xc61c4000, v8, s0
	s_branch .LBB369_8
.LBB369_39:
                                        ; implicit-def: $vgpr8_vgpr9_vgpr10_vgpr11_vgpr12_vgpr13_vgpr14_vgpr15
	s_and_not1_b32 vcc_lo, exec_lo, s9
	s_cbranch_vccz .LBB369_5
	s_branch .LBB369_6
.LBB369_40:
	v_mov_b32_e32 v20, 0
.LBB369_41:
	v_cmp_eq_u32_e64 s0, 0, v17
	s_delay_alu instid0(VALU_DEP_1) | instskip(NEXT) | instid1(SALU_CYCLE_1)
	s_and_b32 s0, s0, vcc_lo
	s_and_b32 exec_lo, exec_lo, s0
	s_cbranch_execz .LBB369_45
; %bb.42:
	s_and_not1_b32 vcc_lo, exec_lo, s5
	s_cbranch_vccnz .LBB369_45
; %bb.43:
	v_mul_lo_u32 v0, v16, s8
	v_cmp_lt_f32_e32 vcc_lo, 0, v20
	v_cndmask_b32_e32 v2, 1.0, v20, vcc_lo
	s_delay_alu instid0(VALU_DEP_3) | instskip(NEXT) | instid1(VALU_DEP_1)
	v_ashrrev_i32_e32 v1, 31, v0
	v_lshlrev_b64 v[0:1], 2, v[0:1]
	s_delay_alu instid0(VALU_DEP_1) | instskip(NEXT) | instid1(VALU_DEP_2)
	v_add_co_u32 v0, vcc_lo, s16, v0
	v_add_co_ci_u32_e32 v1, vcc_lo, s17, v1, vcc_lo
	.p2align	6
.LBB369_44:                             ; =>This Inner Loop Header: Depth=1
	global_load_b32 v3, v[0:1], off
	s_add_i32 s8, s8, -1
	s_delay_alu instid0(SALU_CYCLE_1) | instskip(SKIP_3) | instid1(VALU_DEP_2)
	s_cmp_lg_u32 s8, 0
	s_waitcnt vmcnt(0)
	v_div_scale_f32 v4, null, v2, v2, v3
	v_div_scale_f32 v7, vcc_lo, v3, v2, v3
	v_rcp_f32_e32 v5, v4
	s_waitcnt_depctr 0xfff
	v_fma_f32 v6, -v4, v5, 1.0
	s_delay_alu instid0(VALU_DEP_1) | instskip(NEXT) | instid1(VALU_DEP_1)
	v_fmac_f32_e32 v5, v6, v5
	v_mul_f32_e32 v6, v7, v5
	s_delay_alu instid0(VALU_DEP_1) | instskip(NEXT) | instid1(VALU_DEP_1)
	v_fma_f32 v8, -v4, v6, v7
	v_fmac_f32_e32 v6, v8, v5
	s_delay_alu instid0(VALU_DEP_1) | instskip(NEXT) | instid1(VALU_DEP_1)
	v_fma_f32 v4, -v4, v6, v7
	v_div_fmas_f32 v4, v4, v5, v6
	s_delay_alu instid0(VALU_DEP_1)
	v_div_fixup_f32 v3, v4, v2, v3
	global_store_b32 v[0:1], v3, off
	v_add_co_u32 v0, vcc_lo, v0, 4
	v_add_co_ci_u32_e32 v1, vcc_lo, 0, v1, vcc_lo
	s_cbranch_scc1 .LBB369_44
.LBB369_45:
	s_nop 0
	s_sendmsg sendmsg(MSG_DEALLOC_VGPRS)
	s_endpgm
	.section	.rodata,"a",@progbits
	.p2align	6, 0x0
	.amdhsa_kernel _ZN4vllm3moe10topkGatingILi8ELi512ELi4ELi16ELi64El14__hip_bfloat16LNS0_11ScoringFuncE1EEEvPKT5_PKbPfiPT4_PiiiibPKf
		.amdhsa_group_segment_fixed_size 0
		.amdhsa_private_segment_fixed_size 0
		.amdhsa_kernarg_size 72
		.amdhsa_user_sgpr_count 15
		.amdhsa_user_sgpr_dispatch_ptr 0
		.amdhsa_user_sgpr_queue_ptr 0
		.amdhsa_user_sgpr_kernarg_segment_ptr 1
		.amdhsa_user_sgpr_dispatch_id 0
		.amdhsa_user_sgpr_private_segment_size 0
		.amdhsa_wavefront_size32 1
		.amdhsa_uses_dynamic_stack 0
		.amdhsa_enable_private_segment 0
		.amdhsa_system_sgpr_workgroup_id_x 1
		.amdhsa_system_sgpr_workgroup_id_y 0
		.amdhsa_system_sgpr_workgroup_id_z 0
		.amdhsa_system_sgpr_workgroup_info 0
		.amdhsa_system_vgpr_workitem_id 1
		.amdhsa_next_free_vgpr 51
		.amdhsa_next_free_sgpr 20
		.amdhsa_reserve_vcc 1
		.amdhsa_float_round_mode_32 0
		.amdhsa_float_round_mode_16_64 0
		.amdhsa_float_denorm_mode_32 3
		.amdhsa_float_denorm_mode_16_64 3
		.amdhsa_dx10_clamp 1
		.amdhsa_ieee_mode 1
		.amdhsa_fp16_overflow 0
		.amdhsa_workgroup_processor_mode 1
		.amdhsa_memory_ordered 1
		.amdhsa_forward_progress 0
		.amdhsa_shared_vgpr_count 0
		.amdhsa_exception_fp_ieee_invalid_op 0
		.amdhsa_exception_fp_denorm_src 0
		.amdhsa_exception_fp_ieee_div_zero 0
		.amdhsa_exception_fp_ieee_overflow 0
		.amdhsa_exception_fp_ieee_underflow 0
		.amdhsa_exception_fp_ieee_inexact 0
		.amdhsa_exception_int_div_zero 0
	.end_amdhsa_kernel
	.section	.text._ZN4vllm3moe10topkGatingILi8ELi512ELi4ELi16ELi64El14__hip_bfloat16LNS0_11ScoringFuncE1EEEvPKT5_PKbPfiPT4_PiiiibPKf,"axG",@progbits,_ZN4vllm3moe10topkGatingILi8ELi512ELi4ELi16ELi64El14__hip_bfloat16LNS0_11ScoringFuncE1EEEvPKT5_PKbPfiPT4_PiiiibPKf,comdat
.Lfunc_end369:
	.size	_ZN4vllm3moe10topkGatingILi8ELi512ELi4ELi16ELi64El14__hip_bfloat16LNS0_11ScoringFuncE1EEEvPKT5_PKbPfiPT4_PiiiibPKf, .Lfunc_end369-_ZN4vllm3moe10topkGatingILi8ELi512ELi4ELi16ELi64El14__hip_bfloat16LNS0_11ScoringFuncE1EEEvPKT5_PKbPfiPT4_PiiiibPKf
                                        ; -- End function
	.section	.AMDGPU.csdata,"",@progbits
; Kernel info:
; codeLenInByte = 3464
; NumSgprs: 22
; NumVgprs: 51
; ScratchSize: 0
; MemoryBound: 0
; FloatMode: 240
; IeeeMode: 1
; LDSByteSize: 0 bytes/workgroup (compile time only)
; SGPRBlocks: 2
; VGPRBlocks: 6
; NumSGPRsForWavesPerEU: 22
; NumVGPRsForWavesPerEU: 51
; Occupancy: 16
; WaveLimiterHint : 0
; COMPUTE_PGM_RSRC2:SCRATCH_EN: 0
; COMPUTE_PGM_RSRC2:USER_SGPR: 15
; COMPUTE_PGM_RSRC2:TRAP_HANDLER: 0
; COMPUTE_PGM_RSRC2:TGID_X_EN: 1
; COMPUTE_PGM_RSRC2:TGID_Y_EN: 0
; COMPUTE_PGM_RSRC2:TGID_Z_EN: 0
; COMPUTE_PGM_RSRC2:TIDIG_COMP_CNT: 1
	.section	.text._ZN4vllm3moe10topkGatingILi16ELi512ELi4ELi16ELi32El14__hip_bfloat16LNS0_11ScoringFuncE1EEEvPKT5_PKbPfiPT4_PiiiibPKf,"axG",@progbits,_ZN4vllm3moe10topkGatingILi16ELi512ELi4ELi16ELi32El14__hip_bfloat16LNS0_11ScoringFuncE1EEEvPKT5_PKbPfiPT4_PiiiibPKf,comdat
	.protected	_ZN4vllm3moe10topkGatingILi16ELi512ELi4ELi16ELi32El14__hip_bfloat16LNS0_11ScoringFuncE1EEEvPKT5_PKbPfiPT4_PiiiibPKf ; -- Begin function _ZN4vllm3moe10topkGatingILi16ELi512ELi4ELi16ELi32El14__hip_bfloat16LNS0_11ScoringFuncE1EEEvPKT5_PKbPfiPT4_PiiiibPKf
	.globl	_ZN4vllm3moe10topkGatingILi16ELi512ELi4ELi16ELi32El14__hip_bfloat16LNS0_11ScoringFuncE1EEEvPKT5_PKbPfiPT4_PiiiibPKf
	.p2align	8
	.type	_ZN4vllm3moe10topkGatingILi16ELi512ELi4ELi16ELi32El14__hip_bfloat16LNS0_11ScoringFuncE1EEEvPKT5_PKbPfiPT4_PiiiibPKf,@function
_ZN4vllm3moe10topkGatingILi16ELi512ELi4ELi16ELi32El14__hip_bfloat16LNS0_11ScoringFuncE1EEEvPKT5_PKbPfiPT4_PiiiibPKf: ; @_ZN4vllm3moe10topkGatingILi16ELi512ELi4ELi16ELi32El14__hip_bfloat16LNS0_11ScoringFuncE1EEEvPKT5_PKbPfiPT4_PiiiibPKf
; %bb.0:
	s_load_b32 s22, s[0:1], 0x18
	v_and_b32_e32 v1, 0x3ff, v0
	v_bfe_u32 v0, v0, 10, 10
	s_lshl_b32 s2, s15, 2
	s_delay_alu instid0(VALU_DEP_2) | instskip(NEXT) | instid1(VALU_DEP_1)
	v_lshrrev_b32_e32 v2, 5, v1
	v_add3_u32 v32, s2, v0, v2
	s_mov_b32 s2, exec_lo
	s_waitcnt lgkmcnt(0)
	s_delay_alu instid0(VALU_DEP_1)
	v_cmpx_gt_i32_e64 s22, v32
	s_cbranch_execz .LBB370_41
; %bb.1:
	s_clause 0x1
	s_load_b128 s[4:7], s[0:1], 0x0
	s_load_b64 s[20:21], s[0:1], 0x10
	s_mov_b32 s17, -1
	s_mov_b32 s23, -1
	s_waitcnt lgkmcnt(0)
	s_cmp_eq_u64 s[6:7], 0
	s_cbranch_scc1 .LBB370_3
; %bb.2:
	v_ashrrev_i32_e32 v0, 31, v32
	v_add_co_u32 v2, vcc_lo, s6, v32
	s_delay_alu instid0(VALU_DEP_2) | instskip(SKIP_3) | instid1(VALU_DEP_1)
	v_add_co_ci_u32_e32 v3, vcc_lo, s7, v0, vcc_lo
	global_load_u8 v0, v[2:3], off
	s_waitcnt vmcnt(0)
	v_and_b32_e32 v0, 1, v0
	v_cmp_eq_u32_e32 vcc_lo, 1, v0
	s_xor_b32 s2, vcc_lo, -1
	s_delay_alu instid0(SALU_CYCLE_1)
	s_or_not1_b32 s23, s2, exec_lo
.LBB370_3:
	v_lshlrev_b32_e32 v2, 9, v32
	v_and_b32_e32 v33, 31, v1
	s_load_b64 s[18:19], s[0:1], 0x40
	s_delay_alu instid0(VALU_DEP_2) | instskip(NEXT) | instid1(VALU_DEP_1)
	v_ashrrev_i32_e32 v3, 31, v2
	v_lshlrev_b64 v[0:1], 1, v[2:3]
	s_delay_alu instid0(VALU_DEP_3) | instskip(NEXT) | instid1(VALU_DEP_2)
	v_lshlrev_b32_e32 v2, 4, v33
	v_add_co_u32 v0, vcc_lo, s4, v0
	s_delay_alu instid0(VALU_DEP_3) | instskip(NEXT) | instid1(VALU_DEP_2)
	v_add_co_ci_u32_e32 v1, vcc_lo, s5, v1, vcc_lo
	v_add_co_u32 v4, vcc_lo, v0, v2
	s_delay_alu instid0(VALU_DEP_2)
	v_add_co_ci_u32_e32 v5, vcc_lo, 0, v1, vcc_lo
	s_waitcnt lgkmcnt(0)
	s_cmp_eq_u64 s[18:19], 0
	s_clause 0x1
	global_load_b128 v[0:3], v[4:5], off
	global_load_b128 v[4:7], v[4:5], off offset:512
	s_waitcnt vmcnt(1)
	v_lshlrev_b32_e32 v9, 16, v1
	v_and_b32_e32 v1, 0xffff0000, v1
	v_lshlrev_b32_e32 v8, 16, v0
	s_waitcnt vmcnt(0)
	v_lshlrev_b32_e32 v13, 16, v5
	v_dual_mul_f32 v9, 0xbfb8aa3b, v9 :: v_dual_lshlrev_b32 v10, 16, v2
	s_delay_alu instid0(VALU_DEP_3) | instskip(NEXT) | instid1(VALU_DEP_2)
	v_dual_mul_f32 v1, 0xbfb8aa3b, v1 :: v_dual_mul_f32 v8, 0xbfb8aa3b, v8
	v_exp_f32_e32 v9, v9
	v_and_b32_e32 v0, 0xffff0000, v0
	s_delay_alu instid0(VALU_DEP_2)
	v_exp_f32_e32 v1, v1
	v_and_b32_e32 v2, 0xffff0000, v2
	v_exp_f32_e32 v8, v8
	s_delay_alu instid0(TRANS32_DEP_3) | instid1(VALU_DEP_2)
	v_dual_add_f32 v9, 1.0, v9 :: v_dual_mul_f32 v0, 0xbfb8aa3b, v0
	s_waitcnt_depctr 0xfff
	v_dual_add_f32 v1, 1.0, v1 :: v_dual_mul_f32 v2, 0xbfb8aa3b, v2
	v_mul_f32_e32 v13, 0xbfb8aa3b, v13
	v_dual_mul_f32 v10, 0xbfb8aa3b, v10 :: v_dual_lshlrev_b32 v11, 16, v3
	v_exp_f32_e32 v0, v0
	v_and_b32_e32 v3, 0xffff0000, v3
	v_exp_f32_e32 v2, v2
	s_delay_alu instid0(VALU_DEP_2) | instskip(SKIP_3) | instid1(VALU_DEP_2)
	v_mul_f32_e32 v11, 0xbfb8aa3b, v11
	v_exp_f32_e32 v10, v10
	v_dual_add_f32 v8, 1.0, v8 :: v_dual_and_b32 v5, 0xffff0000, v5
	v_exp_f32_e32 v13, v13
	v_exp_f32_e32 v11, v11
	v_div_scale_f32 v22, null, v1, v1, 1.0
	v_add_f32_e32 v0, 1.0, v0
	v_dual_mul_f32 v3, 0xbfb8aa3b, v3 :: v_dual_lshlrev_b32 v34, 3, v33
	s_delay_alu instid0(TRANS32_DEP_3) | instskip(SKIP_2) | instid1(VALU_DEP_4)
	v_add_f32_e32 v10, 1.0, v10
	v_dual_mul_f32 v5, 0xbfb8aa3b, v5 :: v_dual_lshlrev_b32 v12, 16, v4
	v_lshlrev_b32_e32 v15, 16, v7
	v_exp_f32_e32 v3, v3
	s_delay_alu instid0(TRANS32_DEP_2) | instskip(NEXT) | instid1(VALU_DEP_3)
	v_dual_add_f32 v11, 1.0, v11 :: v_dual_and_b32 v4, 0xffff0000, v4
	v_mul_f32_e32 v12, 0xbfb8aa3b, v12
	s_delay_alu instid0(VALU_DEP_3)
	v_dual_mul_f32 v15, 0xbfb8aa3b, v15 :: v_dual_lshlrev_b32 v14, 16, v6
	v_and_b32_e32 v6, 0xffff0000, v6
	v_exp_f32_e32 v5, v5
	v_dual_add_f32 v16, 1.0, v2 :: v_dual_and_b32 v7, 0xffff0000, v7
	s_delay_alu instid0(TRANS32_DEP_2) | instid1(VALU_DEP_2)
	v_dual_add_f32 v17, 1.0, v3 :: v_dual_mul_f32 v6, 0xbfb8aa3b, v6
	s_delay_alu instid0(VALU_DEP_2) | instskip(SKIP_3) | instid1(TRANS32_DEP_3)
	v_dual_mul_f32 v4, 0xbfb8aa3b, v4 :: v_dual_mul_f32 v7, 0xbfb8aa3b, v7
	v_exp_f32_e32 v12, v12
	v_exp_f32_e32 v15, v15
	v_div_scale_f32 v2, null, v8, v8, 1.0
	v_add_f32_e32 v19, 1.0, v5
	v_exp_f32_e32 v6, v6
	v_exp_f32_e32 v4, v4
	;; [unrolled: 1-line block ×3, first 2 shown]
	v_dual_mul_f32 v14, 0xbfb8aa3b, v14 :: v_dual_add_f32 v13, 1.0, v13
	v_dual_add_f32 v12, 1.0, v12 :: v_dual_add_f32 v15, 1.0, v15
	v_rcp_f32_e32 v51, v2
	v_div_scale_f32 v24, null, v10, v10, 1.0
	v_add_f32_e32 v20, 1.0, v6
	v_div_scale_f32 v6, null, v9, v9, 1.0
	s_delay_alu instid0(TRANS32_DEP_2) | instskip(SKIP_1) | instid1(VALU_DEP_3)
	v_dual_add_f32 v18, 1.0, v4 :: v_dual_add_f32 v21, 1.0, v7
	v_div_scale_f32 v4, null, v0, v0, 1.0
	v_rcp_f32_e32 v53, v6
	v_div_scale_f32 v26, null, v16, v16, 1.0
	v_div_scale_f32 v35, null, v12, v12, 1.0
	s_delay_alu instid0(VALU_DEP_3) | instskip(SKIP_3) | instid1(TRANS32_DEP_3)
	v_rcp_f32_e32 v52, v4
	v_div_scale_f32 v49, null, v21, v21, 1.0
	v_exp_f32_e32 v14, v14
	v_div_scale_f32 v28, null, v11, v11, 1.0
	v_fma_f32 v69, -v6, v53, 1.0
	v_rcp_f32_e32 v54, v22
	v_rcp_f32_e32 v55, v24
	v_rcp_f32_e32 v56, v26
	v_rcp_f32_e32 v59, v35
	v_fmac_f32_e32 v53, v69, v53
	v_div_scale_f32 v45, null, v20, v20, 1.0
	v_rcp_f32_e32 v66, v49
	v_fma_f32 v67, -v2, v51, 1.0
	v_rcp_f32_e32 v57, v28
	s_delay_alu instid0(VALU_DEP_2) | instskip(SKIP_1) | instid1(VALU_DEP_2)
	v_rcp_f32_e32 v64, v45
	v_fma_f32 v68, -v4, v52, 1.0
	v_dual_add_f32 v14, 1.0, v14 :: v_dual_fmac_f32 v51, v67, v51
	v_div_scale_f32 v3, vcc_lo, 1.0, v8, 1.0
	v_fma_f32 v70, -v22, v54, 1.0
	v_div_scale_f32 v5, s2, 1.0, v0, 1.0
	v_fma_f32 v71, -v24, v55, 1.0
	s_delay_alu instid0(TRANS32_DEP_1) | instskip(SKIP_2) | instid1(VALU_DEP_4)
	v_fma_f32 v80, -v45, v64, 1.0
	v_fma_f32 v72, -v26, v56, 1.0
	;; [unrolled: 1-line block ×3, first 2 shown]
	v_dual_fmac_f32 v52, v68, v52 :: v_dual_fmac_f32 v55, v71, v55
	v_div_scale_f32 v7, s3, 1.0, v9, 1.0
	v_div_scale_f32 v30, null, v17, v17, 1.0
	v_fma_f32 v82, -v49, v66, 1.0
	v_dual_fmac_f32 v64, v80, v64 :: v_dual_mul_f32 v67, v3, v51
	v_div_scale_f32 v23, s4, 1.0, v1, 1.0
	v_fma_f32 v73, -v28, v57, 1.0
	v_fmac_f32_e32 v54, v70, v54
	v_div_scale_f32 v25, s5, 1.0, v10, 1.0
	v_div_scale_f32 v36, s9, 1.0, v12, 1.0
	s_delay_alu instid0(VALU_DEP_4) | instskip(SKIP_3) | instid1(VALU_DEP_2)
	v_dual_fmac_f32 v57, v73, v57 :: v_dual_fmac_f32 v56, v72, v56
	v_dual_fmac_f32 v59, v75, v59 :: v_dual_mul_f32 v68, v5, v52
	v_div_scale_f32 v39, null, v13, v13, 1.0
	v_rcp_f32_e32 v58, v30
	v_dual_mul_f32 v75, v36, v59 :: v_dual_fmac_f32 v66, v82, v66
	v_mul_f32_e32 v69, v7, v53
	v_div_scale_f32 v27, s6, 1.0, v16, 1.0
	v_div_scale_f32 v46, s14, 1.0, v20, 1.0
	v_fma_f32 v83, -v2, v67, v3
	v_div_scale_f32 v29, s7, 1.0, v11, 1.0
	v_dual_mul_f32 v70, v23, v54 :: v_dual_mul_f32 v71, v25, v55
	v_fma_f32 v84, -v4, v68, v5
	v_div_scale_f32 v50, s16, 1.0, v21, 1.0
	v_rcp_f32_e32 v61, v39
	v_fma_f32 v85, -v6, v69, v7
	v_dual_mul_f32 v72, v27, v56 :: v_dual_mul_f32 v73, v29, v57
	v_dual_mul_f32 v80, v46, v64 :: v_dual_fmac_f32 v67, v83, v51
	v_fma_f32 v86, -v22, v70, v23
	v_fma_f32 v87, -v24, v71, v25
	v_fmac_f32_e32 v68, v84, v52
	v_div_scale_f32 v37, null, v18, v18, 1.0
	v_fma_f32 v74, -v30, v58, 1.0
	s_delay_alu instid0(VALU_DEP_4)
	v_dual_fmac_f32 v71, v87, v55 :: v_dual_mul_f32 v82, v50, v66
	v_fmac_f32_e32 v69, v85, v53
	v_fma_f32 v88, -v26, v72, v27
	v_fma_f32 v2, -v2, v67, v3
	;; [unrolled: 1-line block ×3, first 2 shown]
	v_fmac_f32_e32 v70, v86, v54
	v_fma_f32 v3, -v4, v68, v5
	v_div_scale_f32 v43, null, v14, v14, 1.0
	s_delay_alu instid0(VALU_DEP_4)
	v_fmac_f32_e32 v73, v89, v57
	v_rcp_f32_e32 v60, v37
	v_div_scale_f32 v31, s8, 1.0, v17, 1.0
	v_fma_f32 v77, -v39, v61, 1.0
	v_fmac_f32_e32 v58, v74, v58
	v_fma_f32 v4, -v6, v69, v7
	v_fma_f32 v91, -v35, v75, v36
	v_fmac_f32_e32 v72, v88, v56
	v_div_fmas_f32 v2, v2, v51, v67
	s_mov_b32 vcc_lo, s2
	v_fma_f32 v5, -v22, v70, v23
	v_fmac_f32_e32 v75, v91, v59
	v_div_fmas_f32 v3, v3, v52, v68
	s_mov_b32 vcc_lo, s3
	v_rcp_f32_e32 v63, v43
	v_fma_f32 v6, -v24, v71, v25
	v_div_scale_f32 v40, s11, 1.0, v13, 1.0
	v_dual_fmac_f32 v61, v77, v61 :: v_dual_mul_f32 v74, v31, v58
	v_div_fmas_f32 v4, v4, v53, v69
	s_mov_b32 vcc_lo, s4
	v_fma_f32 v7, -v26, v72, v27
	s_delay_alu instid0(VALU_DEP_3)
	v_mul_f32_e32 v77, v40, v61
	v_div_fixup_f32 v2, v2, v8, 1.0
	v_div_fmas_f32 v5, v5, v54, v70
	s_mov_b32 vcc_lo, s5
	v_div_scale_f32 v41, null, v19, v19, 1.0
	v_fma_f32 v76, -v37, v60, 1.0
	v_div_fmas_f32 v6, v6, v55, v71
	s_mov_b32 vcc_lo, s6
	v_fma_f32 v90, -v30, v74, v31
	v_div_fmas_f32 v7, v7, v56, v72
	v_cmp_class_f32_e64 vcc_lo, v2, 0x1f8
	v_div_scale_f32 v47, null, v15, v15, 1.0
	v_rcp_f32_e32 v62, v41
	v_fma_f32 v22, -v28, v73, v29
	v_div_fixup_f32 v3, v3, v0, 1.0
	v_div_scale_f32 v38, s10, 1.0, v18, 1.0
	v_fma_f32 v79, -v43, v63, 1.0
	v_fmac_f32_e32 v60, v76, v60
	v_fma_f32 v84, -v39, v77, v40
	v_fmac_f32_e32 v74, v90, v58
	v_div_fixup_f32 v7, v7, v16, 1.0
	v_cndmask_b32_e32 v0, 0, v2, vcc_lo
	s_mov_b32 vcc_lo, s7
	v_rcp_f32_e32 v65, v47
	v_fma_f32 v87, -v45, v80, v46
	v_div_fmas_f32 v8, v22, v57, v73
	v_cmp_class_f32_e64 vcc_lo, v3, 0x1f8
	v_div_scale_f32 v44, s13, 1.0, v14, 1.0
	v_dual_fmac_f32 v63, v79, v63 :: v_dual_mul_f32 v76, v38, v60
	v_fmac_f32_e32 v77, v84, v61
	v_fma_f32 v23, -v30, v74, v31
	v_div_fixup_f32 v4, v4, v9, 1.0
	s_delay_alu instid0(VALU_DEP_4)
	v_mul_f32_e32 v79, v44, v63
	v_fma_f32 v78, -v41, v62, 1.0
	v_fmac_f32_e32 v80, v87, v64
	v_div_fixup_f32 v5, v5, v1, 1.0
	v_cndmask_b32_e32 v1, 0, v3, vcc_lo
	s_mov_b32 vcc_lo, s8
	v_fma_f32 v83, -v37, v76, v38
	v_div_fmas_f32 v9, v23, v58, v74
	v_cmp_class_f32_e64 vcc_lo, v4, 0x1f8
	v_fma_f32 v24, -v35, v75, v36
	v_div_scale_f32 v42, s12, 1.0, v19, 1.0
	v_fma_f32 v81, -v47, v65, 1.0
	v_fmac_f32_e32 v62, v78, v62
	v_fma_f32 v86, -v43, v79, v44
	v_fmac_f32_e32 v76, v83, v60
	v_div_fixup_f32 v9, v9, v17, 1.0
	v_cndmask_b32_e32 v2, 0, v4, vcc_lo
	s_mov_b32 vcc_lo, s9
	v_fma_f32 v89, -v49, v82, v50
	v_div_fixup_f32 v6, v6, v10, 1.0
	v_div_fmas_f32 v10, v24, v59, v75
	v_cmp_class_f32_e64 vcc_lo, v5, 0x1f8
	v_div_scale_f32 v48, s15, 1.0, v15, 1.0
	v_dual_fmac_f32 v65, v81, v65 :: v_dual_mul_f32 v78, v42, v62
	v_fmac_f32_e32 v79, v86, v63
	v_fma_f32 v25, -v37, v76, v38
	v_dual_fmac_f32 v82, v89, v66 :: v_dual_cndmask_b32 v3, 0, v5
	s_mov_b32 vcc_lo, s10
	v_mul_f32_e32 v81, v48, v65
	v_fma_f32 v85, -v41, v78, v42
	v_div_fixup_f32 v8, v8, v11, 1.0
	v_div_fmas_f32 v11, v25, v60, v76
	v_cmp_class_f32_e64 vcc_lo, v6, 0x1f8
	v_fma_f32 v26, -v39, v77, v40
	v_fma_f32 v88, -v47, v81, v48
	v_fmac_f32_e32 v78, v85, v62
	v_div_fixup_f32 v11, v11, v18, 1.0
	v_cndmask_b32_e32 v4, 0, v6, vcc_lo
	s_mov_b32 vcc_lo, s11
	v_fmac_f32_e32 v81, v88, v65
	v_div_fmas_f32 v16, v26, v61, v77
	v_cmp_class_f32_e64 vcc_lo, v7, 0x1f8
	v_fma_f32 v27, -v41, v78, v42
	v_div_fixup_f32 v10, v10, v12, 1.0
	v_fma_f32 v28, -v43, v79, v44
	v_fma_f32 v29, -v45, v80, v46
	v_cndmask_b32_e32 v5, 0, v7, vcc_lo
	s_mov_b32 vcc_lo, s12
	v_div_fixup_f32 v13, v16, v13, 1.0
	v_div_fmas_f32 v12, v27, v62, v78
	v_cmp_class_f32_e64 vcc_lo, v8, 0x1f8
	v_fma_f32 v30, -v47, v81, v48
	v_fma_f32 v31, -v49, v82, v50
	s_delay_alu instid0(VALU_DEP_4) | instskip(SKIP_4) | instid1(VALU_DEP_2)
	v_div_fixup_f32 v12, v12, v19, 1.0
	v_cndmask_b32_e32 v6, 0, v8, vcc_lo
	s_mov_b32 vcc_lo, s13
	v_div_fmas_f32 v17, v28, v63, v79
	v_cmp_class_f32_e64 vcc_lo, v9, 0x1f8
	v_div_fixup_f32 v14, v17, v14, 1.0
	v_cndmask_b32_e32 v7, 0, v9, vcc_lo
	s_mov_b32 vcc_lo, s14
	v_div_fmas_f32 v16, v29, v64, v80
	v_cmp_class_f32_e64 vcc_lo, v10, 0x1f8
	v_cndmask_b32_e32 v8, 0, v10, vcc_lo
	s_mov_b32 vcc_lo, s15
	v_div_fmas_f32 v18, v30, v65, v81
	v_cmp_class_f32_e64 vcc_lo, v11, 0x1f8
	s_delay_alu instid0(VALU_DEP_2)
	v_div_fixup_f32 v15, v18, v15, 1.0
	v_cndmask_b32_e32 v9, 0, v11, vcc_lo
	s_mov_b32 vcc_lo, s16
	v_div_fmas_f32 v17, v31, v66, v82
	v_cmp_class_f32_e64 vcc_lo, v13, 0x1f8
	v_cndmask_b32_e32 v10, 0, v13, vcc_lo
	v_cmp_class_f32_e64 vcc_lo, v12, 0x1f8
	v_div_fixup_f32 v13, v16, v20, 1.0
	v_div_fixup_f32 v16, v17, v21, 1.0
	v_cndmask_b32_e32 v11, 0, v12, vcc_lo
	v_cmp_class_f32_e64 vcc_lo, v14, 0x1f8
	v_cndmask_b32_e32 v12, 0, v14, vcc_lo
	v_cmp_class_f32_e64 vcc_lo, v13, 0x1f8
	;; [unrolled: 2-line block ×4, first 2 shown]
	v_cndmask_b32_e32 v15, 0, v16, vcc_lo
	s_cbranch_scc1 .LBB370_35
; %bb.4:
	v_lshlrev_b32_e32 v28, 2, v34
	s_clause 0x3
	global_load_b128 v[16:19], v28, s[18:19]
	global_load_b128 v[20:23], v28, s[18:19] offset:16
	global_load_b128 v[24:27], v28, s[18:19] offset:1024
	;; [unrolled: 1-line block ×3, first 2 shown]
	s_waitcnt vmcnt(3)
	v_dual_add_f32 v17, v17, v1 :: v_dual_add_f32 v16, v16, v0
	v_dual_add_f32 v19, v19, v3 :: v_dual_add_f32 v18, v18, v2
	s_waitcnt vmcnt(2)
	v_dual_add_f32 v21, v21, v5 :: v_dual_add_f32 v20, v20, v4
	v_dual_add_f32 v23, v23, v7 :: v_dual_add_f32 v22, v22, v6
	;; [unrolled: 3-line block ×4, first 2 shown]
	s_cbranch_execnz .LBB370_6
.LBB370_5:
	v_dual_mov_b32 v31, v15 :: v_dual_mov_b32 v30, v14
	v_dual_mov_b32 v29, v13 :: v_dual_mov_b32 v28, v12
	;; [unrolled: 1-line block ×8, first 2 shown]
.LBB370_6:
	s_load_b128 s[12:15], s[0:1], 0x30
	v_cmp_eq_u32_e64 s2, 0, v33
	s_mov_b32 s10, 0
	s_waitcnt lgkmcnt(0)
	s_bitcmp1_b32 s15, 0
	s_cselect_b32 vcc_lo, -1, 0
	s_cmp_gt_i32 s12, 0
	s_cselect_b32 s9, -1, 0
	s_cmp_lt_i32 s12, 1
	s_cbranch_scc1 .LBB370_36
; %bb.7:
	v_mbcnt_lo_u32_b32 v36, -1, 0
	s_load_b128 s[16:19], s[0:1], 0x20
	v_mul_lo_u32 v35, v32, s12
	v_mov_b32_e32 v42, v32
	s_delay_alu instid0(VALU_DEP_3)
	v_xor_b32_e32 v37, 16, v36
	v_xor_b32_e32 v38, 8, v36
	;; [unrolled: 1-line block ×5, first 2 shown]
	v_cmp_gt_i32_e64 s0, 32, v37
	s_delay_alu instid0(VALU_DEP_1) | instskip(SKIP_1) | instid1(VALU_DEP_2)
	v_cndmask_b32_e64 v37, v36, v37, s0
	v_cmp_gt_i32_e64 s0, 32, v38
	v_lshlrev_b32_e32 v37, 2, v37
	s_delay_alu instid0(VALU_DEP_2) | instskip(SKIP_1) | instid1(VALU_DEP_2)
	v_cndmask_b32_e64 v38, v36, v38, s0
	v_cmp_gt_i32_e64 s0, 32, v39
	v_lshlrev_b32_e32 v38, 2, v38
	s_delay_alu instid0(VALU_DEP_2) | instskip(SKIP_1) | instid1(VALU_DEP_2)
	;; [unrolled: 4-line block ×3, first 2 shown]
	v_cndmask_b32_e64 v40, v36, v40, s0
	v_cmp_gt_i32_e64 s0, 32, v41
	v_lshlrev_b32_e32 v40, 2, v40
	s_delay_alu instid0(VALU_DEP_2) | instskip(NEXT) | instid1(VALU_DEP_1)
	v_cndmask_b32_e64 v36, v36, v41, s0
	v_dual_mov_b32 v36, 0 :: v_dual_lshlrev_b32 v41, 2, v36
	s_branch .LBB370_10
.LBB370_8:                              ;   in Loop: Header=BB370_10 Depth=1
	s_or_b32 exec_lo, exec_lo, s1
.LBB370_9:                              ;   in Loop: Header=BB370_10 Depth=1
	v_add_nc_u32_e32 v42, s22, v42
	s_cmp_eq_u32 s12, s10
	s_cbranch_scc1 .LBB370_37
.LBB370_10:                             ; =>This Inner Loop Header: Depth=1
	v_cmp_gt_f32_e64 s0, v17, v16
	s_delay_alu instid0(VALU_DEP_1) | instskip(SKIP_2) | instid1(VALU_DEP_3)
	v_cndmask_b32_e64 v44, v16, v17, s0
	v_cndmask_b32_e64 v43, 0, 1, s0
	;; [unrolled: 1-line block ×3, first 2 shown]
	v_cmp_gt_f32_e64 s1, v18, v44
	s_delay_alu instid0(VALU_DEP_1) | instskip(NEXT) | instid1(VALU_DEP_4)
	v_cndmask_b32_e64 v44, v44, v18, s1
	v_cndmask_b32_e64 v43, v43, 2, s1
	s_delay_alu instid0(VALU_DEP_4) | instskip(NEXT) | instid1(VALU_DEP_3)
	v_cndmask_b32_e64 v45, v45, v2, s1
	v_cmp_gt_f32_e64 s3, v19, v44
	s_delay_alu instid0(VALU_DEP_1) | instskip(NEXT) | instid1(VALU_DEP_4)
	v_cndmask_b32_e64 v44, v44, v19, s3
	v_cndmask_b32_e64 v43, v43, 3, s3
	s_delay_alu instid0(VALU_DEP_4) | instskip(NEXT) | instid1(VALU_DEP_3)
	v_cndmask_b32_e64 v45, v45, v3, s3
	;; [unrolled: 6-line block ×10, first 2 shown]
	v_cmp_gt_f32_e64 s4, v28, v44
	s_delay_alu instid0(VALU_DEP_1) | instskip(NEXT) | instid1(VALU_DEP_4)
	v_cndmask_b32_e64 v44, v44, v28, s4
	v_cndmask_b32_e64 v43, v43, 0x104, s4
	s_delay_alu instid0(VALU_DEP_4) | instskip(SKIP_1) | instid1(VALU_DEP_3)
	v_cndmask_b32_e64 v45, v45, v12, s4
	s_mov_b32 s4, exec_lo
	v_cmp_gt_f32_e64 s0, v29, v44
	s_delay_alu instid0(VALU_DEP_1) | instskip(SKIP_2) | instid1(VALU_DEP_3)
	v_cndmask_b32_e64 v44, v44, v29, s0
	v_cndmask_b32_e64 v43, v43, 0x105, s0
	;; [unrolled: 1-line block ×3, first 2 shown]
	v_cmp_gt_f32_e64 s1, v30, v44
	s_delay_alu instid0(VALU_DEP_1) | instskip(NEXT) | instid1(VALU_DEP_4)
	v_cndmask_b32_e64 v44, v44, v30, s1
	v_cndmask_b32_e64 v43, v43, 0x106, s1
	s_waitcnt lgkmcnt(0)
	v_cndmask_b32_e64 v46, v45, v14, s1
	s_delay_alu instid0(VALU_DEP_3) | instskip(NEXT) | instid1(VALU_DEP_1)
	v_cmp_gt_f32_e64 s0, v31, v44
	v_cndmask_b32_e64 v43, v43, 0x107, s0
	v_cndmask_b32_e64 v45, v44, v31, s0
	s_delay_alu instid0(VALU_DEP_4) | instskip(NEXT) | instid1(VALU_DEP_3)
	v_cndmask_b32_e64 v44, v46, v15, s0
	v_or_b32_e32 v43, v34, v43
	ds_bpermute_b32 v46, v37, v45
	ds_bpermute_b32 v48, v37, v44
	;; [unrolled: 1-line block ×3, first 2 shown]
	s_waitcnt lgkmcnt(0)
	v_cmp_lt_f32_e64 s3, v45, v46
	v_cmpx_nlt_f32_e32 v45, v46
; %bb.11:                               ;   in Loop: Header=BB370_10 Depth=1
	v_cmp_eq_f32_e64 s0, v45, v46
	v_cmp_lt_i32_e64 s1, v47, v43
	s_delay_alu instid0(VALU_DEP_1) | instskip(SKIP_2) | instid1(SALU_CYCLE_1)
	s_and_b32 s0, s0, s1
	s_and_not1_b32 s1, s3, exec_lo
	s_and_b32 s0, s0, exec_lo
	s_or_b32 s3, s1, s0
; %bb.12:                               ;   in Loop: Header=BB370_10 Depth=1
	s_or_b32 exec_lo, exec_lo, s4
	s_and_saveexec_b32 s0, s3
; %bb.13:                               ;   in Loop: Header=BB370_10 Depth=1
	v_dual_mov_b32 v44, v48 :: v_dual_mov_b32 v45, v46
	v_mov_b32_e32 v43, v47
; %bb.14:                               ;   in Loop: Header=BB370_10 Depth=1
	s_or_b32 exec_lo, exec_lo, s0
	ds_bpermute_b32 v46, v38, v45
	ds_bpermute_b32 v48, v38, v44
	;; [unrolled: 1-line block ×3, first 2 shown]
	s_mov_b32 s4, exec_lo
	s_waitcnt lgkmcnt(2)
	v_cmp_lt_f32_e64 s3, v45, v46
	v_cmpx_nlt_f32_e32 v45, v46
	s_cbranch_execz .LBB370_16
; %bb.15:                               ;   in Loop: Header=BB370_10 Depth=1
	v_cmp_eq_f32_e64 s0, v45, v46
	s_waitcnt lgkmcnt(0)
	v_cmp_lt_i32_e64 s1, v47, v43
	s_delay_alu instid0(VALU_DEP_1) | instskip(SKIP_2) | instid1(SALU_CYCLE_1)
	s_and_b32 s0, s0, s1
	s_and_not1_b32 s1, s3, exec_lo
	s_and_b32 s0, s0, exec_lo
	s_or_b32 s3, s1, s0
.LBB370_16:                             ;   in Loop: Header=BB370_10 Depth=1
	s_or_b32 exec_lo, exec_lo, s4
	s_delay_alu instid0(VALU_DEP_2)
	s_and_saveexec_b32 s0, s3
	s_cbranch_execz .LBB370_18
; %bb.17:                               ;   in Loop: Header=BB370_10 Depth=1
	s_waitcnt lgkmcnt(1)
	v_dual_mov_b32 v44, v48 :: v_dual_mov_b32 v45, v46
	s_waitcnt lgkmcnt(0)
	v_mov_b32_e32 v43, v47
.LBB370_18:                             ;   in Loop: Header=BB370_10 Depth=1
	s_or_b32 exec_lo, exec_lo, s0
	ds_bpermute_b32 v46, v39, v45
	s_waitcnt lgkmcnt(2)
	ds_bpermute_b32 v48, v39, v44
	s_waitcnt lgkmcnt(2)
	ds_bpermute_b32 v47, v39, v43
	s_mov_b32 s4, exec_lo
	s_waitcnt lgkmcnt(2)
	v_cmp_lt_f32_e64 s3, v45, v46
	v_cmpx_nlt_f32_e32 v45, v46
	s_cbranch_execz .LBB370_20
; %bb.19:                               ;   in Loop: Header=BB370_10 Depth=1
	v_cmp_eq_f32_e64 s0, v45, v46
	s_waitcnt lgkmcnt(0)
	v_cmp_lt_i32_e64 s1, v47, v43
	s_delay_alu instid0(VALU_DEP_1) | instskip(SKIP_2) | instid1(SALU_CYCLE_1)
	s_and_b32 s0, s0, s1
	s_and_not1_b32 s1, s3, exec_lo
	s_and_b32 s0, s0, exec_lo
	s_or_b32 s3, s1, s0
.LBB370_20:                             ;   in Loop: Header=BB370_10 Depth=1
	s_or_b32 exec_lo, exec_lo, s4
	s_delay_alu instid0(VALU_DEP_2)
	s_and_saveexec_b32 s0, s3
	s_cbranch_execz .LBB370_22
; %bb.21:                               ;   in Loop: Header=BB370_10 Depth=1
	s_waitcnt lgkmcnt(1)
	v_dual_mov_b32 v44, v48 :: v_dual_mov_b32 v45, v46
	s_waitcnt lgkmcnt(0)
	v_mov_b32_e32 v43, v47
.LBB370_22:                             ;   in Loop: Header=BB370_10 Depth=1
	s_or_b32 exec_lo, exec_lo, s0
	ds_bpermute_b32 v46, v40, v45
	s_waitcnt lgkmcnt(2)
	ds_bpermute_b32 v48, v40, v44
	s_waitcnt lgkmcnt(2)
	ds_bpermute_b32 v47, v40, v43
	s_mov_b32 s4, exec_lo
	s_waitcnt lgkmcnt(2)
	v_cmp_lt_f32_e64 s3, v45, v46
	v_cmpx_nlt_f32_e32 v45, v46
	s_cbranch_execz .LBB370_24
; %bb.23:                               ;   in Loop: Header=BB370_10 Depth=1
	v_cmp_eq_f32_e64 s0, v45, v46
	s_waitcnt lgkmcnt(0)
	v_cmp_lt_i32_e64 s1, v47, v43
	s_delay_alu instid0(VALU_DEP_1) | instskip(SKIP_2) | instid1(SALU_CYCLE_1)
	s_and_b32 s0, s0, s1
	s_and_not1_b32 s1, s3, exec_lo
	s_and_b32 s0, s0, exec_lo
	s_or_b32 s3, s1, s0
.LBB370_24:                             ;   in Loop: Header=BB370_10 Depth=1
	s_or_b32 exec_lo, exec_lo, s4
	s_delay_alu instid0(VALU_DEP_2)
	s_and_saveexec_b32 s0, s3
	s_cbranch_execz .LBB370_26
; %bb.25:                               ;   in Loop: Header=BB370_10 Depth=1
	s_waitcnt lgkmcnt(1)
	v_dual_mov_b32 v44, v48 :: v_dual_mov_b32 v45, v46
	s_waitcnt lgkmcnt(0)
	v_mov_b32_e32 v43, v47
.LBB370_26:                             ;   in Loop: Header=BB370_10 Depth=1
	s_or_b32 exec_lo, exec_lo, s0
	s_waitcnt lgkmcnt(1)
	ds_bpermute_b32 v48, v41, v45
	ds_bpermute_b32 v46, v41, v44
	s_waitcnt lgkmcnt(2)
	ds_bpermute_b32 v47, v41, v43
	s_mov_b32 s4, exec_lo
	s_waitcnt lgkmcnt(2)
	v_cmp_lt_f32_e64 s3, v45, v48
	v_cmpx_nlt_f32_e32 v45, v48
	s_cbranch_execnz .LBB370_30
; %bb.27:                               ;   in Loop: Header=BB370_10 Depth=1
	s_or_b32 exec_lo, exec_lo, s4
	s_delay_alu instid0(VALU_DEP_2)
	s_and_saveexec_b32 s0, s3
	s_cbranch_execnz .LBB370_31
.LBB370_28:                             ;   in Loop: Header=BB370_10 Depth=1
	s_or_b32 exec_lo, exec_lo, s0
	s_and_saveexec_b32 s3, s2
	s_cbranch_execnz .LBB370_32
.LBB370_29:                             ;   in Loop: Header=BB370_10 Depth=1
	s_or_b32 exec_lo, exec_lo, s3
	s_add_i32 s10, s10, 1
	s_delay_alu instid0(SALU_CYCLE_1)
	s_cmp_ge_i32 s10, s12
	s_cbranch_scc1 .LBB370_9
	s_branch .LBB370_33
.LBB370_30:                             ;   in Loop: Header=BB370_10 Depth=1
	v_cmp_eq_f32_e64 s0, v45, v48
	s_waitcnt lgkmcnt(0)
	v_cmp_lt_i32_e64 s1, v47, v43
	s_delay_alu instid0(VALU_DEP_1) | instskip(SKIP_2) | instid1(SALU_CYCLE_1)
	s_and_b32 s0, s0, s1
	s_and_not1_b32 s1, s3, exec_lo
	s_and_b32 s0, s0, exec_lo
	s_or_b32 s3, s1, s0
	s_or_b32 exec_lo, exec_lo, s4
	s_and_saveexec_b32 s0, s3
	s_cbranch_execz .LBB370_28
.LBB370_31:                             ;   in Loop: Header=BB370_10 Depth=1
	s_waitcnt lgkmcnt(0)
	v_dual_mov_b32 v43, v47 :: v_dual_mov_b32 v44, v46
	s_or_b32 exec_lo, exec_lo, s0
	s_and_saveexec_b32 s3, s2
	s_cbranch_execz .LBB370_29
.LBB370_32:                             ;   in Loop: Header=BB370_10 Depth=1
	s_delay_alu instid0(VALU_DEP_1)
	v_add_f32_e32 v53, v36, v44
	v_add_nc_u32_e32 v45, s10, v35
	v_subrev_nc_u32_e32 v49, s13, v43
	v_cmp_le_i32_e64 s0, s13, v43
	v_cmp_gt_i32_e64 s1, s14, v43
	v_cndmask_b32_e32 v36, v36, v53, vcc_lo
	s_waitcnt lgkmcnt(1)
	v_ashrrev_i32_e32 v46, 31, v45
	v_ashrrev_i32_e32 v50, 31, v49
	s_and_b32 s0, s0, s1
	s_waitcnt lgkmcnt(0)
	s_delay_alu instid0(VALU_DEP_2) | instskip(SKIP_2) | instid1(SALU_CYCLE_1)
	v_lshlrev_b64 v[47:48], 2, v[45:46]
	v_lshlrev_b64 v[45:46], 3, v[45:46]
	s_and_b32 s0, s23, s0
	v_cndmask_b32_e64 v50, 0, v50, s0
	v_cndmask_b32_e64 v49, 0x200, v49, s0
	s_delay_alu instid0(VALU_DEP_4) | instskip(NEXT) | instid1(VALU_DEP_1)
	v_add_co_u32 v51, s0, s20, v47
	v_add_co_ci_u32_e64 v52, s0, s21, v48, s0
	v_add_co_u32 v45, s0, s16, v45
	s_delay_alu instid0(VALU_DEP_1) | instskip(SKIP_1) | instid1(VALU_DEP_1)
	v_add_co_ci_u32_e64 v46, s0, s17, v46, s0
	v_add_co_u32 v47, s0, s18, v47
	v_add_co_ci_u32_e64 v48, s0, s19, v48, s0
	global_store_b32 v[51:52], v44, off
	global_store_b64 v[45:46], v[49:50], off
	global_store_b32 v[47:48], v42, off
	s_or_b32 exec_lo, exec_lo, s3
	s_add_i32 s10, s10, 1
	s_delay_alu instid0(SALU_CYCLE_1)
	s_cmp_ge_i32 s10, s12
	s_cbranch_scc1 .LBB370_9
.LBB370_33:                             ;   in Loop: Header=BB370_10 Depth=1
	v_ashrrev_i32_e32 v44, 31, v43
	s_mov_b32 s1, exec_lo
	s_delay_alu instid0(VALU_DEP_1) | instskip(NEXT) | instid1(VALU_DEP_1)
	v_lshrrev_b32_e32 v45, 29, v44
	v_add_nc_u32_e32 v45, v43, v45
	s_waitcnt lgkmcnt(1)
	s_delay_alu instid0(VALU_DEP_1) | instskip(SKIP_1) | instid1(VALU_DEP_2)
	v_ashrrev_i32_e32 v46, 31, v45
	v_ashrrev_i32_e32 v45, 3, v45
	v_lshrrev_b32_e32 v46, 27, v46
	s_delay_alu instid0(VALU_DEP_1) | instskip(NEXT) | instid1(VALU_DEP_1)
	v_add_nc_u32_e32 v46, v45, v46
	v_and_b32_e32 v46, 0xffffffe0, v46
	s_delay_alu instid0(VALU_DEP_1) | instskip(NEXT) | instid1(VALU_DEP_1)
	v_sub_nc_u32_e32 v46, v45, v46
	v_cmpx_eq_u32_e64 v33, v46
	s_cbranch_execz .LBB370_8
; %bb.34:                               ;   in Loop: Header=BB370_10 Depth=1
	v_lshrrev_b32_e32 v44, 24, v44
	v_lshlrev_b32_e32 v45, 3, v45
	s_delay_alu instid0(VALU_DEP_2) | instskip(NEXT) | instid1(VALU_DEP_2)
	v_add_nc_u32_e32 v44, v43, v44
	v_sub_nc_u32_e32 v43, v43, v45
	s_delay_alu instid0(VALU_DEP_2) | instskip(NEXT) | instid1(VALU_DEP_1)
	v_ashrrev_i32_e32 v44, 8, v44
	v_lshl_add_u32 v43, v44, 3, v43
	s_delay_alu instid0(VALU_DEP_1) | instskip(NEXT) | instid1(VALU_DEP_1)
	v_cmp_ne_u32_e64 s0, 15, v43
	v_cndmask_b32_e64 v31, 0xc61c4000, v31, s0
	v_cmp_ne_u32_e64 s0, 14, v43
	s_delay_alu instid0(VALU_DEP_1) | instskip(SKIP_1) | instid1(VALU_DEP_1)
	v_cndmask_b32_e64 v30, 0xc61c4000, v30, s0
	v_cmp_ne_u32_e64 s0, 13, v43
	v_cndmask_b32_e64 v29, 0xc61c4000, v29, s0
	v_cmp_ne_u32_e64 s0, 12, v43
	s_delay_alu instid0(VALU_DEP_1) | instskip(SKIP_1) | instid1(VALU_DEP_1)
	v_cndmask_b32_e64 v28, 0xc61c4000, v28, s0
	;; [unrolled: 5-line block ×7, first 2 shown]
	v_cmp_ne_u32_e64 s0, 1, v43
	v_cndmask_b32_e64 v17, 0xc61c4000, v17, s0
	v_cmp_ne_u32_e64 s0, 0, v43
	s_delay_alu instid0(VALU_DEP_1)
	v_cndmask_b32_e64 v16, 0xc61c4000, v16, s0
	s_branch .LBB370_8
.LBB370_35:
                                        ; implicit-def: $vgpr16_vgpr17_vgpr18_vgpr19_vgpr20_vgpr21_vgpr22_vgpr23_vgpr24_vgpr25_vgpr26_vgpr27_vgpr28_vgpr29_vgpr30_vgpr31
	s_and_not1_b32 vcc_lo, exec_lo, s17
	s_cbranch_vccz .LBB370_5
	s_branch .LBB370_6
.LBB370_36:
	v_mov_b32_e32 v36, 0
.LBB370_37:
	v_cmp_eq_u32_e64 s0, 0, v33
	s_delay_alu instid0(VALU_DEP_1) | instskip(NEXT) | instid1(SALU_CYCLE_1)
	s_and_b32 s0, s0, vcc_lo
	s_and_b32 exec_lo, exec_lo, s0
	s_cbranch_execz .LBB370_41
; %bb.38:
	s_and_not1_b32 vcc_lo, exec_lo, s9
	s_cbranch_vccnz .LBB370_41
; %bb.39:
	v_mul_lo_u32 v0, v32, s12
	v_cmp_lt_f32_e32 vcc_lo, 0, v36
	v_cndmask_b32_e32 v2, 1.0, v36, vcc_lo
	s_delay_alu instid0(VALU_DEP_3) | instskip(NEXT) | instid1(VALU_DEP_1)
	v_ashrrev_i32_e32 v1, 31, v0
	v_lshlrev_b64 v[0:1], 2, v[0:1]
	s_delay_alu instid0(VALU_DEP_1) | instskip(NEXT) | instid1(VALU_DEP_2)
	v_add_co_u32 v0, vcc_lo, s20, v0
	v_add_co_ci_u32_e32 v1, vcc_lo, s21, v1, vcc_lo
	.p2align	6
.LBB370_40:                             ; =>This Inner Loop Header: Depth=1
	global_load_b32 v3, v[0:1], off
	s_add_i32 s12, s12, -1
	s_delay_alu instid0(SALU_CYCLE_1) | instskip(SKIP_3) | instid1(VALU_DEP_2)
	s_cmp_lg_u32 s12, 0
	s_waitcnt vmcnt(0)
	v_div_scale_f32 v4, null, v2, v2, v3
	v_div_scale_f32 v7, vcc_lo, v3, v2, v3
	v_rcp_f32_e32 v5, v4
	s_waitcnt_depctr 0xfff
	v_fma_f32 v6, -v4, v5, 1.0
	s_delay_alu instid0(VALU_DEP_1) | instskip(NEXT) | instid1(VALU_DEP_1)
	v_fmac_f32_e32 v5, v6, v5
	v_mul_f32_e32 v6, v7, v5
	s_delay_alu instid0(VALU_DEP_1) | instskip(NEXT) | instid1(VALU_DEP_1)
	v_fma_f32 v8, -v4, v6, v7
	v_fmac_f32_e32 v6, v8, v5
	s_delay_alu instid0(VALU_DEP_1) | instskip(NEXT) | instid1(VALU_DEP_1)
	v_fma_f32 v4, -v4, v6, v7
	v_div_fmas_f32 v4, v4, v5, v6
	s_delay_alu instid0(VALU_DEP_1)
	v_div_fixup_f32 v3, v4, v2, v3
	global_store_b32 v[0:1], v3, off
	v_add_co_u32 v0, vcc_lo, v0, 4
	v_add_co_ci_u32_e32 v1, vcc_lo, 0, v1, vcc_lo
	s_cbranch_scc1 .LBB370_40
.LBB370_41:
	s_nop 0
	s_sendmsg sendmsg(MSG_DEALLOC_VGPRS)
	s_endpgm
	.section	.rodata,"a",@progbits
	.p2align	6, 0x0
	.amdhsa_kernel _ZN4vllm3moe10topkGatingILi16ELi512ELi4ELi16ELi32El14__hip_bfloat16LNS0_11ScoringFuncE1EEEvPKT5_PKbPfiPT4_PiiiibPKf
		.amdhsa_group_segment_fixed_size 0
		.amdhsa_private_segment_fixed_size 0
		.amdhsa_kernarg_size 72
		.amdhsa_user_sgpr_count 15
		.amdhsa_user_sgpr_dispatch_ptr 0
		.amdhsa_user_sgpr_queue_ptr 0
		.amdhsa_user_sgpr_kernarg_segment_ptr 1
		.amdhsa_user_sgpr_dispatch_id 0
		.amdhsa_user_sgpr_private_segment_size 0
		.amdhsa_wavefront_size32 1
		.amdhsa_uses_dynamic_stack 0
		.amdhsa_enable_private_segment 0
		.amdhsa_system_sgpr_workgroup_id_x 1
		.amdhsa_system_sgpr_workgroup_id_y 0
		.amdhsa_system_sgpr_workgroup_id_z 0
		.amdhsa_system_sgpr_workgroup_info 0
		.amdhsa_system_vgpr_workitem_id 1
		.amdhsa_next_free_vgpr 92
		.amdhsa_next_free_sgpr 24
		.amdhsa_reserve_vcc 1
		.amdhsa_float_round_mode_32 0
		.amdhsa_float_round_mode_16_64 0
		.amdhsa_float_denorm_mode_32 3
		.amdhsa_float_denorm_mode_16_64 3
		.amdhsa_dx10_clamp 1
		.amdhsa_ieee_mode 1
		.amdhsa_fp16_overflow 0
		.amdhsa_workgroup_processor_mode 1
		.amdhsa_memory_ordered 1
		.amdhsa_forward_progress 0
		.amdhsa_shared_vgpr_count 0
		.amdhsa_exception_fp_ieee_invalid_op 0
		.amdhsa_exception_fp_denorm_src 0
		.amdhsa_exception_fp_ieee_div_zero 0
		.amdhsa_exception_fp_ieee_overflow 0
		.amdhsa_exception_fp_ieee_underflow 0
		.amdhsa_exception_fp_ieee_inexact 0
		.amdhsa_exception_int_div_zero 0
	.end_amdhsa_kernel
	.section	.text._ZN4vllm3moe10topkGatingILi16ELi512ELi4ELi16ELi32El14__hip_bfloat16LNS0_11ScoringFuncE1EEEvPKT5_PKbPfiPT4_PiiiibPKf,"axG",@progbits,_ZN4vllm3moe10topkGatingILi16ELi512ELi4ELi16ELi32El14__hip_bfloat16LNS0_11ScoringFuncE1EEEvPKT5_PKbPfiPT4_PiiiibPKf,comdat
.Lfunc_end370:
	.size	_ZN4vllm3moe10topkGatingILi16ELi512ELi4ELi16ELi32El14__hip_bfloat16LNS0_11ScoringFuncE1EEEvPKT5_PKbPfiPT4_PiiiibPKf, .Lfunc_end370-_ZN4vllm3moe10topkGatingILi16ELi512ELi4ELi16ELi32El14__hip_bfloat16LNS0_11ScoringFuncE1EEEvPKT5_PKbPfiPT4_PiiiibPKf
                                        ; -- End function
	.section	.AMDGPU.csdata,"",@progbits
; Kernel info:
; codeLenInByte = 4840
; NumSgprs: 26
; NumVgprs: 92
; ScratchSize: 0
; MemoryBound: 0
; FloatMode: 240
; IeeeMode: 1
; LDSByteSize: 0 bytes/workgroup (compile time only)
; SGPRBlocks: 3
; VGPRBlocks: 11
; NumSGPRsForWavesPerEU: 26
; NumVGPRsForWavesPerEU: 92
; Occupancy: 16
; WaveLimiterHint : 1
; COMPUTE_PGM_RSRC2:SCRATCH_EN: 0
; COMPUTE_PGM_RSRC2:USER_SGPR: 15
; COMPUTE_PGM_RSRC2:TRAP_HANDLER: 0
; COMPUTE_PGM_RSRC2:TGID_X_EN: 1
; COMPUTE_PGM_RSRC2:TGID_Y_EN: 0
; COMPUTE_PGM_RSRC2:TGID_Z_EN: 0
; COMPUTE_PGM_RSRC2:TIDIG_COMP_CNT: 1
	.text
	.p2alignl 7, 3214868480
	.fill 96, 4, 3214868480
	.type	__const.__assert_fail.fmt,@object ; @__const.__assert_fail.fmt
	.section	.rodata.str1.16,"aMS",@progbits,1
	.p2align	4, 0x0
__const.__assert_fail.fmt:
	.asciz	"%s:%u: %s: Device-side assertion `%s' failed.\n"
	.size	__const.__assert_fail.fmt, 47

	.type	.str.1,@object                  ; @.str.1
	.section	.rodata.str1.1,"aMS",@progbits,1
.str.1:
	.asciz	"indices[idx] >= 0"
	.size	.str.1, 18

	.type	.str.2,@object                  ; @.str.2
.str.2:
	.asciz	"/root/src/amdgpu-assembly/repos/vllm-project__vllm/csrc/libtorch_stable/moe/topk_softmax_kernels.hip"
	.size	.str.2, 101

	.type	__PRETTY_FUNCTION__._ZN4vllm3moe7moeTopKILi256EiEEvPKfPKbPfPT0_PiiiiibS3_,@object ; @__PRETTY_FUNCTION__._ZN4vllm3moe7moeTopKILi256EiEEvPKfPKbPfPT0_PiiiiibS3_
__PRETTY_FUNCTION__._ZN4vllm3moe7moeTopKILi256EiEEvPKfPKbPfPT0_PiiiiibS3_:
	.asciz	"void vllm::moe::moeTopK(const float *, const bool *, float *, IndType *, int *, const int, const int, const int, const int, const bool, const float *) [TPB = 256, IndType = int]"
	.size	__PRETTY_FUNCTION__._ZN4vllm3moe7moeTopKILi256EiEEvPKfPKbPfPT0_PiiiiibS3_, 178

	.type	__PRETTY_FUNCTION__._ZN4vllm3moe7moeTopKILi256ElEEvPKfPKbPfPT0_PiiiiibS3_,@object ; @__PRETTY_FUNCTION__._ZN4vllm3moe7moeTopKILi256ElEEvPKfPKbPfPT0_PiiiiibS3_
__PRETTY_FUNCTION__._ZN4vllm3moe7moeTopKILi256ElEEvPKfPKbPfPT0_PiiiiibS3_:
	.asciz	"void vllm::moe::moeTopK(const float *, const bool *, float *, IndType *, int *, const int, const int, const int, const int, const bool, const float *) [TPB = 256, IndType = long]"
	.size	__PRETTY_FUNCTION__._ZN4vllm3moe7moeTopKILi256ElEEvPKfPKbPfPT0_PiiiiibS3_, 179

	.type	__hip_cuid_c1ee2f7274c5208,@object ; @__hip_cuid_c1ee2f7274c5208
	.section	.bss,"aw",@nobits
	.globl	__hip_cuid_c1ee2f7274c5208
__hip_cuid_c1ee2f7274c5208:
	.byte	0                               ; 0x0
	.size	__hip_cuid_c1ee2f7274c5208, 1

	.ident	"AMD clang version 19.0.0git (https://github.com/RadeonOpenCompute/llvm-project roc-6.4.0 25133 c7fe45cf4b819c5991fe208aaa96edf142730f1d)"
	.section	".note.GNU-stack","",@progbits
	.addrsig
	.addrsig_sym __hip_cuid_c1ee2f7274c5208
	.amdgpu_metadata
---
amdhsa.kernels:
  - .args:
      - .address_space:  global
        .offset:         0
        .size:           8
        .value_kind:     global_buffer
      - .address_space:  global
        .offset:         8
        .size:           8
        .value_kind:     global_buffer
      - .address_space:  global
        .offset:         16
        .size:           8
        .value_kind:     global_buffer
      - .offset:         24
        .size:           4
        .value_kind:     by_value
      - .address_space:  global
        .offset:         32
        .size:           8
        .value_kind:     global_buffer
      - .address_space:  global
        .offset:         40
        .size:           8
        .value_kind:     global_buffer
      - .offset:         48
        .size:           4
        .value_kind:     by_value
      - .offset:         52
        .size:           4
        .value_kind:     by_value
      - .offset:         56
        .size:           4
        .value_kind:     by_value
      - .offset:         60
        .size:           1
        .value_kind:     by_value
      - .address_space:  global
        .offset:         64
        .size:           8
        .value_kind:     global_buffer
    .group_segment_fixed_size: 0
    .kernarg_segment_align: 8
    .kernarg_segment_size: 72
    .language:       OpenCL C
    .language_version:
      - 2
      - 0
    .max_flat_workgroup_size: 256
    .name:           _ZN4vllm3moe10topkGatingILi1ELi1ELi4ELi4ELi64EifLNS0_11ScoringFuncE0EEEvPKT5_PKbPfiPT4_PiiiibPKf
    .private_segment_fixed_size: 0
    .sgpr_count:     22
    .sgpr_spill_count: 0
    .symbol:         _ZN4vllm3moe10topkGatingILi1ELi1ELi4ELi4ELi64EifLNS0_11ScoringFuncE0EEEvPKT5_PKbPfiPT4_PiiiibPKf.kd
    .uniform_work_group_size: 1
    .uses_dynamic_stack: false
    .vgpr_count:     12
    .vgpr_spill_count: 0
    .wavefront_size: 32
    .workgroup_processor_mode: 1
  - .args:
      - .address_space:  global
        .offset:         0
        .size:           8
        .value_kind:     global_buffer
      - .address_space:  global
        .offset:         8
        .size:           8
        .value_kind:     global_buffer
      - .address_space:  global
        .offset:         16
        .size:           8
        .value_kind:     global_buffer
      - .offset:         24
        .size:           4
        .value_kind:     by_value
      - .address_space:  global
        .offset:         32
        .size:           8
        .value_kind:     global_buffer
      - .address_space:  global
        .offset:         40
        .size:           8
        .value_kind:     global_buffer
      - .offset:         48
        .size:           4
        .value_kind:     by_value
      - .offset:         52
        .size:           4
        .value_kind:     by_value
      - .offset:         56
        .size:           4
        .value_kind:     by_value
      - .offset:         60
        .size:           1
        .value_kind:     by_value
      - .address_space:  global
        .offset:         64
        .size:           8
        .value_kind:     global_buffer
    .group_segment_fixed_size: 0
    .kernarg_segment_align: 8
    .kernarg_segment_size: 72
    .language:       OpenCL C
    .language_version:
      - 2
      - 0
    .max_flat_workgroup_size: 128
    .name:           _ZN4vllm3moe10topkGatingILi1ELi1ELi4ELi4ELi32EifLNS0_11ScoringFuncE0EEEvPKT5_PKbPfiPT4_PiiiibPKf
    .private_segment_fixed_size: 0
    .sgpr_count:     22
    .sgpr_spill_count: 0
    .symbol:         _ZN4vllm3moe10topkGatingILi1ELi1ELi4ELi4ELi32EifLNS0_11ScoringFuncE0EEEvPKT5_PKbPfiPT4_PiiiibPKf.kd
    .uniform_work_group_size: 1
    .uses_dynamic_stack: false
    .vgpr_count:     12
    .vgpr_spill_count: 0
    .wavefront_size: 32
    .workgroup_processor_mode: 1
  - .args:
      - .address_space:  global
        .offset:         0
        .size:           8
        .value_kind:     global_buffer
      - .address_space:  global
        .offset:         8
        .size:           8
        .value_kind:     global_buffer
      - .address_space:  global
        .offset:         16
        .size:           8
        .value_kind:     global_buffer
      - .offset:         24
        .size:           4
        .value_kind:     by_value
      - .address_space:  global
        .offset:         32
        .size:           8
        .value_kind:     global_buffer
      - .address_space:  global
        .offset:         40
        .size:           8
        .value_kind:     global_buffer
      - .offset:         48
        .size:           4
        .value_kind:     by_value
      - .offset:         52
        .size:           4
        .value_kind:     by_value
      - .offset:         56
        .size:           4
        .value_kind:     by_value
      - .offset:         60
        .size:           1
        .value_kind:     by_value
      - .address_space:  global
        .offset:         64
        .size:           8
        .value_kind:     global_buffer
    .group_segment_fixed_size: 0
    .kernarg_segment_align: 8
    .kernarg_segment_size: 72
    .language:       OpenCL C
    .language_version:
      - 2
      - 0
    .max_flat_workgroup_size: 256
    .name:           _ZN4vllm3moe10topkGatingILi2ELi2ELi4ELi8ELi64EifLNS0_11ScoringFuncE0EEEvPKT5_PKbPfiPT4_PiiiibPKf
    .private_segment_fixed_size: 0
    .sgpr_count:     18
    .sgpr_spill_count: 0
    .symbol:         _ZN4vllm3moe10topkGatingILi2ELi2ELi4ELi8ELi64EifLNS0_11ScoringFuncE0EEEvPKT5_PKbPfiPT4_PiiiibPKf.kd
    .uniform_work_group_size: 1
    .uses_dynamic_stack: false
    .vgpr_count:     17
    .vgpr_spill_count: 0
    .wavefront_size: 32
    .workgroup_processor_mode: 1
  - .args:
      - .address_space:  global
        .offset:         0
        .size:           8
        .value_kind:     global_buffer
      - .address_space:  global
        .offset:         8
        .size:           8
        .value_kind:     global_buffer
      - .address_space:  global
        .offset:         16
        .size:           8
        .value_kind:     global_buffer
      - .offset:         24
        .size:           4
        .value_kind:     by_value
      - .address_space:  global
        .offset:         32
        .size:           8
        .value_kind:     global_buffer
      - .address_space:  global
        .offset:         40
        .size:           8
        .value_kind:     global_buffer
      - .offset:         48
        .size:           4
        .value_kind:     by_value
      - .offset:         52
        .size:           4
        .value_kind:     by_value
      - .offset:         56
        .size:           4
        .value_kind:     by_value
      - .offset:         60
        .size:           1
        .value_kind:     by_value
      - .address_space:  global
        .offset:         64
        .size:           8
        .value_kind:     global_buffer
    .group_segment_fixed_size: 0
    .kernarg_segment_align: 8
    .kernarg_segment_size: 72
    .language:       OpenCL C
    .language_version:
      - 2
      - 0
    .max_flat_workgroup_size: 128
    .name:           _ZN4vllm3moe10topkGatingILi2ELi2ELi4ELi8ELi32EifLNS0_11ScoringFuncE0EEEvPKT5_PKbPfiPT4_PiiiibPKf
    .private_segment_fixed_size: 0
    .sgpr_count:     18
    .sgpr_spill_count: 0
    .symbol:         _ZN4vllm3moe10topkGatingILi2ELi2ELi4ELi8ELi32EifLNS0_11ScoringFuncE0EEEvPKT5_PKbPfiPT4_PiiiibPKf.kd
    .uniform_work_group_size: 1
    .uses_dynamic_stack: false
    .vgpr_count:     17
    .vgpr_spill_count: 0
    .wavefront_size: 32
    .workgroup_processor_mode: 1
  - .args:
      - .address_space:  global
        .offset:         0
        .size:           8
        .value_kind:     global_buffer
      - .address_space:  global
        .offset:         8
        .size:           8
        .value_kind:     global_buffer
      - .address_space:  global
        .offset:         16
        .size:           8
        .value_kind:     global_buffer
      - .offset:         24
        .size:           4
        .value_kind:     by_value
      - .address_space:  global
        .offset:         32
        .size:           8
        .value_kind:     global_buffer
      - .address_space:  global
        .offset:         40
        .size:           8
        .value_kind:     global_buffer
      - .offset:         48
        .size:           4
        .value_kind:     by_value
      - .offset:         52
        .size:           4
        .value_kind:     by_value
      - .offset:         56
        .size:           4
        .value_kind:     by_value
      - .offset:         60
        .size:           1
        .value_kind:     by_value
      - .address_space:  global
        .offset:         64
        .size:           8
        .value_kind:     global_buffer
    .group_segment_fixed_size: 0
    .kernarg_segment_align: 8
    .kernarg_segment_size: 72
    .language:       OpenCL C
    .language_version:
      - 2
      - 0
    .max_flat_workgroup_size: 256
    .name:           _ZN4vllm3moe10topkGatingILi4ELi4ELi4ELi16ELi64EifLNS0_11ScoringFuncE0EEEvPKT5_PKbPfiPT4_PiiiibPKf
    .private_segment_fixed_size: 0
    .sgpr_count:     18
    .sgpr_spill_count: 0
    .symbol:         _ZN4vllm3moe10topkGatingILi4ELi4ELi4ELi16ELi64EifLNS0_11ScoringFuncE0EEEvPKT5_PKbPfiPT4_PiiiibPKf.kd
    .uniform_work_group_size: 1
    .uses_dynamic_stack: false
    .vgpr_count:     23
    .vgpr_spill_count: 0
    .wavefront_size: 32
    .workgroup_processor_mode: 1
  - .args:
      - .address_space:  global
        .offset:         0
        .size:           8
        .value_kind:     global_buffer
      - .address_space:  global
        .offset:         8
        .size:           8
        .value_kind:     global_buffer
      - .address_space:  global
        .offset:         16
        .size:           8
        .value_kind:     global_buffer
      - .offset:         24
        .size:           4
        .value_kind:     by_value
      - .address_space:  global
        .offset:         32
        .size:           8
        .value_kind:     global_buffer
      - .address_space:  global
        .offset:         40
        .size:           8
        .value_kind:     global_buffer
      - .offset:         48
        .size:           4
        .value_kind:     by_value
      - .offset:         52
        .size:           4
        .value_kind:     by_value
      - .offset:         56
        .size:           4
        .value_kind:     by_value
      - .offset:         60
        .size:           1
        .value_kind:     by_value
      - .address_space:  global
        .offset:         64
        .size:           8
        .value_kind:     global_buffer
    .group_segment_fixed_size: 0
    .kernarg_segment_align: 8
    .kernarg_segment_size: 72
    .language:       OpenCL C
    .language_version:
      - 2
      - 0
    .max_flat_workgroup_size: 128
    .name:           _ZN4vllm3moe10topkGatingILi4ELi4ELi4ELi16ELi32EifLNS0_11ScoringFuncE0EEEvPKT5_PKbPfiPT4_PiiiibPKf
    .private_segment_fixed_size: 0
    .sgpr_count:     18
    .sgpr_spill_count: 0
    .symbol:         _ZN4vllm3moe10topkGatingILi4ELi4ELi4ELi16ELi32EifLNS0_11ScoringFuncE0EEEvPKT5_PKbPfiPT4_PiiiibPKf.kd
    .uniform_work_group_size: 1
    .uses_dynamic_stack: false
    .vgpr_count:     23
    .vgpr_spill_count: 0
    .wavefront_size: 32
    .workgroup_processor_mode: 1
  - .args:
      - .address_space:  global
        .offset:         0
        .size:           8
        .value_kind:     global_buffer
      - .address_space:  global
        .offset:         8
        .size:           8
        .value_kind:     global_buffer
      - .address_space:  global
        .offset:         16
        .size:           8
        .value_kind:     global_buffer
      - .offset:         24
        .size:           4
        .value_kind:     by_value
      - .address_space:  global
        .offset:         32
        .size:           8
        .value_kind:     global_buffer
      - .address_space:  global
        .offset:         40
        .size:           8
        .value_kind:     global_buffer
      - .offset:         48
        .size:           4
        .value_kind:     by_value
      - .offset:         52
        .size:           4
        .value_kind:     by_value
      - .offset:         56
        .size:           4
        .value_kind:     by_value
      - .offset:         60
        .size:           1
        .value_kind:     by_value
      - .address_space:  global
        .offset:         64
        .size:           8
        .value_kind:     global_buffer
    .group_segment_fixed_size: 0
    .kernarg_segment_align: 8
    .kernarg_segment_size: 72
    .language:       OpenCL C
    .language_version:
      - 2
      - 0
    .max_flat_workgroup_size: 256
    .name:           _ZN4vllm3moe10topkGatingILi4ELi8ELi4ELi16ELi64EifLNS0_11ScoringFuncE0EEEvPKT5_PKbPfiPT4_PiiiibPKf
    .private_segment_fixed_size: 0
    .sgpr_count:     20
    .sgpr_spill_count: 0
    .symbol:         _ZN4vllm3moe10topkGatingILi4ELi8ELi4ELi16ELi64EifLNS0_11ScoringFuncE0EEEvPKT5_PKbPfiPT4_PiiiibPKf.kd
    .uniform_work_group_size: 1
    .uses_dynamic_stack: false
    .vgpr_count:     25
    .vgpr_spill_count: 0
    .wavefront_size: 32
    .workgroup_processor_mode: 1
  - .args:
      - .address_space:  global
        .offset:         0
        .size:           8
        .value_kind:     global_buffer
      - .address_space:  global
        .offset:         8
        .size:           8
        .value_kind:     global_buffer
      - .address_space:  global
        .offset:         16
        .size:           8
        .value_kind:     global_buffer
      - .offset:         24
        .size:           4
        .value_kind:     by_value
      - .address_space:  global
        .offset:         32
        .size:           8
        .value_kind:     global_buffer
      - .address_space:  global
        .offset:         40
        .size:           8
        .value_kind:     global_buffer
      - .offset:         48
        .size:           4
        .value_kind:     by_value
      - .offset:         52
        .size:           4
        .value_kind:     by_value
      - .offset:         56
        .size:           4
        .value_kind:     by_value
      - .offset:         60
        .size:           1
        .value_kind:     by_value
      - .address_space:  global
        .offset:         64
        .size:           8
        .value_kind:     global_buffer
    .group_segment_fixed_size: 0
    .kernarg_segment_align: 8
    .kernarg_segment_size: 72
    .language:       OpenCL C
    .language_version:
      - 2
      - 0
    .max_flat_workgroup_size: 128
    .name:           _ZN4vllm3moe10topkGatingILi4ELi8ELi4ELi16ELi32EifLNS0_11ScoringFuncE0EEEvPKT5_PKbPfiPT4_PiiiibPKf
    .private_segment_fixed_size: 0
    .sgpr_count:     20
    .sgpr_spill_count: 0
    .symbol:         _ZN4vllm3moe10topkGatingILi4ELi8ELi4ELi16ELi32EifLNS0_11ScoringFuncE0EEEvPKT5_PKbPfiPT4_PiiiibPKf.kd
    .uniform_work_group_size: 1
    .uses_dynamic_stack: false
    .vgpr_count:     25
    .vgpr_spill_count: 0
    .wavefront_size: 32
    .workgroup_processor_mode: 1
  - .args:
      - .address_space:  global
        .offset:         0
        .size:           8
        .value_kind:     global_buffer
      - .address_space:  global
        .offset:         8
        .size:           8
        .value_kind:     global_buffer
      - .address_space:  global
        .offset:         16
        .size:           8
        .value_kind:     global_buffer
      - .offset:         24
        .size:           4
        .value_kind:     by_value
      - .address_space:  global
        .offset:         32
        .size:           8
        .value_kind:     global_buffer
      - .address_space:  global
        .offset:         40
        .size:           8
        .value_kind:     global_buffer
      - .offset:         48
        .size:           4
        .value_kind:     by_value
      - .offset:         52
        .size:           4
        .value_kind:     by_value
      - .offset:         56
        .size:           4
        .value_kind:     by_value
      - .offset:         60
        .size:           1
        .value_kind:     by_value
      - .address_space:  global
        .offset:         64
        .size:           8
        .value_kind:     global_buffer
    .group_segment_fixed_size: 0
    .kernarg_segment_align: 8
    .kernarg_segment_size: 72
    .language:       OpenCL C
    .language_version:
      - 2
      - 0
    .max_flat_workgroup_size: 256
    .name:           _ZN4vllm3moe10topkGatingILi4ELi16ELi4ELi16ELi64EifLNS0_11ScoringFuncE0EEEvPKT5_PKbPfiPT4_PiiiibPKf
    .private_segment_fixed_size: 0
    .sgpr_count:     20
    .sgpr_spill_count: 0
    .symbol:         _ZN4vllm3moe10topkGatingILi4ELi16ELi4ELi16ELi64EifLNS0_11ScoringFuncE0EEEvPKT5_PKbPfiPT4_PiiiibPKf.kd
    .uniform_work_group_size: 1
    .uses_dynamic_stack: false
    .vgpr_count:     26
    .vgpr_spill_count: 0
    .wavefront_size: 32
    .workgroup_processor_mode: 1
  - .args:
      - .address_space:  global
        .offset:         0
        .size:           8
        .value_kind:     global_buffer
      - .address_space:  global
        .offset:         8
        .size:           8
        .value_kind:     global_buffer
      - .address_space:  global
        .offset:         16
        .size:           8
        .value_kind:     global_buffer
      - .offset:         24
        .size:           4
        .value_kind:     by_value
      - .address_space:  global
        .offset:         32
        .size:           8
        .value_kind:     global_buffer
      - .address_space:  global
        .offset:         40
        .size:           8
        .value_kind:     global_buffer
      - .offset:         48
        .size:           4
        .value_kind:     by_value
      - .offset:         52
        .size:           4
        .value_kind:     by_value
      - .offset:         56
        .size:           4
        .value_kind:     by_value
      - .offset:         60
        .size:           1
        .value_kind:     by_value
      - .address_space:  global
        .offset:         64
        .size:           8
        .value_kind:     global_buffer
    .group_segment_fixed_size: 0
    .kernarg_segment_align: 8
    .kernarg_segment_size: 72
    .language:       OpenCL C
    .language_version:
      - 2
      - 0
    .max_flat_workgroup_size: 128
    .name:           _ZN4vllm3moe10topkGatingILi4ELi16ELi4ELi16ELi32EifLNS0_11ScoringFuncE0EEEvPKT5_PKbPfiPT4_PiiiibPKf
    .private_segment_fixed_size: 0
    .sgpr_count:     20
    .sgpr_spill_count: 0
    .symbol:         _ZN4vllm3moe10topkGatingILi4ELi16ELi4ELi16ELi32EifLNS0_11ScoringFuncE0EEEvPKT5_PKbPfiPT4_PiiiibPKf.kd
    .uniform_work_group_size: 1
    .uses_dynamic_stack: false
    .vgpr_count:     26
    .vgpr_spill_count: 0
    .wavefront_size: 32
    .workgroup_processor_mode: 1
  - .args:
      - .address_space:  global
        .offset:         0
        .size:           8
        .value_kind:     global_buffer
      - .address_space:  global
        .offset:         8
        .size:           8
        .value_kind:     global_buffer
      - .address_space:  global
        .offset:         16
        .size:           8
        .value_kind:     global_buffer
      - .offset:         24
        .size:           4
        .value_kind:     by_value
      - .address_space:  global
        .offset:         32
        .size:           8
        .value_kind:     global_buffer
      - .address_space:  global
        .offset:         40
        .size:           8
        .value_kind:     global_buffer
      - .offset:         48
        .size:           4
        .value_kind:     by_value
      - .offset:         52
        .size:           4
        .value_kind:     by_value
      - .offset:         56
        .size:           4
        .value_kind:     by_value
      - .offset:         60
        .size:           1
        .value_kind:     by_value
      - .address_space:  global
        .offset:         64
        .size:           8
        .value_kind:     global_buffer
    .group_segment_fixed_size: 0
    .kernarg_segment_align: 8
    .kernarg_segment_size: 72
    .language:       OpenCL C
    .language_version:
      - 2
      - 0
    .max_flat_workgroup_size: 256
    .name:           _ZN4vllm3moe10topkGatingILi4ELi32ELi4ELi16ELi64EifLNS0_11ScoringFuncE0EEEvPKT5_PKbPfiPT4_PiiiibPKf
    .private_segment_fixed_size: 0
    .sgpr_count:     20
    .sgpr_spill_count: 0
    .symbol:         _ZN4vllm3moe10topkGatingILi4ELi32ELi4ELi16ELi64EifLNS0_11ScoringFuncE0EEEvPKT5_PKbPfiPT4_PiiiibPKf.kd
    .uniform_work_group_size: 1
    .uses_dynamic_stack: false
    .vgpr_count:     27
    .vgpr_spill_count: 0
    .wavefront_size: 32
    .workgroup_processor_mode: 1
  - .args:
      - .address_space:  global
        .offset:         0
        .size:           8
        .value_kind:     global_buffer
      - .address_space:  global
        .offset:         8
        .size:           8
        .value_kind:     global_buffer
      - .address_space:  global
        .offset:         16
        .size:           8
        .value_kind:     global_buffer
      - .offset:         24
        .size:           4
        .value_kind:     by_value
      - .address_space:  global
        .offset:         32
        .size:           8
        .value_kind:     global_buffer
      - .address_space:  global
        .offset:         40
        .size:           8
        .value_kind:     global_buffer
      - .offset:         48
        .size:           4
        .value_kind:     by_value
      - .offset:         52
        .size:           4
        .value_kind:     by_value
      - .offset:         56
        .size:           4
        .value_kind:     by_value
      - .offset:         60
        .size:           1
        .value_kind:     by_value
      - .address_space:  global
        .offset:         64
        .size:           8
        .value_kind:     global_buffer
    .group_segment_fixed_size: 0
    .kernarg_segment_align: 8
    .kernarg_segment_size: 72
    .language:       OpenCL C
    .language_version:
      - 2
      - 0
    .max_flat_workgroup_size: 128
    .name:           _ZN4vllm3moe10topkGatingILi4ELi32ELi4ELi16ELi32EifLNS0_11ScoringFuncE0EEEvPKT5_PKbPfiPT4_PiiiibPKf
    .private_segment_fixed_size: 0
    .sgpr_count:     20
    .sgpr_spill_count: 0
    .symbol:         _ZN4vllm3moe10topkGatingILi4ELi32ELi4ELi16ELi32EifLNS0_11ScoringFuncE0EEEvPKT5_PKbPfiPT4_PiiiibPKf.kd
    .uniform_work_group_size: 1
    .uses_dynamic_stack: false
    .vgpr_count:     27
    .vgpr_spill_count: 0
    .wavefront_size: 32
    .workgroup_processor_mode: 1
  - .args:
      - .address_space:  global
        .offset:         0
        .size:           8
        .value_kind:     global_buffer
      - .address_space:  global
        .offset:         8
        .size:           8
        .value_kind:     global_buffer
      - .address_space:  global
        .offset:         16
        .size:           8
        .value_kind:     global_buffer
      - .offset:         24
        .size:           4
        .value_kind:     by_value
      - .address_space:  global
        .offset:         32
        .size:           8
        .value_kind:     global_buffer
      - .address_space:  global
        .offset:         40
        .size:           8
        .value_kind:     global_buffer
      - .offset:         48
        .size:           4
        .value_kind:     by_value
      - .offset:         52
        .size:           4
        .value_kind:     by_value
      - .offset:         56
        .size:           4
        .value_kind:     by_value
      - .offset:         60
        .size:           1
        .value_kind:     by_value
      - .address_space:  global
        .offset:         64
        .size:           8
        .value_kind:     global_buffer
    .group_segment_fixed_size: 0
    .kernarg_segment_align: 8
    .kernarg_segment_size: 72
    .language:       OpenCL C
    .language_version:
      - 2
      - 0
    .max_flat_workgroup_size: 256
    .name:           _ZN4vllm3moe10topkGatingILi4ELi64ELi4ELi16ELi64EifLNS0_11ScoringFuncE0EEEvPKT5_PKbPfiPT4_PiiiibPKf
    .private_segment_fixed_size: 0
    .sgpr_count:     20
    .sgpr_spill_count: 0
    .symbol:         _ZN4vllm3moe10topkGatingILi4ELi64ELi4ELi16ELi64EifLNS0_11ScoringFuncE0EEEvPKT5_PKbPfiPT4_PiiiibPKf.kd
    .uniform_work_group_size: 1
    .uses_dynamic_stack: false
    .vgpr_count:     28
    .vgpr_spill_count: 0
    .wavefront_size: 32
    .workgroup_processor_mode: 1
  - .args:
      - .address_space:  global
        .offset:         0
        .size:           8
        .value_kind:     global_buffer
      - .address_space:  global
        .offset:         8
        .size:           8
        .value_kind:     global_buffer
      - .address_space:  global
        .offset:         16
        .size:           8
        .value_kind:     global_buffer
      - .offset:         24
        .size:           4
        .value_kind:     by_value
      - .address_space:  global
        .offset:         32
        .size:           8
        .value_kind:     global_buffer
      - .address_space:  global
        .offset:         40
        .size:           8
        .value_kind:     global_buffer
      - .offset:         48
        .size:           4
        .value_kind:     by_value
      - .offset:         52
        .size:           4
        .value_kind:     by_value
      - .offset:         56
        .size:           4
        .value_kind:     by_value
      - .offset:         60
        .size:           1
        .value_kind:     by_value
      - .address_space:  global
        .offset:         64
        .size:           8
        .value_kind:     global_buffer
    .group_segment_fixed_size: 0
    .kernarg_segment_align: 8
    .kernarg_segment_size: 72
    .language:       OpenCL C
    .language_version:
      - 2
      - 0
    .max_flat_workgroup_size: 128
    .name:           _ZN4vllm3moe10topkGatingILi4ELi64ELi4ELi16ELi32EifLNS0_11ScoringFuncE0EEEvPKT5_PKbPfiPT4_PiiiibPKf
    .private_segment_fixed_size: 0
    .sgpr_count:     20
    .sgpr_spill_count: 0
    .symbol:         _ZN4vllm3moe10topkGatingILi4ELi64ELi4ELi16ELi32EifLNS0_11ScoringFuncE0EEEvPKT5_PKbPfiPT4_PiiiibPKf.kd
    .uniform_work_group_size: 1
    .uses_dynamic_stack: false
    .vgpr_count:     28
    .vgpr_spill_count: 0
    .wavefront_size: 32
    .workgroup_processor_mode: 1
  - .args:
      - .address_space:  global
        .offset:         0
        .size:           8
        .value_kind:     global_buffer
      - .address_space:  global
        .offset:         8
        .size:           8
        .value_kind:     global_buffer
      - .address_space:  global
        .offset:         16
        .size:           8
        .value_kind:     global_buffer
      - .offset:         24
        .size:           4
        .value_kind:     by_value
      - .address_space:  global
        .offset:         32
        .size:           8
        .value_kind:     global_buffer
      - .address_space:  global
        .offset:         40
        .size:           8
        .value_kind:     global_buffer
      - .offset:         48
        .size:           4
        .value_kind:     by_value
      - .offset:         52
        .size:           4
        .value_kind:     by_value
      - .offset:         56
        .size:           4
        .value_kind:     by_value
      - .offset:         60
        .size:           1
        .value_kind:     by_value
      - .address_space:  global
        .offset:         64
        .size:           8
        .value_kind:     global_buffer
    .group_segment_fixed_size: 0
    .kernarg_segment_align: 8
    .kernarg_segment_size: 72
    .language:       OpenCL C
    .language_version:
      - 2
      - 0
    .max_flat_workgroup_size: 256
    .name:           _ZN4vllm3moe10topkGatingILi4ELi128ELi4ELi16ELi64EifLNS0_11ScoringFuncE0EEEvPKT5_PKbPfiPT4_PiiiibPKf
    .private_segment_fixed_size: 0
    .sgpr_count:     20
    .sgpr_spill_count: 0
    .symbol:         _ZN4vllm3moe10topkGatingILi4ELi128ELi4ELi16ELi64EifLNS0_11ScoringFuncE0EEEvPKT5_PKbPfiPT4_PiiiibPKf.kd
    .uniform_work_group_size: 1
    .uses_dynamic_stack: false
    .vgpr_count:     29
    .vgpr_spill_count: 0
    .wavefront_size: 32
    .workgroup_processor_mode: 1
  - .args:
      - .address_space:  global
        .offset:         0
        .size:           8
        .value_kind:     global_buffer
      - .address_space:  global
        .offset:         8
        .size:           8
        .value_kind:     global_buffer
      - .address_space:  global
        .offset:         16
        .size:           8
        .value_kind:     global_buffer
      - .offset:         24
        .size:           4
        .value_kind:     by_value
      - .address_space:  global
        .offset:         32
        .size:           8
        .value_kind:     global_buffer
      - .address_space:  global
        .offset:         40
        .size:           8
        .value_kind:     global_buffer
      - .offset:         48
        .size:           4
        .value_kind:     by_value
      - .offset:         52
        .size:           4
        .value_kind:     by_value
      - .offset:         56
        .size:           4
        .value_kind:     by_value
      - .offset:         60
        .size:           1
        .value_kind:     by_value
      - .address_space:  global
        .offset:         64
        .size:           8
        .value_kind:     global_buffer
    .group_segment_fixed_size: 0
    .kernarg_segment_align: 8
    .kernarg_segment_size: 72
    .language:       OpenCL C
    .language_version:
      - 2
      - 0
    .max_flat_workgroup_size: 128
    .name:           _ZN4vllm3moe10topkGatingILi4ELi128ELi4ELi16ELi32EifLNS0_11ScoringFuncE0EEEvPKT5_PKbPfiPT4_PiiiibPKf
    .private_segment_fixed_size: 0
    .sgpr_count:     20
    .sgpr_spill_count: 0
    .symbol:         _ZN4vllm3moe10topkGatingILi4ELi128ELi4ELi16ELi32EifLNS0_11ScoringFuncE0EEEvPKT5_PKbPfiPT4_PiiiibPKf.kd
    .uniform_work_group_size: 1
    .uses_dynamic_stack: false
    .vgpr_count:     29
    .vgpr_spill_count: 0
    .wavefront_size: 32
    .workgroup_processor_mode: 1
  - .args:
      - .address_space:  global
        .offset:         0
        .size:           8
        .value_kind:     global_buffer
      - .address_space:  global
        .offset:         8
        .size:           8
        .value_kind:     global_buffer
      - .address_space:  global
        .offset:         16
        .size:           8
        .value_kind:     global_buffer
      - .offset:         24
        .size:           4
        .value_kind:     by_value
      - .address_space:  global
        .offset:         32
        .size:           8
        .value_kind:     global_buffer
      - .address_space:  global
        .offset:         40
        .size:           8
        .value_kind:     global_buffer
      - .offset:         48
        .size:           4
        .value_kind:     by_value
      - .offset:         52
        .size:           4
        .value_kind:     by_value
      - .offset:         56
        .size:           4
        .value_kind:     by_value
      - .offset:         60
        .size:           1
        .value_kind:     by_value
      - .address_space:  global
        .offset:         64
        .size:           8
        .value_kind:     global_buffer
    .group_segment_fixed_size: 0
    .kernarg_segment_align: 8
    .kernarg_segment_size: 72
    .language:       OpenCL C
    .language_version:
      - 2
      - 0
    .max_flat_workgroup_size: 256
    .name:           _ZN4vllm3moe10topkGatingILi4ELi256ELi4ELi16ELi64EifLNS0_11ScoringFuncE0EEEvPKT5_PKbPfiPT4_PiiiibPKf
    .private_segment_fixed_size: 0
    .sgpr_count:     20
    .sgpr_spill_count: 0
    .symbol:         _ZN4vllm3moe10topkGatingILi4ELi256ELi4ELi16ELi64EifLNS0_11ScoringFuncE0EEEvPKT5_PKbPfiPT4_PiiiibPKf.kd
    .uniform_work_group_size: 1
    .uses_dynamic_stack: false
    .vgpr_count:     30
    .vgpr_spill_count: 0
    .wavefront_size: 32
    .workgroup_processor_mode: 1
  - .args:
      - .address_space:  global
        .offset:         0
        .size:           8
        .value_kind:     global_buffer
      - .address_space:  global
        .offset:         8
        .size:           8
        .value_kind:     global_buffer
      - .address_space:  global
        .offset:         16
        .size:           8
        .value_kind:     global_buffer
      - .offset:         24
        .size:           4
        .value_kind:     by_value
      - .address_space:  global
        .offset:         32
        .size:           8
        .value_kind:     global_buffer
      - .address_space:  global
        .offset:         40
        .size:           8
        .value_kind:     global_buffer
      - .offset:         48
        .size:           4
        .value_kind:     by_value
      - .offset:         52
        .size:           4
        .value_kind:     by_value
      - .offset:         56
        .size:           4
        .value_kind:     by_value
      - .offset:         60
        .size:           1
        .value_kind:     by_value
      - .address_space:  global
        .offset:         64
        .size:           8
        .value_kind:     global_buffer
    .group_segment_fixed_size: 0
    .kernarg_segment_align: 8
    .kernarg_segment_size: 72
    .language:       OpenCL C
    .language_version:
      - 2
      - 0
    .max_flat_workgroup_size: 128
    .name:           _ZN4vllm3moe10topkGatingILi8ELi256ELi4ELi16ELi32EifLNS0_11ScoringFuncE0EEEvPKT5_PKbPfiPT4_PiiiibPKf
    .private_segment_fixed_size: 0
    .sgpr_count:     20
    .sgpr_spill_count: 0
    .symbol:         _ZN4vllm3moe10topkGatingILi8ELi256ELi4ELi16ELi32EifLNS0_11ScoringFuncE0EEEvPKT5_PKbPfiPT4_PiiiibPKf.kd
    .uniform_work_group_size: 1
    .uses_dynamic_stack: false
    .vgpr_count:     39
    .vgpr_spill_count: 0
    .wavefront_size: 32
    .workgroup_processor_mode: 1
  - .args:
      - .address_space:  global
        .offset:         0
        .size:           8
        .value_kind:     global_buffer
      - .address_space:  global
        .offset:         8
        .size:           8
        .value_kind:     global_buffer
      - .address_space:  global
        .offset:         16
        .size:           8
        .value_kind:     global_buffer
      - .offset:         24
        .size:           4
        .value_kind:     by_value
      - .address_space:  global
        .offset:         32
        .size:           8
        .value_kind:     global_buffer
      - .address_space:  global
        .offset:         40
        .size:           8
        .value_kind:     global_buffer
      - .offset:         48
        .size:           4
        .value_kind:     by_value
      - .offset:         52
        .size:           4
        .value_kind:     by_value
      - .offset:         56
        .size:           4
        .value_kind:     by_value
      - .offset:         60
        .size:           1
        .value_kind:     by_value
      - .address_space:  global
        .offset:         64
        .size:           8
        .value_kind:     global_buffer
    .group_segment_fixed_size: 0
    .kernarg_segment_align: 8
    .kernarg_segment_size: 72
    .language:       OpenCL C
    .language_version:
      - 2
      - 0
    .max_flat_workgroup_size: 256
    .name:           _ZN4vllm3moe10topkGatingILi8ELi512ELi4ELi16ELi64EifLNS0_11ScoringFuncE0EEEvPKT5_PKbPfiPT4_PiiiibPKf
    .private_segment_fixed_size: 0
    .sgpr_count:     20
    .sgpr_spill_count: 0
    .symbol:         _ZN4vllm3moe10topkGatingILi8ELi512ELi4ELi16ELi64EifLNS0_11ScoringFuncE0EEEvPKT5_PKbPfiPT4_PiiiibPKf.kd
    .uniform_work_group_size: 1
    .uses_dynamic_stack: false
    .vgpr_count:     40
    .vgpr_spill_count: 0
    .wavefront_size: 32
    .workgroup_processor_mode: 1
  - .args:
      - .address_space:  global
        .offset:         0
        .size:           8
        .value_kind:     global_buffer
      - .address_space:  global
        .offset:         8
        .size:           8
        .value_kind:     global_buffer
      - .address_space:  global
        .offset:         16
        .size:           8
        .value_kind:     global_buffer
      - .offset:         24
        .size:           4
        .value_kind:     by_value
      - .address_space:  global
        .offset:         32
        .size:           8
        .value_kind:     global_buffer
      - .address_space:  global
        .offset:         40
        .size:           8
        .value_kind:     global_buffer
      - .offset:         48
        .size:           4
        .value_kind:     by_value
      - .offset:         52
        .size:           4
        .value_kind:     by_value
      - .offset:         56
        .size:           4
        .value_kind:     by_value
      - .offset:         60
        .size:           1
        .value_kind:     by_value
      - .address_space:  global
        .offset:         64
        .size:           8
        .value_kind:     global_buffer
    .group_segment_fixed_size: 0
    .kernarg_segment_align: 8
    .kernarg_segment_size: 72
    .language:       OpenCL C
    .language_version:
      - 2
      - 0
    .max_flat_workgroup_size: 128
    .name:           _ZN4vllm3moe10topkGatingILi16ELi512ELi4ELi16ELi32EifLNS0_11ScoringFuncE0EEEvPKT5_PKbPfiPT4_PiiiibPKf
    .private_segment_fixed_size: 0
    .sgpr_count:     20
    .sgpr_spill_count: 0
    .symbol:         _ZN4vllm3moe10topkGatingILi16ELi512ELi4ELi16ELi32EifLNS0_11ScoringFuncE0EEEvPKT5_PKbPfiPT4_PiiiibPKf.kd
    .uniform_work_group_size: 1
    .uses_dynamic_stack: false
    .vgpr_count:     71
    .vgpr_spill_count: 0
    .wavefront_size: 32
    .workgroup_processor_mode: 1
  - .args:
      - .address_space:  global
        .offset:         0
        .size:           8
        .value_kind:     global_buffer
      - .address_space:  global
        .offset:         8
        .size:           8
        .value_kind:     global_buffer
      - .address_space:  global
        .offset:         16
        .size:           8
        .value_kind:     global_buffer
      - .offset:         24
        .size:           4
        .value_kind:     by_value
    .group_segment_fixed_size: 40
    .kernarg_segment_align: 8
    .kernarg_segment_size: 28
    .language:       OpenCL C
    .language_version:
      - 2
      - 0
    .max_flat_workgroup_size: 256
    .name:           _ZN4vllm3moe10moeSoftmaxILi256EfEEvPKT0_PKbPfi
    .private_segment_fixed_size: 0
    .sgpr_count:     18
    .sgpr_spill_count: 0
    .symbol:         _ZN4vllm3moe10moeSoftmaxILi256EfEEvPKT0_PKbPfi.kd
    .uniform_work_group_size: 1
    .uses_dynamic_stack: false
    .vgpr_count:     15
    .vgpr_spill_count: 0
    .wavefront_size: 32
    .workgroup_processor_mode: 1
  - .args:
      - .address_space:  global
        .offset:         0
        .size:           8
        .value_kind:     global_buffer
      - .address_space:  global
        .offset:         8
        .size:           8
        .value_kind:     global_buffer
      - .address_space:  global
        .offset:         16
        .size:           8
        .value_kind:     global_buffer
      - .address_space:  global
        .offset:         24
        .size:           8
        .value_kind:     global_buffer
      - .address_space:  global
        .offset:         32
        .size:           8
        .value_kind:     global_buffer
      - .offset:         40
        .size:           4
        .value_kind:     by_value
      - .offset:         44
        .size:           4
        .value_kind:     by_value
      - .offset:         48
        .size:           4
        .value_kind:     by_value
      - .offset:         52
        .size:           4
        .value_kind:     by_value
      - .offset:         56
        .size:           1
        .value_kind:     by_value
      - .address_space:  global
        .offset:         64
        .size:           8
        .value_kind:     global_buffer
      - .offset:         72
        .size:           4
        .value_kind:     hidden_block_count_x
      - .offset:         76
        .size:           4
        .value_kind:     hidden_block_count_y
      - .offset:         80
        .size:           4
        .value_kind:     hidden_block_count_z
      - .offset:         84
        .size:           2
        .value_kind:     hidden_group_size_x
      - .offset:         86
        .size:           2
        .value_kind:     hidden_group_size_y
      - .offset:         88
        .size:           2
        .value_kind:     hidden_group_size_z
      - .offset:         90
        .size:           2
        .value_kind:     hidden_remainder_x
      - .offset:         92
        .size:           2
        .value_kind:     hidden_remainder_y
      - .offset:         94
        .size:           2
        .value_kind:     hidden_remainder_z
      - .offset:         112
        .size:           8
        .value_kind:     hidden_global_offset_x
      - .offset:         120
        .size:           8
        .value_kind:     hidden_global_offset_y
      - .offset:         128
        .size:           8
        .value_kind:     hidden_global_offset_z
      - .offset:         136
        .size:           2
        .value_kind:     hidden_grid_dims
      - .offset:         152
        .size:           8
        .value_kind:     hidden_hostcall_buffer
    .group_segment_fixed_size: 64
    .kernarg_segment_align: 8
    .kernarg_segment_size: 328
    .language:       OpenCL C
    .language_version:
      - 2
      - 0
    .max_flat_workgroup_size: 256
    .name:           _ZN4vllm3moe7moeTopKILi256EiEEvPKfPKbPfPT0_PiiiiibS3_
    .private_segment_fixed_size: 64
    .sgpr_count:     46
    .sgpr_spill_count: 0
    .symbol:         _ZN4vllm3moe7moeTopKILi256EiEEvPKfPKbPfPT0_PiiiiibS3_.kd
    .uniform_work_group_size: 1
    .uses_dynamic_stack: false
    .vgpr_count:     41
    .vgpr_spill_count: 0
    .wavefront_size: 32
    .workgroup_processor_mode: 1
  - .args:
      - .address_space:  global
        .offset:         0
        .size:           8
        .value_kind:     global_buffer
      - .address_space:  global
        .offset:         8
        .size:           8
        .value_kind:     global_buffer
      - .address_space:  global
        .offset:         16
        .size:           8
        .value_kind:     global_buffer
      - .offset:         24
        .size:           4
        .value_kind:     by_value
      - .address_space:  global
        .offset:         32
        .size:           8
        .value_kind:     global_buffer
      - .address_space:  global
        .offset:         40
        .size:           8
        .value_kind:     global_buffer
      - .offset:         48
        .size:           4
        .value_kind:     by_value
      - .offset:         52
        .size:           4
        .value_kind:     by_value
      - .offset:         56
        .size:           4
        .value_kind:     by_value
      - .offset:         60
        .size:           1
        .value_kind:     by_value
      - .address_space:  global
        .offset:         64
        .size:           8
        .value_kind:     global_buffer
    .group_segment_fixed_size: 0
    .kernarg_segment_align: 8
    .kernarg_segment_size: 72
    .language:       OpenCL C
    .language_version:
      - 2
      - 0
    .max_flat_workgroup_size: 256
    .name:           _ZN4vllm3moe10topkGatingILi1ELi1ELi4ELi4ELi64EjfLNS0_11ScoringFuncE0EEEvPKT5_PKbPfiPT4_PiiiibPKf
    .private_segment_fixed_size: 0
    .sgpr_count:     22
    .sgpr_spill_count: 0
    .symbol:         _ZN4vllm3moe10topkGatingILi1ELi1ELi4ELi4ELi64EjfLNS0_11ScoringFuncE0EEEvPKT5_PKbPfiPT4_PiiiibPKf.kd
    .uniform_work_group_size: 1
    .uses_dynamic_stack: false
    .vgpr_count:     12
    .vgpr_spill_count: 0
    .wavefront_size: 32
    .workgroup_processor_mode: 1
  - .args:
      - .address_space:  global
        .offset:         0
        .size:           8
        .value_kind:     global_buffer
      - .address_space:  global
        .offset:         8
        .size:           8
        .value_kind:     global_buffer
      - .address_space:  global
        .offset:         16
        .size:           8
        .value_kind:     global_buffer
      - .offset:         24
        .size:           4
        .value_kind:     by_value
      - .address_space:  global
        .offset:         32
        .size:           8
        .value_kind:     global_buffer
      - .address_space:  global
        .offset:         40
        .size:           8
        .value_kind:     global_buffer
      - .offset:         48
        .size:           4
        .value_kind:     by_value
      - .offset:         52
        .size:           4
        .value_kind:     by_value
      - .offset:         56
        .size:           4
        .value_kind:     by_value
      - .offset:         60
        .size:           1
        .value_kind:     by_value
      - .address_space:  global
        .offset:         64
        .size:           8
        .value_kind:     global_buffer
    .group_segment_fixed_size: 0
    .kernarg_segment_align: 8
    .kernarg_segment_size: 72
    .language:       OpenCL C
    .language_version:
      - 2
      - 0
    .max_flat_workgroup_size: 128
    .name:           _ZN4vllm3moe10topkGatingILi1ELi1ELi4ELi4ELi32EjfLNS0_11ScoringFuncE0EEEvPKT5_PKbPfiPT4_PiiiibPKf
    .private_segment_fixed_size: 0
    .sgpr_count:     22
    .sgpr_spill_count: 0
    .symbol:         _ZN4vllm3moe10topkGatingILi1ELi1ELi4ELi4ELi32EjfLNS0_11ScoringFuncE0EEEvPKT5_PKbPfiPT4_PiiiibPKf.kd
    .uniform_work_group_size: 1
    .uses_dynamic_stack: false
    .vgpr_count:     12
    .vgpr_spill_count: 0
    .wavefront_size: 32
    .workgroup_processor_mode: 1
  - .args:
      - .address_space:  global
        .offset:         0
        .size:           8
        .value_kind:     global_buffer
      - .address_space:  global
        .offset:         8
        .size:           8
        .value_kind:     global_buffer
      - .address_space:  global
        .offset:         16
        .size:           8
        .value_kind:     global_buffer
      - .offset:         24
        .size:           4
        .value_kind:     by_value
      - .address_space:  global
        .offset:         32
        .size:           8
        .value_kind:     global_buffer
      - .address_space:  global
        .offset:         40
        .size:           8
        .value_kind:     global_buffer
      - .offset:         48
        .size:           4
        .value_kind:     by_value
      - .offset:         52
        .size:           4
        .value_kind:     by_value
      - .offset:         56
        .size:           4
        .value_kind:     by_value
      - .offset:         60
        .size:           1
        .value_kind:     by_value
      - .address_space:  global
        .offset:         64
        .size:           8
        .value_kind:     global_buffer
    .group_segment_fixed_size: 0
    .kernarg_segment_align: 8
    .kernarg_segment_size: 72
    .language:       OpenCL C
    .language_version:
      - 2
      - 0
    .max_flat_workgroup_size: 256
    .name:           _ZN4vllm3moe10topkGatingILi2ELi2ELi4ELi8ELi64EjfLNS0_11ScoringFuncE0EEEvPKT5_PKbPfiPT4_PiiiibPKf
    .private_segment_fixed_size: 0
    .sgpr_count:     18
    .sgpr_spill_count: 0
    .symbol:         _ZN4vllm3moe10topkGatingILi2ELi2ELi4ELi8ELi64EjfLNS0_11ScoringFuncE0EEEvPKT5_PKbPfiPT4_PiiiibPKf.kd
    .uniform_work_group_size: 1
    .uses_dynamic_stack: false
    .vgpr_count:     17
    .vgpr_spill_count: 0
    .wavefront_size: 32
    .workgroup_processor_mode: 1
  - .args:
      - .address_space:  global
        .offset:         0
        .size:           8
        .value_kind:     global_buffer
      - .address_space:  global
        .offset:         8
        .size:           8
        .value_kind:     global_buffer
      - .address_space:  global
        .offset:         16
        .size:           8
        .value_kind:     global_buffer
      - .offset:         24
        .size:           4
        .value_kind:     by_value
      - .address_space:  global
        .offset:         32
        .size:           8
        .value_kind:     global_buffer
      - .address_space:  global
        .offset:         40
        .size:           8
        .value_kind:     global_buffer
      - .offset:         48
        .size:           4
        .value_kind:     by_value
      - .offset:         52
        .size:           4
        .value_kind:     by_value
      - .offset:         56
        .size:           4
        .value_kind:     by_value
      - .offset:         60
        .size:           1
        .value_kind:     by_value
      - .address_space:  global
        .offset:         64
        .size:           8
        .value_kind:     global_buffer
    .group_segment_fixed_size: 0
    .kernarg_segment_align: 8
    .kernarg_segment_size: 72
    .language:       OpenCL C
    .language_version:
      - 2
      - 0
    .max_flat_workgroup_size: 128
    .name:           _ZN4vllm3moe10topkGatingILi2ELi2ELi4ELi8ELi32EjfLNS0_11ScoringFuncE0EEEvPKT5_PKbPfiPT4_PiiiibPKf
    .private_segment_fixed_size: 0
    .sgpr_count:     18
    .sgpr_spill_count: 0
    .symbol:         _ZN4vllm3moe10topkGatingILi2ELi2ELi4ELi8ELi32EjfLNS0_11ScoringFuncE0EEEvPKT5_PKbPfiPT4_PiiiibPKf.kd
    .uniform_work_group_size: 1
    .uses_dynamic_stack: false
    .vgpr_count:     17
    .vgpr_spill_count: 0
    .wavefront_size: 32
    .workgroup_processor_mode: 1
  - .args:
      - .address_space:  global
        .offset:         0
        .size:           8
        .value_kind:     global_buffer
      - .address_space:  global
        .offset:         8
        .size:           8
        .value_kind:     global_buffer
      - .address_space:  global
        .offset:         16
        .size:           8
        .value_kind:     global_buffer
      - .offset:         24
        .size:           4
        .value_kind:     by_value
      - .address_space:  global
        .offset:         32
        .size:           8
        .value_kind:     global_buffer
      - .address_space:  global
        .offset:         40
        .size:           8
        .value_kind:     global_buffer
      - .offset:         48
        .size:           4
        .value_kind:     by_value
      - .offset:         52
        .size:           4
        .value_kind:     by_value
      - .offset:         56
        .size:           4
        .value_kind:     by_value
      - .offset:         60
        .size:           1
        .value_kind:     by_value
      - .address_space:  global
        .offset:         64
        .size:           8
        .value_kind:     global_buffer
    .group_segment_fixed_size: 0
    .kernarg_segment_align: 8
    .kernarg_segment_size: 72
    .language:       OpenCL C
    .language_version:
      - 2
      - 0
    .max_flat_workgroup_size: 256
    .name:           _ZN4vllm3moe10topkGatingILi4ELi4ELi4ELi16ELi64EjfLNS0_11ScoringFuncE0EEEvPKT5_PKbPfiPT4_PiiiibPKf
    .private_segment_fixed_size: 0
    .sgpr_count:     18
    .sgpr_spill_count: 0
    .symbol:         _ZN4vllm3moe10topkGatingILi4ELi4ELi4ELi16ELi64EjfLNS0_11ScoringFuncE0EEEvPKT5_PKbPfiPT4_PiiiibPKf.kd
    .uniform_work_group_size: 1
    .uses_dynamic_stack: false
    .vgpr_count:     23
    .vgpr_spill_count: 0
    .wavefront_size: 32
    .workgroup_processor_mode: 1
  - .args:
      - .address_space:  global
        .offset:         0
        .size:           8
        .value_kind:     global_buffer
      - .address_space:  global
        .offset:         8
        .size:           8
        .value_kind:     global_buffer
      - .address_space:  global
        .offset:         16
        .size:           8
        .value_kind:     global_buffer
      - .offset:         24
        .size:           4
        .value_kind:     by_value
      - .address_space:  global
        .offset:         32
        .size:           8
        .value_kind:     global_buffer
      - .address_space:  global
        .offset:         40
        .size:           8
        .value_kind:     global_buffer
      - .offset:         48
        .size:           4
        .value_kind:     by_value
      - .offset:         52
        .size:           4
        .value_kind:     by_value
      - .offset:         56
        .size:           4
        .value_kind:     by_value
      - .offset:         60
        .size:           1
        .value_kind:     by_value
      - .address_space:  global
        .offset:         64
        .size:           8
        .value_kind:     global_buffer
    .group_segment_fixed_size: 0
    .kernarg_segment_align: 8
    .kernarg_segment_size: 72
    .language:       OpenCL C
    .language_version:
      - 2
      - 0
    .max_flat_workgroup_size: 128
    .name:           _ZN4vllm3moe10topkGatingILi4ELi4ELi4ELi16ELi32EjfLNS0_11ScoringFuncE0EEEvPKT5_PKbPfiPT4_PiiiibPKf
    .private_segment_fixed_size: 0
    .sgpr_count:     18
    .sgpr_spill_count: 0
    .symbol:         _ZN4vllm3moe10topkGatingILi4ELi4ELi4ELi16ELi32EjfLNS0_11ScoringFuncE0EEEvPKT5_PKbPfiPT4_PiiiibPKf.kd
    .uniform_work_group_size: 1
    .uses_dynamic_stack: false
    .vgpr_count:     23
    .vgpr_spill_count: 0
    .wavefront_size: 32
    .workgroup_processor_mode: 1
  - .args:
      - .address_space:  global
        .offset:         0
        .size:           8
        .value_kind:     global_buffer
      - .address_space:  global
        .offset:         8
        .size:           8
        .value_kind:     global_buffer
      - .address_space:  global
        .offset:         16
        .size:           8
        .value_kind:     global_buffer
      - .offset:         24
        .size:           4
        .value_kind:     by_value
      - .address_space:  global
        .offset:         32
        .size:           8
        .value_kind:     global_buffer
      - .address_space:  global
        .offset:         40
        .size:           8
        .value_kind:     global_buffer
      - .offset:         48
        .size:           4
        .value_kind:     by_value
      - .offset:         52
        .size:           4
        .value_kind:     by_value
      - .offset:         56
        .size:           4
        .value_kind:     by_value
      - .offset:         60
        .size:           1
        .value_kind:     by_value
      - .address_space:  global
        .offset:         64
        .size:           8
        .value_kind:     global_buffer
    .group_segment_fixed_size: 0
    .kernarg_segment_align: 8
    .kernarg_segment_size: 72
    .language:       OpenCL C
    .language_version:
      - 2
      - 0
    .max_flat_workgroup_size: 256
    .name:           _ZN4vllm3moe10topkGatingILi4ELi8ELi4ELi16ELi64EjfLNS0_11ScoringFuncE0EEEvPKT5_PKbPfiPT4_PiiiibPKf
    .private_segment_fixed_size: 0
    .sgpr_count:     20
    .sgpr_spill_count: 0
    .symbol:         _ZN4vllm3moe10topkGatingILi4ELi8ELi4ELi16ELi64EjfLNS0_11ScoringFuncE0EEEvPKT5_PKbPfiPT4_PiiiibPKf.kd
    .uniform_work_group_size: 1
    .uses_dynamic_stack: false
    .vgpr_count:     25
    .vgpr_spill_count: 0
    .wavefront_size: 32
    .workgroup_processor_mode: 1
  - .args:
      - .address_space:  global
        .offset:         0
        .size:           8
        .value_kind:     global_buffer
      - .address_space:  global
        .offset:         8
        .size:           8
        .value_kind:     global_buffer
      - .address_space:  global
        .offset:         16
        .size:           8
        .value_kind:     global_buffer
      - .offset:         24
        .size:           4
        .value_kind:     by_value
      - .address_space:  global
        .offset:         32
        .size:           8
        .value_kind:     global_buffer
      - .address_space:  global
        .offset:         40
        .size:           8
        .value_kind:     global_buffer
      - .offset:         48
        .size:           4
        .value_kind:     by_value
      - .offset:         52
        .size:           4
        .value_kind:     by_value
      - .offset:         56
        .size:           4
        .value_kind:     by_value
      - .offset:         60
        .size:           1
        .value_kind:     by_value
      - .address_space:  global
        .offset:         64
        .size:           8
        .value_kind:     global_buffer
    .group_segment_fixed_size: 0
    .kernarg_segment_align: 8
    .kernarg_segment_size: 72
    .language:       OpenCL C
    .language_version:
      - 2
      - 0
    .max_flat_workgroup_size: 128
    .name:           _ZN4vllm3moe10topkGatingILi4ELi8ELi4ELi16ELi32EjfLNS0_11ScoringFuncE0EEEvPKT5_PKbPfiPT4_PiiiibPKf
    .private_segment_fixed_size: 0
    .sgpr_count:     20
    .sgpr_spill_count: 0
    .symbol:         _ZN4vllm3moe10topkGatingILi4ELi8ELi4ELi16ELi32EjfLNS0_11ScoringFuncE0EEEvPKT5_PKbPfiPT4_PiiiibPKf.kd
    .uniform_work_group_size: 1
    .uses_dynamic_stack: false
    .vgpr_count:     25
    .vgpr_spill_count: 0
    .wavefront_size: 32
    .workgroup_processor_mode: 1
  - .args:
      - .address_space:  global
        .offset:         0
        .size:           8
        .value_kind:     global_buffer
      - .address_space:  global
        .offset:         8
        .size:           8
        .value_kind:     global_buffer
      - .address_space:  global
        .offset:         16
        .size:           8
        .value_kind:     global_buffer
      - .offset:         24
        .size:           4
        .value_kind:     by_value
      - .address_space:  global
        .offset:         32
        .size:           8
        .value_kind:     global_buffer
      - .address_space:  global
        .offset:         40
        .size:           8
        .value_kind:     global_buffer
      - .offset:         48
        .size:           4
        .value_kind:     by_value
      - .offset:         52
        .size:           4
        .value_kind:     by_value
      - .offset:         56
        .size:           4
        .value_kind:     by_value
      - .offset:         60
        .size:           1
        .value_kind:     by_value
      - .address_space:  global
        .offset:         64
        .size:           8
        .value_kind:     global_buffer
    .group_segment_fixed_size: 0
    .kernarg_segment_align: 8
    .kernarg_segment_size: 72
    .language:       OpenCL C
    .language_version:
      - 2
      - 0
    .max_flat_workgroup_size: 256
    .name:           _ZN4vllm3moe10topkGatingILi4ELi16ELi4ELi16ELi64EjfLNS0_11ScoringFuncE0EEEvPKT5_PKbPfiPT4_PiiiibPKf
    .private_segment_fixed_size: 0
    .sgpr_count:     20
    .sgpr_spill_count: 0
    .symbol:         _ZN4vllm3moe10topkGatingILi4ELi16ELi4ELi16ELi64EjfLNS0_11ScoringFuncE0EEEvPKT5_PKbPfiPT4_PiiiibPKf.kd
    .uniform_work_group_size: 1
    .uses_dynamic_stack: false
    .vgpr_count:     26
    .vgpr_spill_count: 0
    .wavefront_size: 32
    .workgroup_processor_mode: 1
  - .args:
      - .address_space:  global
        .offset:         0
        .size:           8
        .value_kind:     global_buffer
      - .address_space:  global
        .offset:         8
        .size:           8
        .value_kind:     global_buffer
      - .address_space:  global
        .offset:         16
        .size:           8
        .value_kind:     global_buffer
      - .offset:         24
        .size:           4
        .value_kind:     by_value
      - .address_space:  global
        .offset:         32
        .size:           8
        .value_kind:     global_buffer
      - .address_space:  global
        .offset:         40
        .size:           8
        .value_kind:     global_buffer
      - .offset:         48
        .size:           4
        .value_kind:     by_value
      - .offset:         52
        .size:           4
        .value_kind:     by_value
      - .offset:         56
        .size:           4
        .value_kind:     by_value
      - .offset:         60
        .size:           1
        .value_kind:     by_value
      - .address_space:  global
        .offset:         64
        .size:           8
        .value_kind:     global_buffer
    .group_segment_fixed_size: 0
    .kernarg_segment_align: 8
    .kernarg_segment_size: 72
    .language:       OpenCL C
    .language_version:
      - 2
      - 0
    .max_flat_workgroup_size: 128
    .name:           _ZN4vllm3moe10topkGatingILi4ELi16ELi4ELi16ELi32EjfLNS0_11ScoringFuncE0EEEvPKT5_PKbPfiPT4_PiiiibPKf
    .private_segment_fixed_size: 0
    .sgpr_count:     20
    .sgpr_spill_count: 0
    .symbol:         _ZN4vllm3moe10topkGatingILi4ELi16ELi4ELi16ELi32EjfLNS0_11ScoringFuncE0EEEvPKT5_PKbPfiPT4_PiiiibPKf.kd
    .uniform_work_group_size: 1
    .uses_dynamic_stack: false
    .vgpr_count:     26
    .vgpr_spill_count: 0
    .wavefront_size: 32
    .workgroup_processor_mode: 1
  - .args:
      - .address_space:  global
        .offset:         0
        .size:           8
        .value_kind:     global_buffer
      - .address_space:  global
        .offset:         8
        .size:           8
        .value_kind:     global_buffer
      - .address_space:  global
        .offset:         16
        .size:           8
        .value_kind:     global_buffer
      - .offset:         24
        .size:           4
        .value_kind:     by_value
      - .address_space:  global
        .offset:         32
        .size:           8
        .value_kind:     global_buffer
      - .address_space:  global
        .offset:         40
        .size:           8
        .value_kind:     global_buffer
      - .offset:         48
        .size:           4
        .value_kind:     by_value
      - .offset:         52
        .size:           4
        .value_kind:     by_value
      - .offset:         56
        .size:           4
        .value_kind:     by_value
      - .offset:         60
        .size:           1
        .value_kind:     by_value
      - .address_space:  global
        .offset:         64
        .size:           8
        .value_kind:     global_buffer
    .group_segment_fixed_size: 0
    .kernarg_segment_align: 8
    .kernarg_segment_size: 72
    .language:       OpenCL C
    .language_version:
      - 2
      - 0
    .max_flat_workgroup_size: 256
    .name:           _ZN4vllm3moe10topkGatingILi4ELi32ELi4ELi16ELi64EjfLNS0_11ScoringFuncE0EEEvPKT5_PKbPfiPT4_PiiiibPKf
    .private_segment_fixed_size: 0
    .sgpr_count:     20
    .sgpr_spill_count: 0
    .symbol:         _ZN4vllm3moe10topkGatingILi4ELi32ELi4ELi16ELi64EjfLNS0_11ScoringFuncE0EEEvPKT5_PKbPfiPT4_PiiiibPKf.kd
    .uniform_work_group_size: 1
    .uses_dynamic_stack: false
    .vgpr_count:     27
    .vgpr_spill_count: 0
    .wavefront_size: 32
    .workgroup_processor_mode: 1
  - .args:
      - .address_space:  global
        .offset:         0
        .size:           8
        .value_kind:     global_buffer
      - .address_space:  global
        .offset:         8
        .size:           8
        .value_kind:     global_buffer
      - .address_space:  global
        .offset:         16
        .size:           8
        .value_kind:     global_buffer
      - .offset:         24
        .size:           4
        .value_kind:     by_value
      - .address_space:  global
        .offset:         32
        .size:           8
        .value_kind:     global_buffer
      - .address_space:  global
        .offset:         40
        .size:           8
        .value_kind:     global_buffer
      - .offset:         48
        .size:           4
        .value_kind:     by_value
      - .offset:         52
        .size:           4
        .value_kind:     by_value
      - .offset:         56
        .size:           4
        .value_kind:     by_value
      - .offset:         60
        .size:           1
        .value_kind:     by_value
      - .address_space:  global
        .offset:         64
        .size:           8
        .value_kind:     global_buffer
    .group_segment_fixed_size: 0
    .kernarg_segment_align: 8
    .kernarg_segment_size: 72
    .language:       OpenCL C
    .language_version:
      - 2
      - 0
    .max_flat_workgroup_size: 128
    .name:           _ZN4vllm3moe10topkGatingILi4ELi32ELi4ELi16ELi32EjfLNS0_11ScoringFuncE0EEEvPKT5_PKbPfiPT4_PiiiibPKf
    .private_segment_fixed_size: 0
    .sgpr_count:     20
    .sgpr_spill_count: 0
    .symbol:         _ZN4vllm3moe10topkGatingILi4ELi32ELi4ELi16ELi32EjfLNS0_11ScoringFuncE0EEEvPKT5_PKbPfiPT4_PiiiibPKf.kd
    .uniform_work_group_size: 1
    .uses_dynamic_stack: false
    .vgpr_count:     27
    .vgpr_spill_count: 0
    .wavefront_size: 32
    .workgroup_processor_mode: 1
  - .args:
      - .address_space:  global
        .offset:         0
        .size:           8
        .value_kind:     global_buffer
      - .address_space:  global
        .offset:         8
        .size:           8
        .value_kind:     global_buffer
      - .address_space:  global
        .offset:         16
        .size:           8
        .value_kind:     global_buffer
      - .offset:         24
        .size:           4
        .value_kind:     by_value
      - .address_space:  global
        .offset:         32
        .size:           8
        .value_kind:     global_buffer
      - .address_space:  global
        .offset:         40
        .size:           8
        .value_kind:     global_buffer
      - .offset:         48
        .size:           4
        .value_kind:     by_value
      - .offset:         52
        .size:           4
        .value_kind:     by_value
      - .offset:         56
        .size:           4
        .value_kind:     by_value
      - .offset:         60
        .size:           1
        .value_kind:     by_value
      - .address_space:  global
        .offset:         64
        .size:           8
        .value_kind:     global_buffer
    .group_segment_fixed_size: 0
    .kernarg_segment_align: 8
    .kernarg_segment_size: 72
    .language:       OpenCL C
    .language_version:
      - 2
      - 0
    .max_flat_workgroup_size: 256
    .name:           _ZN4vllm3moe10topkGatingILi4ELi64ELi4ELi16ELi64EjfLNS0_11ScoringFuncE0EEEvPKT5_PKbPfiPT4_PiiiibPKf
    .private_segment_fixed_size: 0
    .sgpr_count:     20
    .sgpr_spill_count: 0
    .symbol:         _ZN4vllm3moe10topkGatingILi4ELi64ELi4ELi16ELi64EjfLNS0_11ScoringFuncE0EEEvPKT5_PKbPfiPT4_PiiiibPKf.kd
    .uniform_work_group_size: 1
    .uses_dynamic_stack: false
    .vgpr_count:     28
    .vgpr_spill_count: 0
    .wavefront_size: 32
    .workgroup_processor_mode: 1
  - .args:
      - .address_space:  global
        .offset:         0
        .size:           8
        .value_kind:     global_buffer
      - .address_space:  global
        .offset:         8
        .size:           8
        .value_kind:     global_buffer
      - .address_space:  global
        .offset:         16
        .size:           8
        .value_kind:     global_buffer
      - .offset:         24
        .size:           4
        .value_kind:     by_value
      - .address_space:  global
        .offset:         32
        .size:           8
        .value_kind:     global_buffer
      - .address_space:  global
        .offset:         40
        .size:           8
        .value_kind:     global_buffer
      - .offset:         48
        .size:           4
        .value_kind:     by_value
      - .offset:         52
        .size:           4
        .value_kind:     by_value
      - .offset:         56
        .size:           4
        .value_kind:     by_value
      - .offset:         60
        .size:           1
        .value_kind:     by_value
      - .address_space:  global
        .offset:         64
        .size:           8
        .value_kind:     global_buffer
    .group_segment_fixed_size: 0
    .kernarg_segment_align: 8
    .kernarg_segment_size: 72
    .language:       OpenCL C
    .language_version:
      - 2
      - 0
    .max_flat_workgroup_size: 128
    .name:           _ZN4vllm3moe10topkGatingILi4ELi64ELi4ELi16ELi32EjfLNS0_11ScoringFuncE0EEEvPKT5_PKbPfiPT4_PiiiibPKf
    .private_segment_fixed_size: 0
    .sgpr_count:     20
    .sgpr_spill_count: 0
    .symbol:         _ZN4vllm3moe10topkGatingILi4ELi64ELi4ELi16ELi32EjfLNS0_11ScoringFuncE0EEEvPKT5_PKbPfiPT4_PiiiibPKf.kd
    .uniform_work_group_size: 1
    .uses_dynamic_stack: false
    .vgpr_count:     28
    .vgpr_spill_count: 0
    .wavefront_size: 32
    .workgroup_processor_mode: 1
  - .args:
      - .address_space:  global
        .offset:         0
        .size:           8
        .value_kind:     global_buffer
      - .address_space:  global
        .offset:         8
        .size:           8
        .value_kind:     global_buffer
      - .address_space:  global
        .offset:         16
        .size:           8
        .value_kind:     global_buffer
      - .offset:         24
        .size:           4
        .value_kind:     by_value
      - .address_space:  global
        .offset:         32
        .size:           8
        .value_kind:     global_buffer
      - .address_space:  global
        .offset:         40
        .size:           8
        .value_kind:     global_buffer
      - .offset:         48
        .size:           4
        .value_kind:     by_value
      - .offset:         52
        .size:           4
        .value_kind:     by_value
      - .offset:         56
        .size:           4
        .value_kind:     by_value
      - .offset:         60
        .size:           1
        .value_kind:     by_value
      - .address_space:  global
        .offset:         64
        .size:           8
        .value_kind:     global_buffer
    .group_segment_fixed_size: 0
    .kernarg_segment_align: 8
    .kernarg_segment_size: 72
    .language:       OpenCL C
    .language_version:
      - 2
      - 0
    .max_flat_workgroup_size: 256
    .name:           _ZN4vllm3moe10topkGatingILi4ELi128ELi4ELi16ELi64EjfLNS0_11ScoringFuncE0EEEvPKT5_PKbPfiPT4_PiiiibPKf
    .private_segment_fixed_size: 0
    .sgpr_count:     20
    .sgpr_spill_count: 0
    .symbol:         _ZN4vllm3moe10topkGatingILi4ELi128ELi4ELi16ELi64EjfLNS0_11ScoringFuncE0EEEvPKT5_PKbPfiPT4_PiiiibPKf.kd
    .uniform_work_group_size: 1
    .uses_dynamic_stack: false
    .vgpr_count:     29
    .vgpr_spill_count: 0
    .wavefront_size: 32
    .workgroup_processor_mode: 1
  - .args:
      - .address_space:  global
        .offset:         0
        .size:           8
        .value_kind:     global_buffer
      - .address_space:  global
        .offset:         8
        .size:           8
        .value_kind:     global_buffer
      - .address_space:  global
        .offset:         16
        .size:           8
        .value_kind:     global_buffer
      - .offset:         24
        .size:           4
        .value_kind:     by_value
      - .address_space:  global
        .offset:         32
        .size:           8
        .value_kind:     global_buffer
      - .address_space:  global
        .offset:         40
        .size:           8
        .value_kind:     global_buffer
      - .offset:         48
        .size:           4
        .value_kind:     by_value
      - .offset:         52
        .size:           4
        .value_kind:     by_value
      - .offset:         56
        .size:           4
        .value_kind:     by_value
      - .offset:         60
        .size:           1
        .value_kind:     by_value
      - .address_space:  global
        .offset:         64
        .size:           8
        .value_kind:     global_buffer
    .group_segment_fixed_size: 0
    .kernarg_segment_align: 8
    .kernarg_segment_size: 72
    .language:       OpenCL C
    .language_version:
      - 2
      - 0
    .max_flat_workgroup_size: 128
    .name:           _ZN4vllm3moe10topkGatingILi4ELi128ELi4ELi16ELi32EjfLNS0_11ScoringFuncE0EEEvPKT5_PKbPfiPT4_PiiiibPKf
    .private_segment_fixed_size: 0
    .sgpr_count:     20
    .sgpr_spill_count: 0
    .symbol:         _ZN4vllm3moe10topkGatingILi4ELi128ELi4ELi16ELi32EjfLNS0_11ScoringFuncE0EEEvPKT5_PKbPfiPT4_PiiiibPKf.kd
    .uniform_work_group_size: 1
    .uses_dynamic_stack: false
    .vgpr_count:     29
    .vgpr_spill_count: 0
    .wavefront_size: 32
    .workgroup_processor_mode: 1
  - .args:
      - .address_space:  global
        .offset:         0
        .size:           8
        .value_kind:     global_buffer
      - .address_space:  global
        .offset:         8
        .size:           8
        .value_kind:     global_buffer
      - .address_space:  global
        .offset:         16
        .size:           8
        .value_kind:     global_buffer
      - .offset:         24
        .size:           4
        .value_kind:     by_value
      - .address_space:  global
        .offset:         32
        .size:           8
        .value_kind:     global_buffer
      - .address_space:  global
        .offset:         40
        .size:           8
        .value_kind:     global_buffer
      - .offset:         48
        .size:           4
        .value_kind:     by_value
      - .offset:         52
        .size:           4
        .value_kind:     by_value
      - .offset:         56
        .size:           4
        .value_kind:     by_value
      - .offset:         60
        .size:           1
        .value_kind:     by_value
      - .address_space:  global
        .offset:         64
        .size:           8
        .value_kind:     global_buffer
    .group_segment_fixed_size: 0
    .kernarg_segment_align: 8
    .kernarg_segment_size: 72
    .language:       OpenCL C
    .language_version:
      - 2
      - 0
    .max_flat_workgroup_size: 256
    .name:           _ZN4vllm3moe10topkGatingILi4ELi256ELi4ELi16ELi64EjfLNS0_11ScoringFuncE0EEEvPKT5_PKbPfiPT4_PiiiibPKf
    .private_segment_fixed_size: 0
    .sgpr_count:     20
    .sgpr_spill_count: 0
    .symbol:         _ZN4vllm3moe10topkGatingILi4ELi256ELi4ELi16ELi64EjfLNS0_11ScoringFuncE0EEEvPKT5_PKbPfiPT4_PiiiibPKf.kd
    .uniform_work_group_size: 1
    .uses_dynamic_stack: false
    .vgpr_count:     30
    .vgpr_spill_count: 0
    .wavefront_size: 32
    .workgroup_processor_mode: 1
  - .args:
      - .address_space:  global
        .offset:         0
        .size:           8
        .value_kind:     global_buffer
      - .address_space:  global
        .offset:         8
        .size:           8
        .value_kind:     global_buffer
      - .address_space:  global
        .offset:         16
        .size:           8
        .value_kind:     global_buffer
      - .offset:         24
        .size:           4
        .value_kind:     by_value
      - .address_space:  global
        .offset:         32
        .size:           8
        .value_kind:     global_buffer
      - .address_space:  global
        .offset:         40
        .size:           8
        .value_kind:     global_buffer
      - .offset:         48
        .size:           4
        .value_kind:     by_value
      - .offset:         52
        .size:           4
        .value_kind:     by_value
      - .offset:         56
        .size:           4
        .value_kind:     by_value
      - .offset:         60
        .size:           1
        .value_kind:     by_value
      - .address_space:  global
        .offset:         64
        .size:           8
        .value_kind:     global_buffer
    .group_segment_fixed_size: 0
    .kernarg_segment_align: 8
    .kernarg_segment_size: 72
    .language:       OpenCL C
    .language_version:
      - 2
      - 0
    .max_flat_workgroup_size: 128
    .name:           _ZN4vllm3moe10topkGatingILi8ELi256ELi4ELi16ELi32EjfLNS0_11ScoringFuncE0EEEvPKT5_PKbPfiPT4_PiiiibPKf
    .private_segment_fixed_size: 0
    .sgpr_count:     20
    .sgpr_spill_count: 0
    .symbol:         _ZN4vllm3moe10topkGatingILi8ELi256ELi4ELi16ELi32EjfLNS0_11ScoringFuncE0EEEvPKT5_PKbPfiPT4_PiiiibPKf.kd
    .uniform_work_group_size: 1
    .uses_dynamic_stack: false
    .vgpr_count:     39
    .vgpr_spill_count: 0
    .wavefront_size: 32
    .workgroup_processor_mode: 1
  - .args:
      - .address_space:  global
        .offset:         0
        .size:           8
        .value_kind:     global_buffer
      - .address_space:  global
        .offset:         8
        .size:           8
        .value_kind:     global_buffer
      - .address_space:  global
        .offset:         16
        .size:           8
        .value_kind:     global_buffer
      - .offset:         24
        .size:           4
        .value_kind:     by_value
      - .address_space:  global
        .offset:         32
        .size:           8
        .value_kind:     global_buffer
      - .address_space:  global
        .offset:         40
        .size:           8
        .value_kind:     global_buffer
      - .offset:         48
        .size:           4
        .value_kind:     by_value
      - .offset:         52
        .size:           4
        .value_kind:     by_value
      - .offset:         56
        .size:           4
        .value_kind:     by_value
      - .offset:         60
        .size:           1
        .value_kind:     by_value
      - .address_space:  global
        .offset:         64
        .size:           8
        .value_kind:     global_buffer
    .group_segment_fixed_size: 0
    .kernarg_segment_align: 8
    .kernarg_segment_size: 72
    .language:       OpenCL C
    .language_version:
      - 2
      - 0
    .max_flat_workgroup_size: 256
    .name:           _ZN4vllm3moe10topkGatingILi8ELi512ELi4ELi16ELi64EjfLNS0_11ScoringFuncE0EEEvPKT5_PKbPfiPT4_PiiiibPKf
    .private_segment_fixed_size: 0
    .sgpr_count:     20
    .sgpr_spill_count: 0
    .symbol:         _ZN4vllm3moe10topkGatingILi8ELi512ELi4ELi16ELi64EjfLNS0_11ScoringFuncE0EEEvPKT5_PKbPfiPT4_PiiiibPKf.kd
    .uniform_work_group_size: 1
    .uses_dynamic_stack: false
    .vgpr_count:     40
    .vgpr_spill_count: 0
    .wavefront_size: 32
    .workgroup_processor_mode: 1
  - .args:
      - .address_space:  global
        .offset:         0
        .size:           8
        .value_kind:     global_buffer
      - .address_space:  global
        .offset:         8
        .size:           8
        .value_kind:     global_buffer
      - .address_space:  global
        .offset:         16
        .size:           8
        .value_kind:     global_buffer
      - .offset:         24
        .size:           4
        .value_kind:     by_value
      - .address_space:  global
        .offset:         32
        .size:           8
        .value_kind:     global_buffer
      - .address_space:  global
        .offset:         40
        .size:           8
        .value_kind:     global_buffer
      - .offset:         48
        .size:           4
        .value_kind:     by_value
      - .offset:         52
        .size:           4
        .value_kind:     by_value
      - .offset:         56
        .size:           4
        .value_kind:     by_value
      - .offset:         60
        .size:           1
        .value_kind:     by_value
      - .address_space:  global
        .offset:         64
        .size:           8
        .value_kind:     global_buffer
    .group_segment_fixed_size: 0
    .kernarg_segment_align: 8
    .kernarg_segment_size: 72
    .language:       OpenCL C
    .language_version:
      - 2
      - 0
    .max_flat_workgroup_size: 128
    .name:           _ZN4vllm3moe10topkGatingILi16ELi512ELi4ELi16ELi32EjfLNS0_11ScoringFuncE0EEEvPKT5_PKbPfiPT4_PiiiibPKf
    .private_segment_fixed_size: 0
    .sgpr_count:     20
    .sgpr_spill_count: 0
    .symbol:         _ZN4vllm3moe10topkGatingILi16ELi512ELi4ELi16ELi32EjfLNS0_11ScoringFuncE0EEEvPKT5_PKbPfiPT4_PiiiibPKf.kd
    .uniform_work_group_size: 1
    .uses_dynamic_stack: false
    .vgpr_count:     71
    .vgpr_spill_count: 0
    .wavefront_size: 32
    .workgroup_processor_mode: 1
  - .args:
      - .address_space:  global
        .offset:         0
        .size:           8
        .value_kind:     global_buffer
      - .address_space:  global
        .offset:         8
        .size:           8
        .value_kind:     global_buffer
      - .address_space:  global
        .offset:         16
        .size:           8
        .value_kind:     global_buffer
      - .address_space:  global
        .offset:         24
        .size:           8
        .value_kind:     global_buffer
      - .address_space:  global
        .offset:         32
        .size:           8
        .value_kind:     global_buffer
      - .offset:         40
        .size:           4
        .value_kind:     by_value
      - .offset:         44
        .size:           4
        .value_kind:     by_value
      - .offset:         48
        .size:           4
        .value_kind:     by_value
      - .offset:         52
        .size:           4
        .value_kind:     by_value
      - .offset:         56
        .size:           1
        .value_kind:     by_value
      - .address_space:  global
        .offset:         64
        .size:           8
        .value_kind:     global_buffer
      - .offset:         72
        .size:           4
        .value_kind:     hidden_block_count_x
      - .offset:         76
        .size:           4
        .value_kind:     hidden_block_count_y
      - .offset:         80
        .size:           4
        .value_kind:     hidden_block_count_z
      - .offset:         84
        .size:           2
        .value_kind:     hidden_group_size_x
      - .offset:         86
        .size:           2
        .value_kind:     hidden_group_size_y
      - .offset:         88
        .size:           2
        .value_kind:     hidden_group_size_z
      - .offset:         90
        .size:           2
        .value_kind:     hidden_remainder_x
      - .offset:         92
        .size:           2
        .value_kind:     hidden_remainder_y
      - .offset:         94
        .size:           2
        .value_kind:     hidden_remainder_z
      - .offset:         112
        .size:           8
        .value_kind:     hidden_global_offset_x
      - .offset:         120
        .size:           8
        .value_kind:     hidden_global_offset_y
      - .offset:         128
        .size:           8
        .value_kind:     hidden_global_offset_z
      - .offset:         136
        .size:           2
        .value_kind:     hidden_grid_dims
    .group_segment_fixed_size: 64
    .kernarg_segment_align: 8
    .kernarg_segment_size: 328
    .language:       OpenCL C
    .language_version:
      - 2
      - 0
    .max_flat_workgroup_size: 256
    .name:           _ZN4vllm3moe7moeTopKILi256EjEEvPKfPKbPfPT0_PiiiiibS3_
    .private_segment_fixed_size: 0
    .sgpr_count:     42
    .sgpr_spill_count: 0
    .symbol:         _ZN4vllm3moe7moeTopKILi256EjEEvPKfPKbPfPT0_PiiiiibS3_.kd
    .uniform_work_group_size: 1
    .uses_dynamic_stack: false
    .vgpr_count:     15
    .vgpr_spill_count: 0
    .wavefront_size: 32
    .workgroup_processor_mode: 1
  - .args:
      - .address_space:  global
        .offset:         0
        .size:           8
        .value_kind:     global_buffer
      - .address_space:  global
        .offset:         8
        .size:           8
        .value_kind:     global_buffer
      - .address_space:  global
        .offset:         16
        .size:           8
        .value_kind:     global_buffer
      - .offset:         24
        .size:           4
        .value_kind:     by_value
      - .address_space:  global
        .offset:         32
        .size:           8
        .value_kind:     global_buffer
      - .address_space:  global
        .offset:         40
        .size:           8
        .value_kind:     global_buffer
      - .offset:         48
        .size:           4
        .value_kind:     by_value
      - .offset:         52
        .size:           4
        .value_kind:     by_value
      - .offset:         56
        .size:           4
        .value_kind:     by_value
      - .offset:         60
        .size:           1
        .value_kind:     by_value
      - .address_space:  global
        .offset:         64
        .size:           8
        .value_kind:     global_buffer
    .group_segment_fixed_size: 0
    .kernarg_segment_align: 8
    .kernarg_segment_size: 72
    .language:       OpenCL C
    .language_version:
      - 2
      - 0
    .max_flat_workgroup_size: 256
    .name:           _ZN4vllm3moe10topkGatingILi1ELi1ELi4ELi4ELi64ElfLNS0_11ScoringFuncE0EEEvPKT5_PKbPfiPT4_PiiiibPKf
    .private_segment_fixed_size: 0
    .sgpr_count:     18
    .sgpr_spill_count: 0
    .symbol:         _ZN4vllm3moe10topkGatingILi1ELi1ELi4ELi4ELi64ElfLNS0_11ScoringFuncE0EEEvPKT5_PKbPfiPT4_PiiiibPKf.kd
    .uniform_work_group_size: 1
    .uses_dynamic_stack: false
    .vgpr_count:     14
    .vgpr_spill_count: 0
    .wavefront_size: 32
    .workgroup_processor_mode: 1
  - .args:
      - .address_space:  global
        .offset:         0
        .size:           8
        .value_kind:     global_buffer
      - .address_space:  global
        .offset:         8
        .size:           8
        .value_kind:     global_buffer
      - .address_space:  global
        .offset:         16
        .size:           8
        .value_kind:     global_buffer
      - .offset:         24
        .size:           4
        .value_kind:     by_value
      - .address_space:  global
        .offset:         32
        .size:           8
        .value_kind:     global_buffer
      - .address_space:  global
        .offset:         40
        .size:           8
        .value_kind:     global_buffer
      - .offset:         48
        .size:           4
        .value_kind:     by_value
      - .offset:         52
        .size:           4
        .value_kind:     by_value
      - .offset:         56
        .size:           4
        .value_kind:     by_value
      - .offset:         60
        .size:           1
        .value_kind:     by_value
      - .address_space:  global
        .offset:         64
        .size:           8
        .value_kind:     global_buffer
    .group_segment_fixed_size: 0
    .kernarg_segment_align: 8
    .kernarg_segment_size: 72
    .language:       OpenCL C
    .language_version:
      - 2
      - 0
    .max_flat_workgroup_size: 128
    .name:           _ZN4vllm3moe10topkGatingILi1ELi1ELi4ELi4ELi32ElfLNS0_11ScoringFuncE0EEEvPKT5_PKbPfiPT4_PiiiibPKf
    .private_segment_fixed_size: 0
    .sgpr_count:     18
    .sgpr_spill_count: 0
    .symbol:         _ZN4vllm3moe10topkGatingILi1ELi1ELi4ELi4ELi32ElfLNS0_11ScoringFuncE0EEEvPKT5_PKbPfiPT4_PiiiibPKf.kd
    .uniform_work_group_size: 1
    .uses_dynamic_stack: false
    .vgpr_count:     14
    .vgpr_spill_count: 0
    .wavefront_size: 32
    .workgroup_processor_mode: 1
  - .args:
      - .address_space:  global
        .offset:         0
        .size:           8
        .value_kind:     global_buffer
      - .address_space:  global
        .offset:         8
        .size:           8
        .value_kind:     global_buffer
      - .address_space:  global
        .offset:         16
        .size:           8
        .value_kind:     global_buffer
      - .offset:         24
        .size:           4
        .value_kind:     by_value
      - .address_space:  global
        .offset:         32
        .size:           8
        .value_kind:     global_buffer
      - .address_space:  global
        .offset:         40
        .size:           8
        .value_kind:     global_buffer
      - .offset:         48
        .size:           4
        .value_kind:     by_value
      - .offset:         52
        .size:           4
        .value_kind:     by_value
      - .offset:         56
        .size:           4
        .value_kind:     by_value
      - .offset:         60
        .size:           1
        .value_kind:     by_value
      - .address_space:  global
        .offset:         64
        .size:           8
        .value_kind:     global_buffer
    .group_segment_fixed_size: 0
    .kernarg_segment_align: 8
    .kernarg_segment_size: 72
    .language:       OpenCL C
    .language_version:
      - 2
      - 0
    .max_flat_workgroup_size: 256
    .name:           _ZN4vllm3moe10topkGatingILi2ELi2ELi4ELi8ELi64ElfLNS0_11ScoringFuncE0EEEvPKT5_PKbPfiPT4_PiiiibPKf
    .private_segment_fixed_size: 0
    .sgpr_count:     18
    .sgpr_spill_count: 0
    .symbol:         _ZN4vllm3moe10topkGatingILi2ELi2ELi4ELi8ELi64ElfLNS0_11ScoringFuncE0EEEvPKT5_PKbPfiPT4_PiiiibPKf.kd
    .uniform_work_group_size: 1
    .uses_dynamic_stack: false
    .vgpr_count:     18
    .vgpr_spill_count: 0
    .wavefront_size: 32
    .workgroup_processor_mode: 1
  - .args:
      - .address_space:  global
        .offset:         0
        .size:           8
        .value_kind:     global_buffer
      - .address_space:  global
        .offset:         8
        .size:           8
        .value_kind:     global_buffer
      - .address_space:  global
        .offset:         16
        .size:           8
        .value_kind:     global_buffer
      - .offset:         24
        .size:           4
        .value_kind:     by_value
      - .address_space:  global
        .offset:         32
        .size:           8
        .value_kind:     global_buffer
      - .address_space:  global
        .offset:         40
        .size:           8
        .value_kind:     global_buffer
      - .offset:         48
        .size:           4
        .value_kind:     by_value
      - .offset:         52
        .size:           4
        .value_kind:     by_value
      - .offset:         56
        .size:           4
        .value_kind:     by_value
      - .offset:         60
        .size:           1
        .value_kind:     by_value
      - .address_space:  global
        .offset:         64
        .size:           8
        .value_kind:     global_buffer
    .group_segment_fixed_size: 0
    .kernarg_segment_align: 8
    .kernarg_segment_size: 72
    .language:       OpenCL C
    .language_version:
      - 2
      - 0
    .max_flat_workgroup_size: 128
    .name:           _ZN4vllm3moe10topkGatingILi2ELi2ELi4ELi8ELi32ElfLNS0_11ScoringFuncE0EEEvPKT5_PKbPfiPT4_PiiiibPKf
    .private_segment_fixed_size: 0
    .sgpr_count:     18
    .sgpr_spill_count: 0
    .symbol:         _ZN4vllm3moe10topkGatingILi2ELi2ELi4ELi8ELi32ElfLNS0_11ScoringFuncE0EEEvPKT5_PKbPfiPT4_PiiiibPKf.kd
    .uniform_work_group_size: 1
    .uses_dynamic_stack: false
    .vgpr_count:     18
    .vgpr_spill_count: 0
    .wavefront_size: 32
    .workgroup_processor_mode: 1
  - .args:
      - .address_space:  global
        .offset:         0
        .size:           8
        .value_kind:     global_buffer
      - .address_space:  global
        .offset:         8
        .size:           8
        .value_kind:     global_buffer
      - .address_space:  global
        .offset:         16
        .size:           8
        .value_kind:     global_buffer
      - .offset:         24
        .size:           4
        .value_kind:     by_value
      - .address_space:  global
        .offset:         32
        .size:           8
        .value_kind:     global_buffer
      - .address_space:  global
        .offset:         40
        .size:           8
        .value_kind:     global_buffer
      - .offset:         48
        .size:           4
        .value_kind:     by_value
      - .offset:         52
        .size:           4
        .value_kind:     by_value
      - .offset:         56
        .size:           4
        .value_kind:     by_value
      - .offset:         60
        .size:           1
        .value_kind:     by_value
      - .address_space:  global
        .offset:         64
        .size:           8
        .value_kind:     global_buffer
    .group_segment_fixed_size: 0
    .kernarg_segment_align: 8
    .kernarg_segment_size: 72
    .language:       OpenCL C
    .language_version:
      - 2
      - 0
    .max_flat_workgroup_size: 256
    .name:           _ZN4vllm3moe10topkGatingILi4ELi4ELi4ELi16ELi64ElfLNS0_11ScoringFuncE0EEEvPKT5_PKbPfiPT4_PiiiibPKf
    .private_segment_fixed_size: 0
    .sgpr_count:     18
    .sgpr_spill_count: 0
    .symbol:         _ZN4vllm3moe10topkGatingILi4ELi4ELi4ELi16ELi64ElfLNS0_11ScoringFuncE0EEEvPKT5_PKbPfiPT4_PiiiibPKf.kd
    .uniform_work_group_size: 1
    .uses_dynamic_stack: false
    .vgpr_count:     24
    .vgpr_spill_count: 0
    .wavefront_size: 32
    .workgroup_processor_mode: 1
  - .args:
      - .address_space:  global
        .offset:         0
        .size:           8
        .value_kind:     global_buffer
      - .address_space:  global
        .offset:         8
        .size:           8
        .value_kind:     global_buffer
      - .address_space:  global
        .offset:         16
        .size:           8
        .value_kind:     global_buffer
      - .offset:         24
        .size:           4
        .value_kind:     by_value
      - .address_space:  global
        .offset:         32
        .size:           8
        .value_kind:     global_buffer
      - .address_space:  global
        .offset:         40
        .size:           8
        .value_kind:     global_buffer
      - .offset:         48
        .size:           4
        .value_kind:     by_value
      - .offset:         52
        .size:           4
        .value_kind:     by_value
      - .offset:         56
        .size:           4
        .value_kind:     by_value
      - .offset:         60
        .size:           1
        .value_kind:     by_value
      - .address_space:  global
        .offset:         64
        .size:           8
        .value_kind:     global_buffer
    .group_segment_fixed_size: 0
    .kernarg_segment_align: 8
    .kernarg_segment_size: 72
    .language:       OpenCL C
    .language_version:
      - 2
      - 0
    .max_flat_workgroup_size: 128
    .name:           _ZN4vllm3moe10topkGatingILi4ELi4ELi4ELi16ELi32ElfLNS0_11ScoringFuncE0EEEvPKT5_PKbPfiPT4_PiiiibPKf
    .private_segment_fixed_size: 0
    .sgpr_count:     18
    .sgpr_spill_count: 0
    .symbol:         _ZN4vllm3moe10topkGatingILi4ELi4ELi4ELi16ELi32ElfLNS0_11ScoringFuncE0EEEvPKT5_PKbPfiPT4_PiiiibPKf.kd
    .uniform_work_group_size: 1
    .uses_dynamic_stack: false
    .vgpr_count:     24
    .vgpr_spill_count: 0
    .wavefront_size: 32
    .workgroup_processor_mode: 1
  - .args:
      - .address_space:  global
        .offset:         0
        .size:           8
        .value_kind:     global_buffer
      - .address_space:  global
        .offset:         8
        .size:           8
        .value_kind:     global_buffer
      - .address_space:  global
        .offset:         16
        .size:           8
        .value_kind:     global_buffer
      - .offset:         24
        .size:           4
        .value_kind:     by_value
      - .address_space:  global
        .offset:         32
        .size:           8
        .value_kind:     global_buffer
      - .address_space:  global
        .offset:         40
        .size:           8
        .value_kind:     global_buffer
      - .offset:         48
        .size:           4
        .value_kind:     by_value
      - .offset:         52
        .size:           4
        .value_kind:     by_value
      - .offset:         56
        .size:           4
        .value_kind:     by_value
      - .offset:         60
        .size:           1
        .value_kind:     by_value
      - .address_space:  global
        .offset:         64
        .size:           8
        .value_kind:     global_buffer
    .group_segment_fixed_size: 0
    .kernarg_segment_align: 8
    .kernarg_segment_size: 72
    .language:       OpenCL C
    .language_version:
      - 2
      - 0
    .max_flat_workgroup_size: 256
    .name:           _ZN4vllm3moe10topkGatingILi4ELi8ELi4ELi16ELi64ElfLNS0_11ScoringFuncE0EEEvPKT5_PKbPfiPT4_PiiiibPKf
    .private_segment_fixed_size: 0
    .sgpr_count:     20
    .sgpr_spill_count: 0
    .symbol:         _ZN4vllm3moe10topkGatingILi4ELi8ELi4ELi16ELi64ElfLNS0_11ScoringFuncE0EEEvPKT5_PKbPfiPT4_PiiiibPKf.kd
    .uniform_work_group_size: 1
    .uses_dynamic_stack: false
    .vgpr_count:     26
    .vgpr_spill_count: 0
    .wavefront_size: 32
    .workgroup_processor_mode: 1
  - .args:
      - .address_space:  global
        .offset:         0
        .size:           8
        .value_kind:     global_buffer
      - .address_space:  global
        .offset:         8
        .size:           8
        .value_kind:     global_buffer
      - .address_space:  global
        .offset:         16
        .size:           8
        .value_kind:     global_buffer
      - .offset:         24
        .size:           4
        .value_kind:     by_value
      - .address_space:  global
        .offset:         32
        .size:           8
        .value_kind:     global_buffer
      - .address_space:  global
        .offset:         40
        .size:           8
        .value_kind:     global_buffer
      - .offset:         48
        .size:           4
        .value_kind:     by_value
      - .offset:         52
        .size:           4
        .value_kind:     by_value
      - .offset:         56
        .size:           4
        .value_kind:     by_value
      - .offset:         60
        .size:           1
        .value_kind:     by_value
      - .address_space:  global
        .offset:         64
        .size:           8
        .value_kind:     global_buffer
    .group_segment_fixed_size: 0
    .kernarg_segment_align: 8
    .kernarg_segment_size: 72
    .language:       OpenCL C
    .language_version:
      - 2
      - 0
    .max_flat_workgroup_size: 128
    .name:           _ZN4vllm3moe10topkGatingILi4ELi8ELi4ELi16ELi32ElfLNS0_11ScoringFuncE0EEEvPKT5_PKbPfiPT4_PiiiibPKf
    .private_segment_fixed_size: 0
    .sgpr_count:     20
    .sgpr_spill_count: 0
    .symbol:         _ZN4vllm3moe10topkGatingILi4ELi8ELi4ELi16ELi32ElfLNS0_11ScoringFuncE0EEEvPKT5_PKbPfiPT4_PiiiibPKf.kd
    .uniform_work_group_size: 1
    .uses_dynamic_stack: false
    .vgpr_count:     26
    .vgpr_spill_count: 0
    .wavefront_size: 32
    .workgroup_processor_mode: 1
  - .args:
      - .address_space:  global
        .offset:         0
        .size:           8
        .value_kind:     global_buffer
      - .address_space:  global
        .offset:         8
        .size:           8
        .value_kind:     global_buffer
      - .address_space:  global
        .offset:         16
        .size:           8
        .value_kind:     global_buffer
      - .offset:         24
        .size:           4
        .value_kind:     by_value
      - .address_space:  global
        .offset:         32
        .size:           8
        .value_kind:     global_buffer
      - .address_space:  global
        .offset:         40
        .size:           8
        .value_kind:     global_buffer
      - .offset:         48
        .size:           4
        .value_kind:     by_value
      - .offset:         52
        .size:           4
        .value_kind:     by_value
      - .offset:         56
        .size:           4
        .value_kind:     by_value
      - .offset:         60
        .size:           1
        .value_kind:     by_value
      - .address_space:  global
        .offset:         64
        .size:           8
        .value_kind:     global_buffer
    .group_segment_fixed_size: 0
    .kernarg_segment_align: 8
    .kernarg_segment_size: 72
    .language:       OpenCL C
    .language_version:
      - 2
      - 0
    .max_flat_workgroup_size: 256
    .name:           _ZN4vllm3moe10topkGatingILi4ELi16ELi4ELi16ELi64ElfLNS0_11ScoringFuncE0EEEvPKT5_PKbPfiPT4_PiiiibPKf
    .private_segment_fixed_size: 0
    .sgpr_count:     20
    .sgpr_spill_count: 0
    .symbol:         _ZN4vllm3moe10topkGatingILi4ELi16ELi4ELi16ELi64ElfLNS0_11ScoringFuncE0EEEvPKT5_PKbPfiPT4_PiiiibPKf.kd
    .uniform_work_group_size: 1
    .uses_dynamic_stack: false
    .vgpr_count:     27
    .vgpr_spill_count: 0
    .wavefront_size: 32
    .workgroup_processor_mode: 1
  - .args:
      - .address_space:  global
        .offset:         0
        .size:           8
        .value_kind:     global_buffer
      - .address_space:  global
        .offset:         8
        .size:           8
        .value_kind:     global_buffer
      - .address_space:  global
        .offset:         16
        .size:           8
        .value_kind:     global_buffer
      - .offset:         24
        .size:           4
        .value_kind:     by_value
      - .address_space:  global
        .offset:         32
        .size:           8
        .value_kind:     global_buffer
      - .address_space:  global
        .offset:         40
        .size:           8
        .value_kind:     global_buffer
      - .offset:         48
        .size:           4
        .value_kind:     by_value
      - .offset:         52
        .size:           4
        .value_kind:     by_value
      - .offset:         56
        .size:           4
        .value_kind:     by_value
      - .offset:         60
        .size:           1
        .value_kind:     by_value
      - .address_space:  global
        .offset:         64
        .size:           8
        .value_kind:     global_buffer
    .group_segment_fixed_size: 0
    .kernarg_segment_align: 8
    .kernarg_segment_size: 72
    .language:       OpenCL C
    .language_version:
      - 2
      - 0
    .max_flat_workgroup_size: 128
    .name:           _ZN4vllm3moe10topkGatingILi4ELi16ELi4ELi16ELi32ElfLNS0_11ScoringFuncE0EEEvPKT5_PKbPfiPT4_PiiiibPKf
    .private_segment_fixed_size: 0
    .sgpr_count:     20
    .sgpr_spill_count: 0
    .symbol:         _ZN4vllm3moe10topkGatingILi4ELi16ELi4ELi16ELi32ElfLNS0_11ScoringFuncE0EEEvPKT5_PKbPfiPT4_PiiiibPKf.kd
    .uniform_work_group_size: 1
    .uses_dynamic_stack: false
    .vgpr_count:     27
    .vgpr_spill_count: 0
    .wavefront_size: 32
    .workgroup_processor_mode: 1
  - .args:
      - .address_space:  global
        .offset:         0
        .size:           8
        .value_kind:     global_buffer
      - .address_space:  global
        .offset:         8
        .size:           8
        .value_kind:     global_buffer
      - .address_space:  global
        .offset:         16
        .size:           8
        .value_kind:     global_buffer
      - .offset:         24
        .size:           4
        .value_kind:     by_value
      - .address_space:  global
        .offset:         32
        .size:           8
        .value_kind:     global_buffer
      - .address_space:  global
        .offset:         40
        .size:           8
        .value_kind:     global_buffer
      - .offset:         48
        .size:           4
        .value_kind:     by_value
      - .offset:         52
        .size:           4
        .value_kind:     by_value
      - .offset:         56
        .size:           4
        .value_kind:     by_value
      - .offset:         60
        .size:           1
        .value_kind:     by_value
      - .address_space:  global
        .offset:         64
        .size:           8
        .value_kind:     global_buffer
    .group_segment_fixed_size: 0
    .kernarg_segment_align: 8
    .kernarg_segment_size: 72
    .language:       OpenCL C
    .language_version:
      - 2
      - 0
    .max_flat_workgroup_size: 256
    .name:           _ZN4vllm3moe10topkGatingILi4ELi32ELi4ELi16ELi64ElfLNS0_11ScoringFuncE0EEEvPKT5_PKbPfiPT4_PiiiibPKf
    .private_segment_fixed_size: 0
    .sgpr_count:     20
    .sgpr_spill_count: 0
    .symbol:         _ZN4vllm3moe10topkGatingILi4ELi32ELi4ELi16ELi64ElfLNS0_11ScoringFuncE0EEEvPKT5_PKbPfiPT4_PiiiibPKf.kd
    .uniform_work_group_size: 1
    .uses_dynamic_stack: false
    .vgpr_count:     28
    .vgpr_spill_count: 0
    .wavefront_size: 32
    .workgroup_processor_mode: 1
  - .args:
      - .address_space:  global
        .offset:         0
        .size:           8
        .value_kind:     global_buffer
      - .address_space:  global
        .offset:         8
        .size:           8
        .value_kind:     global_buffer
      - .address_space:  global
        .offset:         16
        .size:           8
        .value_kind:     global_buffer
      - .offset:         24
        .size:           4
        .value_kind:     by_value
      - .address_space:  global
        .offset:         32
        .size:           8
        .value_kind:     global_buffer
      - .address_space:  global
        .offset:         40
        .size:           8
        .value_kind:     global_buffer
      - .offset:         48
        .size:           4
        .value_kind:     by_value
      - .offset:         52
        .size:           4
        .value_kind:     by_value
      - .offset:         56
        .size:           4
        .value_kind:     by_value
      - .offset:         60
        .size:           1
        .value_kind:     by_value
      - .address_space:  global
        .offset:         64
        .size:           8
        .value_kind:     global_buffer
    .group_segment_fixed_size: 0
    .kernarg_segment_align: 8
    .kernarg_segment_size: 72
    .language:       OpenCL C
    .language_version:
      - 2
      - 0
    .max_flat_workgroup_size: 128
    .name:           _ZN4vllm3moe10topkGatingILi4ELi32ELi4ELi16ELi32ElfLNS0_11ScoringFuncE0EEEvPKT5_PKbPfiPT4_PiiiibPKf
    .private_segment_fixed_size: 0
    .sgpr_count:     20
    .sgpr_spill_count: 0
    .symbol:         _ZN4vllm3moe10topkGatingILi4ELi32ELi4ELi16ELi32ElfLNS0_11ScoringFuncE0EEEvPKT5_PKbPfiPT4_PiiiibPKf.kd
    .uniform_work_group_size: 1
    .uses_dynamic_stack: false
    .vgpr_count:     28
    .vgpr_spill_count: 0
    .wavefront_size: 32
    .workgroup_processor_mode: 1
  - .args:
      - .address_space:  global
        .offset:         0
        .size:           8
        .value_kind:     global_buffer
      - .address_space:  global
        .offset:         8
        .size:           8
        .value_kind:     global_buffer
      - .address_space:  global
        .offset:         16
        .size:           8
        .value_kind:     global_buffer
      - .offset:         24
        .size:           4
        .value_kind:     by_value
      - .address_space:  global
        .offset:         32
        .size:           8
        .value_kind:     global_buffer
      - .address_space:  global
        .offset:         40
        .size:           8
        .value_kind:     global_buffer
      - .offset:         48
        .size:           4
        .value_kind:     by_value
      - .offset:         52
        .size:           4
        .value_kind:     by_value
      - .offset:         56
        .size:           4
        .value_kind:     by_value
      - .offset:         60
        .size:           1
        .value_kind:     by_value
      - .address_space:  global
        .offset:         64
        .size:           8
        .value_kind:     global_buffer
    .group_segment_fixed_size: 0
    .kernarg_segment_align: 8
    .kernarg_segment_size: 72
    .language:       OpenCL C
    .language_version:
      - 2
      - 0
    .max_flat_workgroup_size: 256
    .name:           _ZN4vllm3moe10topkGatingILi4ELi64ELi4ELi16ELi64ElfLNS0_11ScoringFuncE0EEEvPKT5_PKbPfiPT4_PiiiibPKf
    .private_segment_fixed_size: 0
    .sgpr_count:     20
    .sgpr_spill_count: 0
    .symbol:         _ZN4vllm3moe10topkGatingILi4ELi64ELi4ELi16ELi64ElfLNS0_11ScoringFuncE0EEEvPKT5_PKbPfiPT4_PiiiibPKf.kd
    .uniform_work_group_size: 1
    .uses_dynamic_stack: false
    .vgpr_count:     29
    .vgpr_spill_count: 0
    .wavefront_size: 32
    .workgroup_processor_mode: 1
  - .args:
      - .address_space:  global
        .offset:         0
        .size:           8
        .value_kind:     global_buffer
      - .address_space:  global
        .offset:         8
        .size:           8
        .value_kind:     global_buffer
      - .address_space:  global
        .offset:         16
        .size:           8
        .value_kind:     global_buffer
      - .offset:         24
        .size:           4
        .value_kind:     by_value
      - .address_space:  global
        .offset:         32
        .size:           8
        .value_kind:     global_buffer
      - .address_space:  global
        .offset:         40
        .size:           8
        .value_kind:     global_buffer
      - .offset:         48
        .size:           4
        .value_kind:     by_value
      - .offset:         52
        .size:           4
        .value_kind:     by_value
      - .offset:         56
        .size:           4
        .value_kind:     by_value
      - .offset:         60
        .size:           1
        .value_kind:     by_value
      - .address_space:  global
        .offset:         64
        .size:           8
        .value_kind:     global_buffer
    .group_segment_fixed_size: 0
    .kernarg_segment_align: 8
    .kernarg_segment_size: 72
    .language:       OpenCL C
    .language_version:
      - 2
      - 0
    .max_flat_workgroup_size: 128
    .name:           _ZN4vllm3moe10topkGatingILi4ELi64ELi4ELi16ELi32ElfLNS0_11ScoringFuncE0EEEvPKT5_PKbPfiPT4_PiiiibPKf
    .private_segment_fixed_size: 0
    .sgpr_count:     20
    .sgpr_spill_count: 0
    .symbol:         _ZN4vllm3moe10topkGatingILi4ELi64ELi4ELi16ELi32ElfLNS0_11ScoringFuncE0EEEvPKT5_PKbPfiPT4_PiiiibPKf.kd
    .uniform_work_group_size: 1
    .uses_dynamic_stack: false
    .vgpr_count:     29
    .vgpr_spill_count: 0
    .wavefront_size: 32
    .workgroup_processor_mode: 1
  - .args:
      - .address_space:  global
        .offset:         0
        .size:           8
        .value_kind:     global_buffer
      - .address_space:  global
        .offset:         8
        .size:           8
        .value_kind:     global_buffer
      - .address_space:  global
        .offset:         16
        .size:           8
        .value_kind:     global_buffer
      - .offset:         24
        .size:           4
        .value_kind:     by_value
      - .address_space:  global
        .offset:         32
        .size:           8
        .value_kind:     global_buffer
      - .address_space:  global
        .offset:         40
        .size:           8
        .value_kind:     global_buffer
      - .offset:         48
        .size:           4
        .value_kind:     by_value
      - .offset:         52
        .size:           4
        .value_kind:     by_value
      - .offset:         56
        .size:           4
        .value_kind:     by_value
      - .offset:         60
        .size:           1
        .value_kind:     by_value
      - .address_space:  global
        .offset:         64
        .size:           8
        .value_kind:     global_buffer
    .group_segment_fixed_size: 0
    .kernarg_segment_align: 8
    .kernarg_segment_size: 72
    .language:       OpenCL C
    .language_version:
      - 2
      - 0
    .max_flat_workgroup_size: 256
    .name:           _ZN4vllm3moe10topkGatingILi4ELi128ELi4ELi16ELi64ElfLNS0_11ScoringFuncE0EEEvPKT5_PKbPfiPT4_PiiiibPKf
    .private_segment_fixed_size: 0
    .sgpr_count:     20
    .sgpr_spill_count: 0
    .symbol:         _ZN4vllm3moe10topkGatingILi4ELi128ELi4ELi16ELi64ElfLNS0_11ScoringFuncE0EEEvPKT5_PKbPfiPT4_PiiiibPKf.kd
    .uniform_work_group_size: 1
    .uses_dynamic_stack: false
    .vgpr_count:     30
    .vgpr_spill_count: 0
    .wavefront_size: 32
    .workgroup_processor_mode: 1
  - .args:
      - .address_space:  global
        .offset:         0
        .size:           8
        .value_kind:     global_buffer
      - .address_space:  global
        .offset:         8
        .size:           8
        .value_kind:     global_buffer
      - .address_space:  global
        .offset:         16
        .size:           8
        .value_kind:     global_buffer
      - .offset:         24
        .size:           4
        .value_kind:     by_value
      - .address_space:  global
        .offset:         32
        .size:           8
        .value_kind:     global_buffer
      - .address_space:  global
        .offset:         40
        .size:           8
        .value_kind:     global_buffer
      - .offset:         48
        .size:           4
        .value_kind:     by_value
      - .offset:         52
        .size:           4
        .value_kind:     by_value
      - .offset:         56
        .size:           4
        .value_kind:     by_value
      - .offset:         60
        .size:           1
        .value_kind:     by_value
      - .address_space:  global
        .offset:         64
        .size:           8
        .value_kind:     global_buffer
    .group_segment_fixed_size: 0
    .kernarg_segment_align: 8
    .kernarg_segment_size: 72
    .language:       OpenCL C
    .language_version:
      - 2
      - 0
    .max_flat_workgroup_size: 128
    .name:           _ZN4vllm3moe10topkGatingILi4ELi128ELi4ELi16ELi32ElfLNS0_11ScoringFuncE0EEEvPKT5_PKbPfiPT4_PiiiibPKf
    .private_segment_fixed_size: 0
    .sgpr_count:     20
    .sgpr_spill_count: 0
    .symbol:         _ZN4vllm3moe10topkGatingILi4ELi128ELi4ELi16ELi32ElfLNS0_11ScoringFuncE0EEEvPKT5_PKbPfiPT4_PiiiibPKf.kd
    .uniform_work_group_size: 1
    .uses_dynamic_stack: false
    .vgpr_count:     30
    .vgpr_spill_count: 0
    .wavefront_size: 32
    .workgroup_processor_mode: 1
  - .args:
      - .address_space:  global
        .offset:         0
        .size:           8
        .value_kind:     global_buffer
      - .address_space:  global
        .offset:         8
        .size:           8
        .value_kind:     global_buffer
      - .address_space:  global
        .offset:         16
        .size:           8
        .value_kind:     global_buffer
      - .offset:         24
        .size:           4
        .value_kind:     by_value
      - .address_space:  global
        .offset:         32
        .size:           8
        .value_kind:     global_buffer
      - .address_space:  global
        .offset:         40
        .size:           8
        .value_kind:     global_buffer
      - .offset:         48
        .size:           4
        .value_kind:     by_value
      - .offset:         52
        .size:           4
        .value_kind:     by_value
      - .offset:         56
        .size:           4
        .value_kind:     by_value
      - .offset:         60
        .size:           1
        .value_kind:     by_value
      - .address_space:  global
        .offset:         64
        .size:           8
        .value_kind:     global_buffer
    .group_segment_fixed_size: 0
    .kernarg_segment_align: 8
    .kernarg_segment_size: 72
    .language:       OpenCL C
    .language_version:
      - 2
      - 0
    .max_flat_workgroup_size: 256
    .name:           _ZN4vllm3moe10topkGatingILi4ELi256ELi4ELi16ELi64ElfLNS0_11ScoringFuncE0EEEvPKT5_PKbPfiPT4_PiiiibPKf
    .private_segment_fixed_size: 0
    .sgpr_count:     20
    .sgpr_spill_count: 0
    .symbol:         _ZN4vllm3moe10topkGatingILi4ELi256ELi4ELi16ELi64ElfLNS0_11ScoringFuncE0EEEvPKT5_PKbPfiPT4_PiiiibPKf.kd
    .uniform_work_group_size: 1
    .uses_dynamic_stack: false
    .vgpr_count:     31
    .vgpr_spill_count: 0
    .wavefront_size: 32
    .workgroup_processor_mode: 1
  - .args:
      - .address_space:  global
        .offset:         0
        .size:           8
        .value_kind:     global_buffer
      - .address_space:  global
        .offset:         8
        .size:           8
        .value_kind:     global_buffer
      - .address_space:  global
        .offset:         16
        .size:           8
        .value_kind:     global_buffer
      - .offset:         24
        .size:           4
        .value_kind:     by_value
      - .address_space:  global
        .offset:         32
        .size:           8
        .value_kind:     global_buffer
      - .address_space:  global
        .offset:         40
        .size:           8
        .value_kind:     global_buffer
      - .offset:         48
        .size:           4
        .value_kind:     by_value
      - .offset:         52
        .size:           4
        .value_kind:     by_value
      - .offset:         56
        .size:           4
        .value_kind:     by_value
      - .offset:         60
        .size:           1
        .value_kind:     by_value
      - .address_space:  global
        .offset:         64
        .size:           8
        .value_kind:     global_buffer
    .group_segment_fixed_size: 0
    .kernarg_segment_align: 8
    .kernarg_segment_size: 72
    .language:       OpenCL C
    .language_version:
      - 2
      - 0
    .max_flat_workgroup_size: 128
    .name:           _ZN4vllm3moe10topkGatingILi8ELi256ELi4ELi16ELi32ElfLNS0_11ScoringFuncE0EEEvPKT5_PKbPfiPT4_PiiiibPKf
    .private_segment_fixed_size: 0
    .sgpr_count:     20
    .sgpr_spill_count: 0
    .symbol:         _ZN4vllm3moe10topkGatingILi8ELi256ELi4ELi16ELi32ElfLNS0_11ScoringFuncE0EEEvPKT5_PKbPfiPT4_PiiiibPKf.kd
    .uniform_work_group_size: 1
    .uses_dynamic_stack: false
    .vgpr_count:     39
    .vgpr_spill_count: 0
    .wavefront_size: 32
    .workgroup_processor_mode: 1
  - .args:
      - .address_space:  global
        .offset:         0
        .size:           8
        .value_kind:     global_buffer
      - .address_space:  global
        .offset:         8
        .size:           8
        .value_kind:     global_buffer
      - .address_space:  global
        .offset:         16
        .size:           8
        .value_kind:     global_buffer
      - .offset:         24
        .size:           4
        .value_kind:     by_value
      - .address_space:  global
        .offset:         32
        .size:           8
        .value_kind:     global_buffer
      - .address_space:  global
        .offset:         40
        .size:           8
        .value_kind:     global_buffer
      - .offset:         48
        .size:           4
        .value_kind:     by_value
      - .offset:         52
        .size:           4
        .value_kind:     by_value
      - .offset:         56
        .size:           4
        .value_kind:     by_value
      - .offset:         60
        .size:           1
        .value_kind:     by_value
      - .address_space:  global
        .offset:         64
        .size:           8
        .value_kind:     global_buffer
    .group_segment_fixed_size: 0
    .kernarg_segment_align: 8
    .kernarg_segment_size: 72
    .language:       OpenCL C
    .language_version:
      - 2
      - 0
    .max_flat_workgroup_size: 256
    .name:           _ZN4vllm3moe10topkGatingILi8ELi512ELi4ELi16ELi64ElfLNS0_11ScoringFuncE0EEEvPKT5_PKbPfiPT4_PiiiibPKf
    .private_segment_fixed_size: 0
    .sgpr_count:     20
    .sgpr_spill_count: 0
    .symbol:         _ZN4vllm3moe10topkGatingILi8ELi512ELi4ELi16ELi64ElfLNS0_11ScoringFuncE0EEEvPKT5_PKbPfiPT4_PiiiibPKf.kd
    .uniform_work_group_size: 1
    .uses_dynamic_stack: false
    .vgpr_count:     40
    .vgpr_spill_count: 0
    .wavefront_size: 32
    .workgroup_processor_mode: 1
  - .args:
      - .address_space:  global
        .offset:         0
        .size:           8
        .value_kind:     global_buffer
      - .address_space:  global
        .offset:         8
        .size:           8
        .value_kind:     global_buffer
      - .address_space:  global
        .offset:         16
        .size:           8
        .value_kind:     global_buffer
      - .offset:         24
        .size:           4
        .value_kind:     by_value
      - .address_space:  global
        .offset:         32
        .size:           8
        .value_kind:     global_buffer
      - .address_space:  global
        .offset:         40
        .size:           8
        .value_kind:     global_buffer
      - .offset:         48
        .size:           4
        .value_kind:     by_value
      - .offset:         52
        .size:           4
        .value_kind:     by_value
      - .offset:         56
        .size:           4
        .value_kind:     by_value
      - .offset:         60
        .size:           1
        .value_kind:     by_value
      - .address_space:  global
        .offset:         64
        .size:           8
        .value_kind:     global_buffer
    .group_segment_fixed_size: 0
    .kernarg_segment_align: 8
    .kernarg_segment_size: 72
    .language:       OpenCL C
    .language_version:
      - 2
      - 0
    .max_flat_workgroup_size: 128
    .name:           _ZN4vllm3moe10topkGatingILi16ELi512ELi4ELi16ELi32ElfLNS0_11ScoringFuncE0EEEvPKT5_PKbPfiPT4_PiiiibPKf
    .private_segment_fixed_size: 0
    .sgpr_count:     20
    .sgpr_spill_count: 0
    .symbol:         _ZN4vllm3moe10topkGatingILi16ELi512ELi4ELi16ELi32ElfLNS0_11ScoringFuncE0EEEvPKT5_PKbPfiPT4_PiiiibPKf.kd
    .uniform_work_group_size: 1
    .uses_dynamic_stack: false
    .vgpr_count:     71
    .vgpr_spill_count: 0
    .wavefront_size: 32
    .workgroup_processor_mode: 1
  - .args:
      - .address_space:  global
        .offset:         0
        .size:           8
        .value_kind:     global_buffer
      - .address_space:  global
        .offset:         8
        .size:           8
        .value_kind:     global_buffer
      - .address_space:  global
        .offset:         16
        .size:           8
        .value_kind:     global_buffer
      - .address_space:  global
        .offset:         24
        .size:           8
        .value_kind:     global_buffer
      - .address_space:  global
        .offset:         32
        .size:           8
        .value_kind:     global_buffer
      - .offset:         40
        .size:           4
        .value_kind:     by_value
      - .offset:         44
        .size:           4
        .value_kind:     by_value
      - .offset:         48
        .size:           4
        .value_kind:     by_value
      - .offset:         52
        .size:           4
        .value_kind:     by_value
      - .offset:         56
        .size:           1
        .value_kind:     by_value
      - .address_space:  global
        .offset:         64
        .size:           8
        .value_kind:     global_buffer
      - .offset:         72
        .size:           4
        .value_kind:     hidden_block_count_x
      - .offset:         76
        .size:           4
        .value_kind:     hidden_block_count_y
      - .offset:         80
        .size:           4
        .value_kind:     hidden_block_count_z
      - .offset:         84
        .size:           2
        .value_kind:     hidden_group_size_x
      - .offset:         86
        .size:           2
        .value_kind:     hidden_group_size_y
      - .offset:         88
        .size:           2
        .value_kind:     hidden_group_size_z
      - .offset:         90
        .size:           2
        .value_kind:     hidden_remainder_x
      - .offset:         92
        .size:           2
        .value_kind:     hidden_remainder_y
      - .offset:         94
        .size:           2
        .value_kind:     hidden_remainder_z
      - .offset:         112
        .size:           8
        .value_kind:     hidden_global_offset_x
      - .offset:         120
        .size:           8
        .value_kind:     hidden_global_offset_y
      - .offset:         128
        .size:           8
        .value_kind:     hidden_global_offset_z
      - .offset:         136
        .size:           2
        .value_kind:     hidden_grid_dims
      - .offset:         152
        .size:           8
        .value_kind:     hidden_hostcall_buffer
    .group_segment_fixed_size: 64
    .kernarg_segment_align: 8
    .kernarg_segment_size: 328
    .language:       OpenCL C
    .language_version:
      - 2
      - 0
    .max_flat_workgroup_size: 256
    .name:           _ZN4vllm3moe7moeTopKILi256ElEEvPKfPKbPfPT0_PiiiiibS3_
    .private_segment_fixed_size: 64
    .sgpr_count:     46
    .sgpr_spill_count: 0
    .symbol:         _ZN4vllm3moe7moeTopKILi256ElEEvPKfPKbPfPT0_PiiiiibS3_.kd
    .uniform_work_group_size: 1
    .uses_dynamic_stack: false
    .vgpr_count:     41
    .vgpr_spill_count: 0
    .wavefront_size: 32
    .workgroup_processor_mode: 1
  - .args:
      - .address_space:  global
        .offset:         0
        .size:           8
        .value_kind:     global_buffer
      - .address_space:  global
        .offset:         8
        .size:           8
        .value_kind:     global_buffer
      - .address_space:  global
        .offset:         16
        .size:           8
        .value_kind:     global_buffer
      - .offset:         24
        .size:           4
        .value_kind:     by_value
      - .address_space:  global
        .offset:         32
        .size:           8
        .value_kind:     global_buffer
      - .address_space:  global
        .offset:         40
        .size:           8
        .value_kind:     global_buffer
      - .offset:         48
        .size:           4
        .value_kind:     by_value
      - .offset:         52
        .size:           4
        .value_kind:     by_value
      - .offset:         56
        .size:           4
        .value_kind:     by_value
      - .offset:         60
        .size:           1
        .value_kind:     by_value
      - .address_space:  global
        .offset:         64
        .size:           8
        .value_kind:     global_buffer
    .group_segment_fixed_size: 0
    .kernarg_segment_align: 8
    .kernarg_segment_size: 72
    .language:       OpenCL C
    .language_version:
      - 2
      - 0
    .max_flat_workgroup_size: 256
    .name:           _ZN4vllm3moe10topkGatingILi1ELi1ELi4ELi2ELi64Ei6__halfLNS0_11ScoringFuncE0EEEvPKT5_PKbPfiPT4_PiiiibPKf
    .private_segment_fixed_size: 0
    .sgpr_count:     22
    .sgpr_spill_count: 0
    .symbol:         _ZN4vllm3moe10topkGatingILi1ELi1ELi4ELi2ELi64Ei6__halfLNS0_11ScoringFuncE0EEEvPKT5_PKbPfiPT4_PiiiibPKf.kd
    .uniform_work_group_size: 1
    .uses_dynamic_stack: false
    .vgpr_count:     12
    .vgpr_spill_count: 0
    .wavefront_size: 32
    .workgroup_processor_mode: 1
  - .args:
      - .address_space:  global
        .offset:         0
        .size:           8
        .value_kind:     global_buffer
      - .address_space:  global
        .offset:         8
        .size:           8
        .value_kind:     global_buffer
      - .address_space:  global
        .offset:         16
        .size:           8
        .value_kind:     global_buffer
      - .offset:         24
        .size:           4
        .value_kind:     by_value
      - .address_space:  global
        .offset:         32
        .size:           8
        .value_kind:     global_buffer
      - .address_space:  global
        .offset:         40
        .size:           8
        .value_kind:     global_buffer
      - .offset:         48
        .size:           4
        .value_kind:     by_value
      - .offset:         52
        .size:           4
        .value_kind:     by_value
      - .offset:         56
        .size:           4
        .value_kind:     by_value
      - .offset:         60
        .size:           1
        .value_kind:     by_value
      - .address_space:  global
        .offset:         64
        .size:           8
        .value_kind:     global_buffer
    .group_segment_fixed_size: 0
    .kernarg_segment_align: 8
    .kernarg_segment_size: 72
    .language:       OpenCL C
    .language_version:
      - 2
      - 0
    .max_flat_workgroup_size: 128
    .name:           _ZN4vllm3moe10topkGatingILi1ELi1ELi4ELi2ELi32Ei6__halfLNS0_11ScoringFuncE0EEEvPKT5_PKbPfiPT4_PiiiibPKf
    .private_segment_fixed_size: 0
    .sgpr_count:     22
    .sgpr_spill_count: 0
    .symbol:         _ZN4vllm3moe10topkGatingILi1ELi1ELi4ELi2ELi32Ei6__halfLNS0_11ScoringFuncE0EEEvPKT5_PKbPfiPT4_PiiiibPKf.kd
    .uniform_work_group_size: 1
    .uses_dynamic_stack: false
    .vgpr_count:     12
    .vgpr_spill_count: 0
    .wavefront_size: 32
    .workgroup_processor_mode: 1
  - .args:
      - .address_space:  global
        .offset:         0
        .size:           8
        .value_kind:     global_buffer
      - .address_space:  global
        .offset:         8
        .size:           8
        .value_kind:     global_buffer
      - .address_space:  global
        .offset:         16
        .size:           8
        .value_kind:     global_buffer
      - .offset:         24
        .size:           4
        .value_kind:     by_value
      - .address_space:  global
        .offset:         32
        .size:           8
        .value_kind:     global_buffer
      - .address_space:  global
        .offset:         40
        .size:           8
        .value_kind:     global_buffer
      - .offset:         48
        .size:           4
        .value_kind:     by_value
      - .offset:         52
        .size:           4
        .value_kind:     by_value
      - .offset:         56
        .size:           4
        .value_kind:     by_value
      - .offset:         60
        .size:           1
        .value_kind:     by_value
      - .address_space:  global
        .offset:         64
        .size:           8
        .value_kind:     global_buffer
    .group_segment_fixed_size: 0
    .kernarg_segment_align: 8
    .kernarg_segment_size: 72
    .language:       OpenCL C
    .language_version:
      - 2
      - 0
    .max_flat_workgroup_size: 256
    .name:           _ZN4vllm3moe10topkGatingILi2ELi2ELi4ELi4ELi64Ei6__halfLNS0_11ScoringFuncE0EEEvPKT5_PKbPfiPT4_PiiiibPKf
    .private_segment_fixed_size: 0
    .sgpr_count:     18
    .sgpr_spill_count: 0
    .symbol:         _ZN4vllm3moe10topkGatingILi2ELi2ELi4ELi4ELi64Ei6__halfLNS0_11ScoringFuncE0EEEvPKT5_PKbPfiPT4_PiiiibPKf.kd
    .uniform_work_group_size: 1
    .uses_dynamic_stack: false
    .vgpr_count:     17
    .vgpr_spill_count: 0
    .wavefront_size: 32
    .workgroup_processor_mode: 1
  - .args:
      - .address_space:  global
        .offset:         0
        .size:           8
        .value_kind:     global_buffer
      - .address_space:  global
        .offset:         8
        .size:           8
        .value_kind:     global_buffer
      - .address_space:  global
        .offset:         16
        .size:           8
        .value_kind:     global_buffer
      - .offset:         24
        .size:           4
        .value_kind:     by_value
      - .address_space:  global
        .offset:         32
        .size:           8
        .value_kind:     global_buffer
      - .address_space:  global
        .offset:         40
        .size:           8
        .value_kind:     global_buffer
      - .offset:         48
        .size:           4
        .value_kind:     by_value
      - .offset:         52
        .size:           4
        .value_kind:     by_value
      - .offset:         56
        .size:           4
        .value_kind:     by_value
      - .offset:         60
        .size:           1
        .value_kind:     by_value
      - .address_space:  global
        .offset:         64
        .size:           8
        .value_kind:     global_buffer
    .group_segment_fixed_size: 0
    .kernarg_segment_align: 8
    .kernarg_segment_size: 72
    .language:       OpenCL C
    .language_version:
      - 2
      - 0
    .max_flat_workgroup_size: 128
    .name:           _ZN4vllm3moe10topkGatingILi2ELi2ELi4ELi4ELi32Ei6__halfLNS0_11ScoringFuncE0EEEvPKT5_PKbPfiPT4_PiiiibPKf
    .private_segment_fixed_size: 0
    .sgpr_count:     18
    .sgpr_spill_count: 0
    .symbol:         _ZN4vllm3moe10topkGatingILi2ELi2ELi4ELi4ELi32Ei6__halfLNS0_11ScoringFuncE0EEEvPKT5_PKbPfiPT4_PiiiibPKf.kd
    .uniform_work_group_size: 1
    .uses_dynamic_stack: false
    .vgpr_count:     17
    .vgpr_spill_count: 0
    .wavefront_size: 32
    .workgroup_processor_mode: 1
  - .args:
      - .address_space:  global
        .offset:         0
        .size:           8
        .value_kind:     global_buffer
      - .address_space:  global
        .offset:         8
        .size:           8
        .value_kind:     global_buffer
      - .address_space:  global
        .offset:         16
        .size:           8
        .value_kind:     global_buffer
      - .offset:         24
        .size:           4
        .value_kind:     by_value
      - .address_space:  global
        .offset:         32
        .size:           8
        .value_kind:     global_buffer
      - .address_space:  global
        .offset:         40
        .size:           8
        .value_kind:     global_buffer
      - .offset:         48
        .size:           4
        .value_kind:     by_value
      - .offset:         52
        .size:           4
        .value_kind:     by_value
      - .offset:         56
        .size:           4
        .value_kind:     by_value
      - .offset:         60
        .size:           1
        .value_kind:     by_value
      - .address_space:  global
        .offset:         64
        .size:           8
        .value_kind:     global_buffer
    .group_segment_fixed_size: 0
    .kernarg_segment_align: 8
    .kernarg_segment_size: 72
    .language:       OpenCL C
    .language_version:
      - 2
      - 0
    .max_flat_workgroup_size: 256
    .name:           _ZN4vllm3moe10topkGatingILi4ELi4ELi4ELi8ELi64Ei6__halfLNS0_11ScoringFuncE0EEEvPKT5_PKbPfiPT4_PiiiibPKf
    .private_segment_fixed_size: 0
    .sgpr_count:     18
    .sgpr_spill_count: 0
    .symbol:         _ZN4vllm3moe10topkGatingILi4ELi4ELi4ELi8ELi64Ei6__halfLNS0_11ScoringFuncE0EEEvPKT5_PKbPfiPT4_PiiiibPKf.kd
    .uniform_work_group_size: 1
    .uses_dynamic_stack: false
    .vgpr_count:     23
    .vgpr_spill_count: 0
    .wavefront_size: 32
    .workgroup_processor_mode: 1
  - .args:
      - .address_space:  global
        .offset:         0
        .size:           8
        .value_kind:     global_buffer
      - .address_space:  global
        .offset:         8
        .size:           8
        .value_kind:     global_buffer
      - .address_space:  global
        .offset:         16
        .size:           8
        .value_kind:     global_buffer
      - .offset:         24
        .size:           4
        .value_kind:     by_value
      - .address_space:  global
        .offset:         32
        .size:           8
        .value_kind:     global_buffer
      - .address_space:  global
        .offset:         40
        .size:           8
        .value_kind:     global_buffer
      - .offset:         48
        .size:           4
        .value_kind:     by_value
      - .offset:         52
        .size:           4
        .value_kind:     by_value
      - .offset:         56
        .size:           4
        .value_kind:     by_value
      - .offset:         60
        .size:           1
        .value_kind:     by_value
      - .address_space:  global
        .offset:         64
        .size:           8
        .value_kind:     global_buffer
    .group_segment_fixed_size: 0
    .kernarg_segment_align: 8
    .kernarg_segment_size: 72
    .language:       OpenCL C
    .language_version:
      - 2
      - 0
    .max_flat_workgroup_size: 128
    .name:           _ZN4vllm3moe10topkGatingILi4ELi4ELi4ELi8ELi32Ei6__halfLNS0_11ScoringFuncE0EEEvPKT5_PKbPfiPT4_PiiiibPKf
    .private_segment_fixed_size: 0
    .sgpr_count:     18
    .sgpr_spill_count: 0
    .symbol:         _ZN4vllm3moe10topkGatingILi4ELi4ELi4ELi8ELi32Ei6__halfLNS0_11ScoringFuncE0EEEvPKT5_PKbPfiPT4_PiiiibPKf.kd
    .uniform_work_group_size: 1
    .uses_dynamic_stack: false
    .vgpr_count:     23
    .vgpr_spill_count: 0
    .wavefront_size: 32
    .workgroup_processor_mode: 1
  - .args:
      - .address_space:  global
        .offset:         0
        .size:           8
        .value_kind:     global_buffer
      - .address_space:  global
        .offset:         8
        .size:           8
        .value_kind:     global_buffer
      - .address_space:  global
        .offset:         16
        .size:           8
        .value_kind:     global_buffer
      - .offset:         24
        .size:           4
        .value_kind:     by_value
      - .address_space:  global
        .offset:         32
        .size:           8
        .value_kind:     global_buffer
      - .address_space:  global
        .offset:         40
        .size:           8
        .value_kind:     global_buffer
      - .offset:         48
        .size:           4
        .value_kind:     by_value
      - .offset:         52
        .size:           4
        .value_kind:     by_value
      - .offset:         56
        .size:           4
        .value_kind:     by_value
      - .offset:         60
        .size:           1
        .value_kind:     by_value
      - .address_space:  global
        .offset:         64
        .size:           8
        .value_kind:     global_buffer
    .group_segment_fixed_size: 0
    .kernarg_segment_align: 8
    .kernarg_segment_size: 72
    .language:       OpenCL C
    .language_version:
      - 2
      - 0
    .max_flat_workgroup_size: 256
    .name:           _ZN4vllm3moe10topkGatingILi8ELi8ELi4ELi16ELi64Ei6__halfLNS0_11ScoringFuncE0EEEvPKT5_PKbPfiPT4_PiiiibPKf
    .private_segment_fixed_size: 0
    .sgpr_count:     18
    .sgpr_spill_count: 0
    .symbol:         _ZN4vllm3moe10topkGatingILi8ELi8ELi4ELi16ELi64Ei6__halfLNS0_11ScoringFuncE0EEEvPKT5_PKbPfiPT4_PiiiibPKf.kd
    .uniform_work_group_size: 1
    .uses_dynamic_stack: false
    .vgpr_count:     33
    .vgpr_spill_count: 0
    .wavefront_size: 32
    .workgroup_processor_mode: 1
  - .args:
      - .address_space:  global
        .offset:         0
        .size:           8
        .value_kind:     global_buffer
      - .address_space:  global
        .offset:         8
        .size:           8
        .value_kind:     global_buffer
      - .address_space:  global
        .offset:         16
        .size:           8
        .value_kind:     global_buffer
      - .offset:         24
        .size:           4
        .value_kind:     by_value
      - .address_space:  global
        .offset:         32
        .size:           8
        .value_kind:     global_buffer
      - .address_space:  global
        .offset:         40
        .size:           8
        .value_kind:     global_buffer
      - .offset:         48
        .size:           4
        .value_kind:     by_value
      - .offset:         52
        .size:           4
        .value_kind:     by_value
      - .offset:         56
        .size:           4
        .value_kind:     by_value
      - .offset:         60
        .size:           1
        .value_kind:     by_value
      - .address_space:  global
        .offset:         64
        .size:           8
        .value_kind:     global_buffer
    .group_segment_fixed_size: 0
    .kernarg_segment_align: 8
    .kernarg_segment_size: 72
    .language:       OpenCL C
    .language_version:
      - 2
      - 0
    .max_flat_workgroup_size: 128
    .name:           _ZN4vllm3moe10topkGatingILi8ELi8ELi4ELi16ELi32Ei6__halfLNS0_11ScoringFuncE0EEEvPKT5_PKbPfiPT4_PiiiibPKf
    .private_segment_fixed_size: 0
    .sgpr_count:     18
    .sgpr_spill_count: 0
    .symbol:         _ZN4vllm3moe10topkGatingILi8ELi8ELi4ELi16ELi32Ei6__halfLNS0_11ScoringFuncE0EEEvPKT5_PKbPfiPT4_PiiiibPKf.kd
    .uniform_work_group_size: 1
    .uses_dynamic_stack: false
    .vgpr_count:     33
    .vgpr_spill_count: 0
    .wavefront_size: 32
    .workgroup_processor_mode: 1
  - .args:
      - .address_space:  global
        .offset:         0
        .size:           8
        .value_kind:     global_buffer
      - .address_space:  global
        .offset:         8
        .size:           8
        .value_kind:     global_buffer
      - .address_space:  global
        .offset:         16
        .size:           8
        .value_kind:     global_buffer
      - .offset:         24
        .size:           4
        .value_kind:     by_value
      - .address_space:  global
        .offset:         32
        .size:           8
        .value_kind:     global_buffer
      - .address_space:  global
        .offset:         40
        .size:           8
        .value_kind:     global_buffer
      - .offset:         48
        .size:           4
        .value_kind:     by_value
      - .offset:         52
        .size:           4
        .value_kind:     by_value
      - .offset:         56
        .size:           4
        .value_kind:     by_value
      - .offset:         60
        .size:           1
        .value_kind:     by_value
      - .address_space:  global
        .offset:         64
        .size:           8
        .value_kind:     global_buffer
    .group_segment_fixed_size: 0
    .kernarg_segment_align: 8
    .kernarg_segment_size: 72
    .language:       OpenCL C
    .language_version:
      - 2
      - 0
    .max_flat_workgroup_size: 256
    .name:           _ZN4vllm3moe10topkGatingILi8ELi16ELi4ELi16ELi64Ei6__halfLNS0_11ScoringFuncE0EEEvPKT5_PKbPfiPT4_PiiiibPKf
    .private_segment_fixed_size: 0
    .sgpr_count:     20
    .sgpr_spill_count: 0
    .symbol:         _ZN4vllm3moe10topkGatingILi8ELi16ELi4ELi16ELi64Ei6__halfLNS0_11ScoringFuncE0EEEvPKT5_PKbPfiPT4_PiiiibPKf.kd
    .uniform_work_group_size: 1
    .uses_dynamic_stack: false
    .vgpr_count:     35
    .vgpr_spill_count: 0
    .wavefront_size: 32
    .workgroup_processor_mode: 1
  - .args:
      - .address_space:  global
        .offset:         0
        .size:           8
        .value_kind:     global_buffer
      - .address_space:  global
        .offset:         8
        .size:           8
        .value_kind:     global_buffer
      - .address_space:  global
        .offset:         16
        .size:           8
        .value_kind:     global_buffer
      - .offset:         24
        .size:           4
        .value_kind:     by_value
      - .address_space:  global
        .offset:         32
        .size:           8
        .value_kind:     global_buffer
      - .address_space:  global
        .offset:         40
        .size:           8
        .value_kind:     global_buffer
      - .offset:         48
        .size:           4
        .value_kind:     by_value
      - .offset:         52
        .size:           4
        .value_kind:     by_value
      - .offset:         56
        .size:           4
        .value_kind:     by_value
      - .offset:         60
        .size:           1
        .value_kind:     by_value
      - .address_space:  global
        .offset:         64
        .size:           8
        .value_kind:     global_buffer
    .group_segment_fixed_size: 0
    .kernarg_segment_align: 8
    .kernarg_segment_size: 72
    .language:       OpenCL C
    .language_version:
      - 2
      - 0
    .max_flat_workgroup_size: 128
    .name:           _ZN4vllm3moe10topkGatingILi8ELi16ELi4ELi16ELi32Ei6__halfLNS0_11ScoringFuncE0EEEvPKT5_PKbPfiPT4_PiiiibPKf
    .private_segment_fixed_size: 0
    .sgpr_count:     20
    .sgpr_spill_count: 0
    .symbol:         _ZN4vllm3moe10topkGatingILi8ELi16ELi4ELi16ELi32Ei6__halfLNS0_11ScoringFuncE0EEEvPKT5_PKbPfiPT4_PiiiibPKf.kd
    .uniform_work_group_size: 1
    .uses_dynamic_stack: false
    .vgpr_count:     35
    .vgpr_spill_count: 0
    .wavefront_size: 32
    .workgroup_processor_mode: 1
  - .args:
      - .address_space:  global
        .offset:         0
        .size:           8
        .value_kind:     global_buffer
      - .address_space:  global
        .offset:         8
        .size:           8
        .value_kind:     global_buffer
      - .address_space:  global
        .offset:         16
        .size:           8
        .value_kind:     global_buffer
      - .offset:         24
        .size:           4
        .value_kind:     by_value
      - .address_space:  global
        .offset:         32
        .size:           8
        .value_kind:     global_buffer
      - .address_space:  global
        .offset:         40
        .size:           8
        .value_kind:     global_buffer
      - .offset:         48
        .size:           4
        .value_kind:     by_value
      - .offset:         52
        .size:           4
        .value_kind:     by_value
      - .offset:         56
        .size:           4
        .value_kind:     by_value
      - .offset:         60
        .size:           1
        .value_kind:     by_value
      - .address_space:  global
        .offset:         64
        .size:           8
        .value_kind:     global_buffer
    .group_segment_fixed_size: 0
    .kernarg_segment_align: 8
    .kernarg_segment_size: 72
    .language:       OpenCL C
    .language_version:
      - 2
      - 0
    .max_flat_workgroup_size: 256
    .name:           _ZN4vllm3moe10topkGatingILi8ELi32ELi4ELi16ELi64Ei6__halfLNS0_11ScoringFuncE0EEEvPKT5_PKbPfiPT4_PiiiibPKf
    .private_segment_fixed_size: 0
    .sgpr_count:     20
    .sgpr_spill_count: 0
    .symbol:         _ZN4vllm3moe10topkGatingILi8ELi32ELi4ELi16ELi64Ei6__halfLNS0_11ScoringFuncE0EEEvPKT5_PKbPfiPT4_PiiiibPKf.kd
    .uniform_work_group_size: 1
    .uses_dynamic_stack: false
    .vgpr_count:     36
    .vgpr_spill_count: 0
    .wavefront_size: 32
    .workgroup_processor_mode: 1
  - .args:
      - .address_space:  global
        .offset:         0
        .size:           8
        .value_kind:     global_buffer
      - .address_space:  global
        .offset:         8
        .size:           8
        .value_kind:     global_buffer
      - .address_space:  global
        .offset:         16
        .size:           8
        .value_kind:     global_buffer
      - .offset:         24
        .size:           4
        .value_kind:     by_value
      - .address_space:  global
        .offset:         32
        .size:           8
        .value_kind:     global_buffer
      - .address_space:  global
        .offset:         40
        .size:           8
        .value_kind:     global_buffer
      - .offset:         48
        .size:           4
        .value_kind:     by_value
      - .offset:         52
        .size:           4
        .value_kind:     by_value
      - .offset:         56
        .size:           4
        .value_kind:     by_value
      - .offset:         60
        .size:           1
        .value_kind:     by_value
      - .address_space:  global
        .offset:         64
        .size:           8
        .value_kind:     global_buffer
    .group_segment_fixed_size: 0
    .kernarg_segment_align: 8
    .kernarg_segment_size: 72
    .language:       OpenCL C
    .language_version:
      - 2
      - 0
    .max_flat_workgroup_size: 128
    .name:           _ZN4vllm3moe10topkGatingILi8ELi32ELi4ELi16ELi32Ei6__halfLNS0_11ScoringFuncE0EEEvPKT5_PKbPfiPT4_PiiiibPKf
    .private_segment_fixed_size: 0
    .sgpr_count:     20
    .sgpr_spill_count: 0
    .symbol:         _ZN4vllm3moe10topkGatingILi8ELi32ELi4ELi16ELi32Ei6__halfLNS0_11ScoringFuncE0EEEvPKT5_PKbPfiPT4_PiiiibPKf.kd
    .uniform_work_group_size: 1
    .uses_dynamic_stack: false
    .vgpr_count:     36
    .vgpr_spill_count: 0
    .wavefront_size: 32
    .workgroup_processor_mode: 1
  - .args:
      - .address_space:  global
        .offset:         0
        .size:           8
        .value_kind:     global_buffer
      - .address_space:  global
        .offset:         8
        .size:           8
        .value_kind:     global_buffer
      - .address_space:  global
        .offset:         16
        .size:           8
        .value_kind:     global_buffer
      - .offset:         24
        .size:           4
        .value_kind:     by_value
      - .address_space:  global
        .offset:         32
        .size:           8
        .value_kind:     global_buffer
      - .address_space:  global
        .offset:         40
        .size:           8
        .value_kind:     global_buffer
      - .offset:         48
        .size:           4
        .value_kind:     by_value
      - .offset:         52
        .size:           4
        .value_kind:     by_value
      - .offset:         56
        .size:           4
        .value_kind:     by_value
      - .offset:         60
        .size:           1
        .value_kind:     by_value
      - .address_space:  global
        .offset:         64
        .size:           8
        .value_kind:     global_buffer
    .group_segment_fixed_size: 0
    .kernarg_segment_align: 8
    .kernarg_segment_size: 72
    .language:       OpenCL C
    .language_version:
      - 2
      - 0
    .max_flat_workgroup_size: 256
    .name:           _ZN4vllm3moe10topkGatingILi8ELi64ELi4ELi16ELi64Ei6__halfLNS0_11ScoringFuncE0EEEvPKT5_PKbPfiPT4_PiiiibPKf
    .private_segment_fixed_size: 0
    .sgpr_count:     20
    .sgpr_spill_count: 0
    .symbol:         _ZN4vllm3moe10topkGatingILi8ELi64ELi4ELi16ELi64Ei6__halfLNS0_11ScoringFuncE0EEEvPKT5_PKbPfiPT4_PiiiibPKf.kd
    .uniform_work_group_size: 1
    .uses_dynamic_stack: false
    .vgpr_count:     37
    .vgpr_spill_count: 0
    .wavefront_size: 32
    .workgroup_processor_mode: 1
  - .args:
      - .address_space:  global
        .offset:         0
        .size:           8
        .value_kind:     global_buffer
      - .address_space:  global
        .offset:         8
        .size:           8
        .value_kind:     global_buffer
      - .address_space:  global
        .offset:         16
        .size:           8
        .value_kind:     global_buffer
      - .offset:         24
        .size:           4
        .value_kind:     by_value
      - .address_space:  global
        .offset:         32
        .size:           8
        .value_kind:     global_buffer
      - .address_space:  global
        .offset:         40
        .size:           8
        .value_kind:     global_buffer
      - .offset:         48
        .size:           4
        .value_kind:     by_value
      - .offset:         52
        .size:           4
        .value_kind:     by_value
      - .offset:         56
        .size:           4
        .value_kind:     by_value
      - .offset:         60
        .size:           1
        .value_kind:     by_value
      - .address_space:  global
        .offset:         64
        .size:           8
        .value_kind:     global_buffer
    .group_segment_fixed_size: 0
    .kernarg_segment_align: 8
    .kernarg_segment_size: 72
    .language:       OpenCL C
    .language_version:
      - 2
      - 0
    .max_flat_workgroup_size: 128
    .name:           _ZN4vllm3moe10topkGatingILi8ELi64ELi4ELi16ELi32Ei6__halfLNS0_11ScoringFuncE0EEEvPKT5_PKbPfiPT4_PiiiibPKf
    .private_segment_fixed_size: 0
    .sgpr_count:     20
    .sgpr_spill_count: 0
    .symbol:         _ZN4vllm3moe10topkGatingILi8ELi64ELi4ELi16ELi32Ei6__halfLNS0_11ScoringFuncE0EEEvPKT5_PKbPfiPT4_PiiiibPKf.kd
    .uniform_work_group_size: 1
    .uses_dynamic_stack: false
    .vgpr_count:     37
    .vgpr_spill_count: 0
    .wavefront_size: 32
    .workgroup_processor_mode: 1
  - .args:
      - .address_space:  global
        .offset:         0
        .size:           8
        .value_kind:     global_buffer
      - .address_space:  global
        .offset:         8
        .size:           8
        .value_kind:     global_buffer
      - .address_space:  global
        .offset:         16
        .size:           8
        .value_kind:     global_buffer
      - .offset:         24
        .size:           4
        .value_kind:     by_value
      - .address_space:  global
        .offset:         32
        .size:           8
        .value_kind:     global_buffer
      - .address_space:  global
        .offset:         40
        .size:           8
        .value_kind:     global_buffer
      - .offset:         48
        .size:           4
        .value_kind:     by_value
      - .offset:         52
        .size:           4
        .value_kind:     by_value
      - .offset:         56
        .size:           4
        .value_kind:     by_value
      - .offset:         60
        .size:           1
        .value_kind:     by_value
      - .address_space:  global
        .offset:         64
        .size:           8
        .value_kind:     global_buffer
    .group_segment_fixed_size: 0
    .kernarg_segment_align: 8
    .kernarg_segment_size: 72
    .language:       OpenCL C
    .language_version:
      - 2
      - 0
    .max_flat_workgroup_size: 256
    .name:           _ZN4vllm3moe10topkGatingILi8ELi128ELi4ELi16ELi64Ei6__halfLNS0_11ScoringFuncE0EEEvPKT5_PKbPfiPT4_PiiiibPKf
    .private_segment_fixed_size: 0
    .sgpr_count:     20
    .sgpr_spill_count: 0
    .symbol:         _ZN4vllm3moe10topkGatingILi8ELi128ELi4ELi16ELi64Ei6__halfLNS0_11ScoringFuncE0EEEvPKT5_PKbPfiPT4_PiiiibPKf.kd
    .uniform_work_group_size: 1
    .uses_dynamic_stack: false
    .vgpr_count:     38
    .vgpr_spill_count: 0
    .wavefront_size: 32
    .workgroup_processor_mode: 1
  - .args:
      - .address_space:  global
        .offset:         0
        .size:           8
        .value_kind:     global_buffer
      - .address_space:  global
        .offset:         8
        .size:           8
        .value_kind:     global_buffer
      - .address_space:  global
        .offset:         16
        .size:           8
        .value_kind:     global_buffer
      - .offset:         24
        .size:           4
        .value_kind:     by_value
      - .address_space:  global
        .offset:         32
        .size:           8
        .value_kind:     global_buffer
      - .address_space:  global
        .offset:         40
        .size:           8
        .value_kind:     global_buffer
      - .offset:         48
        .size:           4
        .value_kind:     by_value
      - .offset:         52
        .size:           4
        .value_kind:     by_value
      - .offset:         56
        .size:           4
        .value_kind:     by_value
      - .offset:         60
        .size:           1
        .value_kind:     by_value
      - .address_space:  global
        .offset:         64
        .size:           8
        .value_kind:     global_buffer
    .group_segment_fixed_size: 0
    .kernarg_segment_align: 8
    .kernarg_segment_size: 72
    .language:       OpenCL C
    .language_version:
      - 2
      - 0
    .max_flat_workgroup_size: 128
    .name:           _ZN4vllm3moe10topkGatingILi8ELi128ELi4ELi16ELi32Ei6__halfLNS0_11ScoringFuncE0EEEvPKT5_PKbPfiPT4_PiiiibPKf
    .private_segment_fixed_size: 0
    .sgpr_count:     20
    .sgpr_spill_count: 0
    .symbol:         _ZN4vllm3moe10topkGatingILi8ELi128ELi4ELi16ELi32Ei6__halfLNS0_11ScoringFuncE0EEEvPKT5_PKbPfiPT4_PiiiibPKf.kd
    .uniform_work_group_size: 1
    .uses_dynamic_stack: false
    .vgpr_count:     38
    .vgpr_spill_count: 0
    .wavefront_size: 32
    .workgroup_processor_mode: 1
  - .args:
      - .address_space:  global
        .offset:         0
        .size:           8
        .value_kind:     global_buffer
      - .address_space:  global
        .offset:         8
        .size:           8
        .value_kind:     global_buffer
      - .address_space:  global
        .offset:         16
        .size:           8
        .value_kind:     global_buffer
      - .offset:         24
        .size:           4
        .value_kind:     by_value
      - .address_space:  global
        .offset:         32
        .size:           8
        .value_kind:     global_buffer
      - .address_space:  global
        .offset:         40
        .size:           8
        .value_kind:     global_buffer
      - .offset:         48
        .size:           4
        .value_kind:     by_value
      - .offset:         52
        .size:           4
        .value_kind:     by_value
      - .offset:         56
        .size:           4
        .value_kind:     by_value
      - .offset:         60
        .size:           1
        .value_kind:     by_value
      - .address_space:  global
        .offset:         64
        .size:           8
        .value_kind:     global_buffer
    .group_segment_fixed_size: 0
    .kernarg_segment_align: 8
    .kernarg_segment_size: 72
    .language:       OpenCL C
    .language_version:
      - 2
      - 0
    .max_flat_workgroup_size: 256
    .name:           _ZN4vllm3moe10topkGatingILi8ELi256ELi4ELi16ELi64Ei6__halfLNS0_11ScoringFuncE0EEEvPKT5_PKbPfiPT4_PiiiibPKf
    .private_segment_fixed_size: 0
    .sgpr_count:     20
    .sgpr_spill_count: 0
    .symbol:         _ZN4vllm3moe10topkGatingILi8ELi256ELi4ELi16ELi64Ei6__halfLNS0_11ScoringFuncE0EEEvPKT5_PKbPfiPT4_PiiiibPKf.kd
    .uniform_work_group_size: 1
    .uses_dynamic_stack: false
    .vgpr_count:     39
    .vgpr_spill_count: 0
    .wavefront_size: 32
    .workgroup_processor_mode: 1
  - .args:
      - .address_space:  global
        .offset:         0
        .size:           8
        .value_kind:     global_buffer
      - .address_space:  global
        .offset:         8
        .size:           8
        .value_kind:     global_buffer
      - .address_space:  global
        .offset:         16
        .size:           8
        .value_kind:     global_buffer
      - .offset:         24
        .size:           4
        .value_kind:     by_value
      - .address_space:  global
        .offset:         32
        .size:           8
        .value_kind:     global_buffer
      - .address_space:  global
        .offset:         40
        .size:           8
        .value_kind:     global_buffer
      - .offset:         48
        .size:           4
        .value_kind:     by_value
      - .offset:         52
        .size:           4
        .value_kind:     by_value
      - .offset:         56
        .size:           4
        .value_kind:     by_value
      - .offset:         60
        .size:           1
        .value_kind:     by_value
      - .address_space:  global
        .offset:         64
        .size:           8
        .value_kind:     global_buffer
    .group_segment_fixed_size: 0
    .kernarg_segment_align: 8
    .kernarg_segment_size: 72
    .language:       OpenCL C
    .language_version:
      - 2
      - 0
    .max_flat_workgroup_size: 128
    .name:           _ZN4vllm3moe10topkGatingILi8ELi256ELi4ELi16ELi32Ei6__halfLNS0_11ScoringFuncE0EEEvPKT5_PKbPfiPT4_PiiiibPKf
    .private_segment_fixed_size: 0
    .sgpr_count:     20
    .sgpr_spill_count: 0
    .symbol:         _ZN4vllm3moe10topkGatingILi8ELi256ELi4ELi16ELi32Ei6__halfLNS0_11ScoringFuncE0EEEvPKT5_PKbPfiPT4_PiiiibPKf.kd
    .uniform_work_group_size: 1
    .uses_dynamic_stack: false
    .vgpr_count:     39
    .vgpr_spill_count: 0
    .wavefront_size: 32
    .workgroup_processor_mode: 1
  - .args:
      - .address_space:  global
        .offset:         0
        .size:           8
        .value_kind:     global_buffer
      - .address_space:  global
        .offset:         8
        .size:           8
        .value_kind:     global_buffer
      - .address_space:  global
        .offset:         16
        .size:           8
        .value_kind:     global_buffer
      - .offset:         24
        .size:           4
        .value_kind:     by_value
      - .address_space:  global
        .offset:         32
        .size:           8
        .value_kind:     global_buffer
      - .address_space:  global
        .offset:         40
        .size:           8
        .value_kind:     global_buffer
      - .offset:         48
        .size:           4
        .value_kind:     by_value
      - .offset:         52
        .size:           4
        .value_kind:     by_value
      - .offset:         56
        .size:           4
        .value_kind:     by_value
      - .offset:         60
        .size:           1
        .value_kind:     by_value
      - .address_space:  global
        .offset:         64
        .size:           8
        .value_kind:     global_buffer
    .group_segment_fixed_size: 0
    .kernarg_segment_align: 8
    .kernarg_segment_size: 72
    .language:       OpenCL C
    .language_version:
      - 2
      - 0
    .max_flat_workgroup_size: 256
    .name:           _ZN4vllm3moe10topkGatingILi8ELi512ELi4ELi16ELi64Ei6__halfLNS0_11ScoringFuncE0EEEvPKT5_PKbPfiPT4_PiiiibPKf
    .private_segment_fixed_size: 0
    .sgpr_count:     20
    .sgpr_spill_count: 0
    .symbol:         _ZN4vllm3moe10topkGatingILi8ELi512ELi4ELi16ELi64Ei6__halfLNS0_11ScoringFuncE0EEEvPKT5_PKbPfiPT4_PiiiibPKf.kd
    .uniform_work_group_size: 1
    .uses_dynamic_stack: false
    .vgpr_count:     40
    .vgpr_spill_count: 0
    .wavefront_size: 32
    .workgroup_processor_mode: 1
  - .args:
      - .address_space:  global
        .offset:         0
        .size:           8
        .value_kind:     global_buffer
      - .address_space:  global
        .offset:         8
        .size:           8
        .value_kind:     global_buffer
      - .address_space:  global
        .offset:         16
        .size:           8
        .value_kind:     global_buffer
      - .offset:         24
        .size:           4
        .value_kind:     by_value
      - .address_space:  global
        .offset:         32
        .size:           8
        .value_kind:     global_buffer
      - .address_space:  global
        .offset:         40
        .size:           8
        .value_kind:     global_buffer
      - .offset:         48
        .size:           4
        .value_kind:     by_value
      - .offset:         52
        .size:           4
        .value_kind:     by_value
      - .offset:         56
        .size:           4
        .value_kind:     by_value
      - .offset:         60
        .size:           1
        .value_kind:     by_value
      - .address_space:  global
        .offset:         64
        .size:           8
        .value_kind:     global_buffer
    .group_segment_fixed_size: 0
    .kernarg_segment_align: 8
    .kernarg_segment_size: 72
    .language:       OpenCL C
    .language_version:
      - 2
      - 0
    .max_flat_workgroup_size: 128
    .name:           _ZN4vllm3moe10topkGatingILi16ELi512ELi4ELi16ELi32Ei6__halfLNS0_11ScoringFuncE0EEEvPKT5_PKbPfiPT4_PiiiibPKf
    .private_segment_fixed_size: 0
    .sgpr_count:     20
    .sgpr_spill_count: 0
    .symbol:         _ZN4vllm3moe10topkGatingILi16ELi512ELi4ELi16ELi32Ei6__halfLNS0_11ScoringFuncE0EEEvPKT5_PKbPfiPT4_PiiiibPKf.kd
    .uniform_work_group_size: 1
    .uses_dynamic_stack: false
    .vgpr_count:     71
    .vgpr_spill_count: 0
    .wavefront_size: 32
    .workgroup_processor_mode: 1
  - .args:
      - .address_space:  global
        .offset:         0
        .size:           8
        .value_kind:     global_buffer
      - .address_space:  global
        .offset:         8
        .size:           8
        .value_kind:     global_buffer
      - .address_space:  global
        .offset:         16
        .size:           8
        .value_kind:     global_buffer
      - .offset:         24
        .size:           4
        .value_kind:     by_value
    .group_segment_fixed_size: 40
    .kernarg_segment_align: 8
    .kernarg_segment_size: 28
    .language:       OpenCL C
    .language_version:
      - 2
      - 0
    .max_flat_workgroup_size: 256
    .name:           _ZN4vllm3moe10moeSoftmaxILi256E6__halfEEvPKT0_PKbPfi
    .private_segment_fixed_size: 0
    .sgpr_count:     18
    .sgpr_spill_count: 0
    .symbol:         _ZN4vllm3moe10moeSoftmaxILi256E6__halfEEvPKT0_PKbPfi.kd
    .uniform_work_group_size: 1
    .uses_dynamic_stack: false
    .vgpr_count:     15
    .vgpr_spill_count: 0
    .wavefront_size: 32
    .workgroup_processor_mode: 1
  - .args:
      - .address_space:  global
        .offset:         0
        .size:           8
        .value_kind:     global_buffer
      - .address_space:  global
        .offset:         8
        .size:           8
        .value_kind:     global_buffer
      - .address_space:  global
        .offset:         16
        .size:           8
        .value_kind:     global_buffer
      - .offset:         24
        .size:           4
        .value_kind:     by_value
      - .address_space:  global
        .offset:         32
        .size:           8
        .value_kind:     global_buffer
      - .address_space:  global
        .offset:         40
        .size:           8
        .value_kind:     global_buffer
      - .offset:         48
        .size:           4
        .value_kind:     by_value
      - .offset:         52
        .size:           4
        .value_kind:     by_value
      - .offset:         56
        .size:           4
        .value_kind:     by_value
      - .offset:         60
        .size:           1
        .value_kind:     by_value
      - .address_space:  global
        .offset:         64
        .size:           8
        .value_kind:     global_buffer
    .group_segment_fixed_size: 0
    .kernarg_segment_align: 8
    .kernarg_segment_size: 72
    .language:       OpenCL C
    .language_version:
      - 2
      - 0
    .max_flat_workgroup_size: 256
    .name:           _ZN4vllm3moe10topkGatingILi1ELi1ELi4ELi2ELi64Ej6__halfLNS0_11ScoringFuncE0EEEvPKT5_PKbPfiPT4_PiiiibPKf
    .private_segment_fixed_size: 0
    .sgpr_count:     22
    .sgpr_spill_count: 0
    .symbol:         _ZN4vllm3moe10topkGatingILi1ELi1ELi4ELi2ELi64Ej6__halfLNS0_11ScoringFuncE0EEEvPKT5_PKbPfiPT4_PiiiibPKf.kd
    .uniform_work_group_size: 1
    .uses_dynamic_stack: false
    .vgpr_count:     12
    .vgpr_spill_count: 0
    .wavefront_size: 32
    .workgroup_processor_mode: 1
  - .args:
      - .address_space:  global
        .offset:         0
        .size:           8
        .value_kind:     global_buffer
      - .address_space:  global
        .offset:         8
        .size:           8
        .value_kind:     global_buffer
      - .address_space:  global
        .offset:         16
        .size:           8
        .value_kind:     global_buffer
      - .offset:         24
        .size:           4
        .value_kind:     by_value
      - .address_space:  global
        .offset:         32
        .size:           8
        .value_kind:     global_buffer
      - .address_space:  global
        .offset:         40
        .size:           8
        .value_kind:     global_buffer
      - .offset:         48
        .size:           4
        .value_kind:     by_value
      - .offset:         52
        .size:           4
        .value_kind:     by_value
      - .offset:         56
        .size:           4
        .value_kind:     by_value
      - .offset:         60
        .size:           1
        .value_kind:     by_value
      - .address_space:  global
        .offset:         64
        .size:           8
        .value_kind:     global_buffer
    .group_segment_fixed_size: 0
    .kernarg_segment_align: 8
    .kernarg_segment_size: 72
    .language:       OpenCL C
    .language_version:
      - 2
      - 0
    .max_flat_workgroup_size: 128
    .name:           _ZN4vllm3moe10topkGatingILi1ELi1ELi4ELi2ELi32Ej6__halfLNS0_11ScoringFuncE0EEEvPKT5_PKbPfiPT4_PiiiibPKf
    .private_segment_fixed_size: 0
    .sgpr_count:     22
    .sgpr_spill_count: 0
    .symbol:         _ZN4vllm3moe10topkGatingILi1ELi1ELi4ELi2ELi32Ej6__halfLNS0_11ScoringFuncE0EEEvPKT5_PKbPfiPT4_PiiiibPKf.kd
    .uniform_work_group_size: 1
    .uses_dynamic_stack: false
    .vgpr_count:     12
    .vgpr_spill_count: 0
    .wavefront_size: 32
    .workgroup_processor_mode: 1
  - .args:
      - .address_space:  global
        .offset:         0
        .size:           8
        .value_kind:     global_buffer
      - .address_space:  global
        .offset:         8
        .size:           8
        .value_kind:     global_buffer
      - .address_space:  global
        .offset:         16
        .size:           8
        .value_kind:     global_buffer
      - .offset:         24
        .size:           4
        .value_kind:     by_value
      - .address_space:  global
        .offset:         32
        .size:           8
        .value_kind:     global_buffer
      - .address_space:  global
        .offset:         40
        .size:           8
        .value_kind:     global_buffer
      - .offset:         48
        .size:           4
        .value_kind:     by_value
      - .offset:         52
        .size:           4
        .value_kind:     by_value
      - .offset:         56
        .size:           4
        .value_kind:     by_value
      - .offset:         60
        .size:           1
        .value_kind:     by_value
      - .address_space:  global
        .offset:         64
        .size:           8
        .value_kind:     global_buffer
    .group_segment_fixed_size: 0
    .kernarg_segment_align: 8
    .kernarg_segment_size: 72
    .language:       OpenCL C
    .language_version:
      - 2
      - 0
    .max_flat_workgroup_size: 256
    .name:           _ZN4vllm3moe10topkGatingILi2ELi2ELi4ELi4ELi64Ej6__halfLNS0_11ScoringFuncE0EEEvPKT5_PKbPfiPT4_PiiiibPKf
    .private_segment_fixed_size: 0
    .sgpr_count:     18
    .sgpr_spill_count: 0
    .symbol:         _ZN4vllm3moe10topkGatingILi2ELi2ELi4ELi4ELi64Ej6__halfLNS0_11ScoringFuncE0EEEvPKT5_PKbPfiPT4_PiiiibPKf.kd
    .uniform_work_group_size: 1
    .uses_dynamic_stack: false
    .vgpr_count:     17
    .vgpr_spill_count: 0
    .wavefront_size: 32
    .workgroup_processor_mode: 1
  - .args:
      - .address_space:  global
        .offset:         0
        .size:           8
        .value_kind:     global_buffer
      - .address_space:  global
        .offset:         8
        .size:           8
        .value_kind:     global_buffer
      - .address_space:  global
        .offset:         16
        .size:           8
        .value_kind:     global_buffer
      - .offset:         24
        .size:           4
        .value_kind:     by_value
      - .address_space:  global
        .offset:         32
        .size:           8
        .value_kind:     global_buffer
      - .address_space:  global
        .offset:         40
        .size:           8
        .value_kind:     global_buffer
      - .offset:         48
        .size:           4
        .value_kind:     by_value
      - .offset:         52
        .size:           4
        .value_kind:     by_value
      - .offset:         56
        .size:           4
        .value_kind:     by_value
      - .offset:         60
        .size:           1
        .value_kind:     by_value
      - .address_space:  global
        .offset:         64
        .size:           8
        .value_kind:     global_buffer
    .group_segment_fixed_size: 0
    .kernarg_segment_align: 8
    .kernarg_segment_size: 72
    .language:       OpenCL C
    .language_version:
      - 2
      - 0
    .max_flat_workgroup_size: 128
    .name:           _ZN4vllm3moe10topkGatingILi2ELi2ELi4ELi4ELi32Ej6__halfLNS0_11ScoringFuncE0EEEvPKT5_PKbPfiPT4_PiiiibPKf
    .private_segment_fixed_size: 0
    .sgpr_count:     18
    .sgpr_spill_count: 0
    .symbol:         _ZN4vllm3moe10topkGatingILi2ELi2ELi4ELi4ELi32Ej6__halfLNS0_11ScoringFuncE0EEEvPKT5_PKbPfiPT4_PiiiibPKf.kd
    .uniform_work_group_size: 1
    .uses_dynamic_stack: false
    .vgpr_count:     17
    .vgpr_spill_count: 0
    .wavefront_size: 32
    .workgroup_processor_mode: 1
  - .args:
      - .address_space:  global
        .offset:         0
        .size:           8
        .value_kind:     global_buffer
      - .address_space:  global
        .offset:         8
        .size:           8
        .value_kind:     global_buffer
      - .address_space:  global
        .offset:         16
        .size:           8
        .value_kind:     global_buffer
      - .offset:         24
        .size:           4
        .value_kind:     by_value
      - .address_space:  global
        .offset:         32
        .size:           8
        .value_kind:     global_buffer
      - .address_space:  global
        .offset:         40
        .size:           8
        .value_kind:     global_buffer
      - .offset:         48
        .size:           4
        .value_kind:     by_value
      - .offset:         52
        .size:           4
        .value_kind:     by_value
      - .offset:         56
        .size:           4
        .value_kind:     by_value
      - .offset:         60
        .size:           1
        .value_kind:     by_value
      - .address_space:  global
        .offset:         64
        .size:           8
        .value_kind:     global_buffer
    .group_segment_fixed_size: 0
    .kernarg_segment_align: 8
    .kernarg_segment_size: 72
    .language:       OpenCL C
    .language_version:
      - 2
      - 0
    .max_flat_workgroup_size: 256
    .name:           _ZN4vllm3moe10topkGatingILi4ELi4ELi4ELi8ELi64Ej6__halfLNS0_11ScoringFuncE0EEEvPKT5_PKbPfiPT4_PiiiibPKf
    .private_segment_fixed_size: 0
    .sgpr_count:     18
    .sgpr_spill_count: 0
    .symbol:         _ZN4vllm3moe10topkGatingILi4ELi4ELi4ELi8ELi64Ej6__halfLNS0_11ScoringFuncE0EEEvPKT5_PKbPfiPT4_PiiiibPKf.kd
    .uniform_work_group_size: 1
    .uses_dynamic_stack: false
    .vgpr_count:     23
    .vgpr_spill_count: 0
    .wavefront_size: 32
    .workgroup_processor_mode: 1
  - .args:
      - .address_space:  global
        .offset:         0
        .size:           8
        .value_kind:     global_buffer
      - .address_space:  global
        .offset:         8
        .size:           8
        .value_kind:     global_buffer
      - .address_space:  global
        .offset:         16
        .size:           8
        .value_kind:     global_buffer
      - .offset:         24
        .size:           4
        .value_kind:     by_value
      - .address_space:  global
        .offset:         32
        .size:           8
        .value_kind:     global_buffer
      - .address_space:  global
        .offset:         40
        .size:           8
        .value_kind:     global_buffer
      - .offset:         48
        .size:           4
        .value_kind:     by_value
      - .offset:         52
        .size:           4
        .value_kind:     by_value
      - .offset:         56
        .size:           4
        .value_kind:     by_value
      - .offset:         60
        .size:           1
        .value_kind:     by_value
      - .address_space:  global
        .offset:         64
        .size:           8
        .value_kind:     global_buffer
    .group_segment_fixed_size: 0
    .kernarg_segment_align: 8
    .kernarg_segment_size: 72
    .language:       OpenCL C
    .language_version:
      - 2
      - 0
    .max_flat_workgroup_size: 128
    .name:           _ZN4vllm3moe10topkGatingILi4ELi4ELi4ELi8ELi32Ej6__halfLNS0_11ScoringFuncE0EEEvPKT5_PKbPfiPT4_PiiiibPKf
    .private_segment_fixed_size: 0
    .sgpr_count:     18
    .sgpr_spill_count: 0
    .symbol:         _ZN4vllm3moe10topkGatingILi4ELi4ELi4ELi8ELi32Ej6__halfLNS0_11ScoringFuncE0EEEvPKT5_PKbPfiPT4_PiiiibPKf.kd
    .uniform_work_group_size: 1
    .uses_dynamic_stack: false
    .vgpr_count:     23
    .vgpr_spill_count: 0
    .wavefront_size: 32
    .workgroup_processor_mode: 1
  - .args:
      - .address_space:  global
        .offset:         0
        .size:           8
        .value_kind:     global_buffer
      - .address_space:  global
        .offset:         8
        .size:           8
        .value_kind:     global_buffer
      - .address_space:  global
        .offset:         16
        .size:           8
        .value_kind:     global_buffer
      - .offset:         24
        .size:           4
        .value_kind:     by_value
      - .address_space:  global
        .offset:         32
        .size:           8
        .value_kind:     global_buffer
      - .address_space:  global
        .offset:         40
        .size:           8
        .value_kind:     global_buffer
      - .offset:         48
        .size:           4
        .value_kind:     by_value
      - .offset:         52
        .size:           4
        .value_kind:     by_value
      - .offset:         56
        .size:           4
        .value_kind:     by_value
      - .offset:         60
        .size:           1
        .value_kind:     by_value
      - .address_space:  global
        .offset:         64
        .size:           8
        .value_kind:     global_buffer
    .group_segment_fixed_size: 0
    .kernarg_segment_align: 8
    .kernarg_segment_size: 72
    .language:       OpenCL C
    .language_version:
      - 2
      - 0
    .max_flat_workgroup_size: 256
    .name:           _ZN4vllm3moe10topkGatingILi8ELi8ELi4ELi16ELi64Ej6__halfLNS0_11ScoringFuncE0EEEvPKT5_PKbPfiPT4_PiiiibPKf
    .private_segment_fixed_size: 0
    .sgpr_count:     18
    .sgpr_spill_count: 0
    .symbol:         _ZN4vllm3moe10topkGatingILi8ELi8ELi4ELi16ELi64Ej6__halfLNS0_11ScoringFuncE0EEEvPKT5_PKbPfiPT4_PiiiibPKf.kd
    .uniform_work_group_size: 1
    .uses_dynamic_stack: false
    .vgpr_count:     33
    .vgpr_spill_count: 0
    .wavefront_size: 32
    .workgroup_processor_mode: 1
  - .args:
      - .address_space:  global
        .offset:         0
        .size:           8
        .value_kind:     global_buffer
      - .address_space:  global
        .offset:         8
        .size:           8
        .value_kind:     global_buffer
      - .address_space:  global
        .offset:         16
        .size:           8
        .value_kind:     global_buffer
      - .offset:         24
        .size:           4
        .value_kind:     by_value
      - .address_space:  global
        .offset:         32
        .size:           8
        .value_kind:     global_buffer
      - .address_space:  global
        .offset:         40
        .size:           8
        .value_kind:     global_buffer
      - .offset:         48
        .size:           4
        .value_kind:     by_value
      - .offset:         52
        .size:           4
        .value_kind:     by_value
      - .offset:         56
        .size:           4
        .value_kind:     by_value
      - .offset:         60
        .size:           1
        .value_kind:     by_value
      - .address_space:  global
        .offset:         64
        .size:           8
        .value_kind:     global_buffer
    .group_segment_fixed_size: 0
    .kernarg_segment_align: 8
    .kernarg_segment_size: 72
    .language:       OpenCL C
    .language_version:
      - 2
      - 0
    .max_flat_workgroup_size: 128
    .name:           _ZN4vllm3moe10topkGatingILi8ELi8ELi4ELi16ELi32Ej6__halfLNS0_11ScoringFuncE0EEEvPKT5_PKbPfiPT4_PiiiibPKf
    .private_segment_fixed_size: 0
    .sgpr_count:     18
    .sgpr_spill_count: 0
    .symbol:         _ZN4vllm3moe10topkGatingILi8ELi8ELi4ELi16ELi32Ej6__halfLNS0_11ScoringFuncE0EEEvPKT5_PKbPfiPT4_PiiiibPKf.kd
    .uniform_work_group_size: 1
    .uses_dynamic_stack: false
    .vgpr_count:     33
    .vgpr_spill_count: 0
    .wavefront_size: 32
    .workgroup_processor_mode: 1
  - .args:
      - .address_space:  global
        .offset:         0
        .size:           8
        .value_kind:     global_buffer
      - .address_space:  global
        .offset:         8
        .size:           8
        .value_kind:     global_buffer
      - .address_space:  global
        .offset:         16
        .size:           8
        .value_kind:     global_buffer
      - .offset:         24
        .size:           4
        .value_kind:     by_value
      - .address_space:  global
        .offset:         32
        .size:           8
        .value_kind:     global_buffer
      - .address_space:  global
        .offset:         40
        .size:           8
        .value_kind:     global_buffer
      - .offset:         48
        .size:           4
        .value_kind:     by_value
      - .offset:         52
        .size:           4
        .value_kind:     by_value
      - .offset:         56
        .size:           4
        .value_kind:     by_value
      - .offset:         60
        .size:           1
        .value_kind:     by_value
      - .address_space:  global
        .offset:         64
        .size:           8
        .value_kind:     global_buffer
    .group_segment_fixed_size: 0
    .kernarg_segment_align: 8
    .kernarg_segment_size: 72
    .language:       OpenCL C
    .language_version:
      - 2
      - 0
    .max_flat_workgroup_size: 256
    .name:           _ZN4vllm3moe10topkGatingILi8ELi16ELi4ELi16ELi64Ej6__halfLNS0_11ScoringFuncE0EEEvPKT5_PKbPfiPT4_PiiiibPKf
    .private_segment_fixed_size: 0
    .sgpr_count:     20
    .sgpr_spill_count: 0
    .symbol:         _ZN4vllm3moe10topkGatingILi8ELi16ELi4ELi16ELi64Ej6__halfLNS0_11ScoringFuncE0EEEvPKT5_PKbPfiPT4_PiiiibPKf.kd
    .uniform_work_group_size: 1
    .uses_dynamic_stack: false
    .vgpr_count:     35
    .vgpr_spill_count: 0
    .wavefront_size: 32
    .workgroup_processor_mode: 1
  - .args:
      - .address_space:  global
        .offset:         0
        .size:           8
        .value_kind:     global_buffer
      - .address_space:  global
        .offset:         8
        .size:           8
        .value_kind:     global_buffer
      - .address_space:  global
        .offset:         16
        .size:           8
        .value_kind:     global_buffer
      - .offset:         24
        .size:           4
        .value_kind:     by_value
      - .address_space:  global
        .offset:         32
        .size:           8
        .value_kind:     global_buffer
      - .address_space:  global
        .offset:         40
        .size:           8
        .value_kind:     global_buffer
      - .offset:         48
        .size:           4
        .value_kind:     by_value
      - .offset:         52
        .size:           4
        .value_kind:     by_value
      - .offset:         56
        .size:           4
        .value_kind:     by_value
      - .offset:         60
        .size:           1
        .value_kind:     by_value
      - .address_space:  global
        .offset:         64
        .size:           8
        .value_kind:     global_buffer
    .group_segment_fixed_size: 0
    .kernarg_segment_align: 8
    .kernarg_segment_size: 72
    .language:       OpenCL C
    .language_version:
      - 2
      - 0
    .max_flat_workgroup_size: 128
    .name:           _ZN4vllm3moe10topkGatingILi8ELi16ELi4ELi16ELi32Ej6__halfLNS0_11ScoringFuncE0EEEvPKT5_PKbPfiPT4_PiiiibPKf
    .private_segment_fixed_size: 0
    .sgpr_count:     20
    .sgpr_spill_count: 0
    .symbol:         _ZN4vllm3moe10topkGatingILi8ELi16ELi4ELi16ELi32Ej6__halfLNS0_11ScoringFuncE0EEEvPKT5_PKbPfiPT4_PiiiibPKf.kd
    .uniform_work_group_size: 1
    .uses_dynamic_stack: false
    .vgpr_count:     35
    .vgpr_spill_count: 0
    .wavefront_size: 32
    .workgroup_processor_mode: 1
  - .args:
      - .address_space:  global
        .offset:         0
        .size:           8
        .value_kind:     global_buffer
      - .address_space:  global
        .offset:         8
        .size:           8
        .value_kind:     global_buffer
      - .address_space:  global
        .offset:         16
        .size:           8
        .value_kind:     global_buffer
      - .offset:         24
        .size:           4
        .value_kind:     by_value
      - .address_space:  global
        .offset:         32
        .size:           8
        .value_kind:     global_buffer
      - .address_space:  global
        .offset:         40
        .size:           8
        .value_kind:     global_buffer
      - .offset:         48
        .size:           4
        .value_kind:     by_value
      - .offset:         52
        .size:           4
        .value_kind:     by_value
      - .offset:         56
        .size:           4
        .value_kind:     by_value
      - .offset:         60
        .size:           1
        .value_kind:     by_value
      - .address_space:  global
        .offset:         64
        .size:           8
        .value_kind:     global_buffer
    .group_segment_fixed_size: 0
    .kernarg_segment_align: 8
    .kernarg_segment_size: 72
    .language:       OpenCL C
    .language_version:
      - 2
      - 0
    .max_flat_workgroup_size: 256
    .name:           _ZN4vllm3moe10topkGatingILi8ELi32ELi4ELi16ELi64Ej6__halfLNS0_11ScoringFuncE0EEEvPKT5_PKbPfiPT4_PiiiibPKf
    .private_segment_fixed_size: 0
    .sgpr_count:     20
    .sgpr_spill_count: 0
    .symbol:         _ZN4vllm3moe10topkGatingILi8ELi32ELi4ELi16ELi64Ej6__halfLNS0_11ScoringFuncE0EEEvPKT5_PKbPfiPT4_PiiiibPKf.kd
    .uniform_work_group_size: 1
    .uses_dynamic_stack: false
    .vgpr_count:     36
    .vgpr_spill_count: 0
    .wavefront_size: 32
    .workgroup_processor_mode: 1
  - .args:
      - .address_space:  global
        .offset:         0
        .size:           8
        .value_kind:     global_buffer
      - .address_space:  global
        .offset:         8
        .size:           8
        .value_kind:     global_buffer
      - .address_space:  global
        .offset:         16
        .size:           8
        .value_kind:     global_buffer
      - .offset:         24
        .size:           4
        .value_kind:     by_value
      - .address_space:  global
        .offset:         32
        .size:           8
        .value_kind:     global_buffer
      - .address_space:  global
        .offset:         40
        .size:           8
        .value_kind:     global_buffer
      - .offset:         48
        .size:           4
        .value_kind:     by_value
      - .offset:         52
        .size:           4
        .value_kind:     by_value
      - .offset:         56
        .size:           4
        .value_kind:     by_value
      - .offset:         60
        .size:           1
        .value_kind:     by_value
      - .address_space:  global
        .offset:         64
        .size:           8
        .value_kind:     global_buffer
    .group_segment_fixed_size: 0
    .kernarg_segment_align: 8
    .kernarg_segment_size: 72
    .language:       OpenCL C
    .language_version:
      - 2
      - 0
    .max_flat_workgroup_size: 128
    .name:           _ZN4vllm3moe10topkGatingILi8ELi32ELi4ELi16ELi32Ej6__halfLNS0_11ScoringFuncE0EEEvPKT5_PKbPfiPT4_PiiiibPKf
    .private_segment_fixed_size: 0
    .sgpr_count:     20
    .sgpr_spill_count: 0
    .symbol:         _ZN4vllm3moe10topkGatingILi8ELi32ELi4ELi16ELi32Ej6__halfLNS0_11ScoringFuncE0EEEvPKT5_PKbPfiPT4_PiiiibPKf.kd
    .uniform_work_group_size: 1
    .uses_dynamic_stack: false
    .vgpr_count:     36
    .vgpr_spill_count: 0
    .wavefront_size: 32
    .workgroup_processor_mode: 1
  - .args:
      - .address_space:  global
        .offset:         0
        .size:           8
        .value_kind:     global_buffer
      - .address_space:  global
        .offset:         8
        .size:           8
        .value_kind:     global_buffer
      - .address_space:  global
        .offset:         16
        .size:           8
        .value_kind:     global_buffer
      - .offset:         24
        .size:           4
        .value_kind:     by_value
      - .address_space:  global
        .offset:         32
        .size:           8
        .value_kind:     global_buffer
      - .address_space:  global
        .offset:         40
        .size:           8
        .value_kind:     global_buffer
      - .offset:         48
        .size:           4
        .value_kind:     by_value
      - .offset:         52
        .size:           4
        .value_kind:     by_value
      - .offset:         56
        .size:           4
        .value_kind:     by_value
      - .offset:         60
        .size:           1
        .value_kind:     by_value
      - .address_space:  global
        .offset:         64
        .size:           8
        .value_kind:     global_buffer
    .group_segment_fixed_size: 0
    .kernarg_segment_align: 8
    .kernarg_segment_size: 72
    .language:       OpenCL C
    .language_version:
      - 2
      - 0
    .max_flat_workgroup_size: 256
    .name:           _ZN4vllm3moe10topkGatingILi8ELi64ELi4ELi16ELi64Ej6__halfLNS0_11ScoringFuncE0EEEvPKT5_PKbPfiPT4_PiiiibPKf
    .private_segment_fixed_size: 0
    .sgpr_count:     20
    .sgpr_spill_count: 0
    .symbol:         _ZN4vllm3moe10topkGatingILi8ELi64ELi4ELi16ELi64Ej6__halfLNS0_11ScoringFuncE0EEEvPKT5_PKbPfiPT4_PiiiibPKf.kd
    .uniform_work_group_size: 1
    .uses_dynamic_stack: false
    .vgpr_count:     37
    .vgpr_spill_count: 0
    .wavefront_size: 32
    .workgroup_processor_mode: 1
  - .args:
      - .address_space:  global
        .offset:         0
        .size:           8
        .value_kind:     global_buffer
      - .address_space:  global
        .offset:         8
        .size:           8
        .value_kind:     global_buffer
      - .address_space:  global
        .offset:         16
        .size:           8
        .value_kind:     global_buffer
      - .offset:         24
        .size:           4
        .value_kind:     by_value
      - .address_space:  global
        .offset:         32
        .size:           8
        .value_kind:     global_buffer
      - .address_space:  global
        .offset:         40
        .size:           8
        .value_kind:     global_buffer
      - .offset:         48
        .size:           4
        .value_kind:     by_value
      - .offset:         52
        .size:           4
        .value_kind:     by_value
      - .offset:         56
        .size:           4
        .value_kind:     by_value
      - .offset:         60
        .size:           1
        .value_kind:     by_value
      - .address_space:  global
        .offset:         64
        .size:           8
        .value_kind:     global_buffer
    .group_segment_fixed_size: 0
    .kernarg_segment_align: 8
    .kernarg_segment_size: 72
    .language:       OpenCL C
    .language_version:
      - 2
      - 0
    .max_flat_workgroup_size: 128
    .name:           _ZN4vllm3moe10topkGatingILi8ELi64ELi4ELi16ELi32Ej6__halfLNS0_11ScoringFuncE0EEEvPKT5_PKbPfiPT4_PiiiibPKf
    .private_segment_fixed_size: 0
    .sgpr_count:     20
    .sgpr_spill_count: 0
    .symbol:         _ZN4vllm3moe10topkGatingILi8ELi64ELi4ELi16ELi32Ej6__halfLNS0_11ScoringFuncE0EEEvPKT5_PKbPfiPT4_PiiiibPKf.kd
    .uniform_work_group_size: 1
    .uses_dynamic_stack: false
    .vgpr_count:     37
    .vgpr_spill_count: 0
    .wavefront_size: 32
    .workgroup_processor_mode: 1
  - .args:
      - .address_space:  global
        .offset:         0
        .size:           8
        .value_kind:     global_buffer
      - .address_space:  global
        .offset:         8
        .size:           8
        .value_kind:     global_buffer
      - .address_space:  global
        .offset:         16
        .size:           8
        .value_kind:     global_buffer
      - .offset:         24
        .size:           4
        .value_kind:     by_value
      - .address_space:  global
        .offset:         32
        .size:           8
        .value_kind:     global_buffer
      - .address_space:  global
        .offset:         40
        .size:           8
        .value_kind:     global_buffer
      - .offset:         48
        .size:           4
        .value_kind:     by_value
      - .offset:         52
        .size:           4
        .value_kind:     by_value
      - .offset:         56
        .size:           4
        .value_kind:     by_value
      - .offset:         60
        .size:           1
        .value_kind:     by_value
      - .address_space:  global
        .offset:         64
        .size:           8
        .value_kind:     global_buffer
    .group_segment_fixed_size: 0
    .kernarg_segment_align: 8
    .kernarg_segment_size: 72
    .language:       OpenCL C
    .language_version:
      - 2
      - 0
    .max_flat_workgroup_size: 256
    .name:           _ZN4vllm3moe10topkGatingILi8ELi128ELi4ELi16ELi64Ej6__halfLNS0_11ScoringFuncE0EEEvPKT5_PKbPfiPT4_PiiiibPKf
    .private_segment_fixed_size: 0
    .sgpr_count:     20
    .sgpr_spill_count: 0
    .symbol:         _ZN4vllm3moe10topkGatingILi8ELi128ELi4ELi16ELi64Ej6__halfLNS0_11ScoringFuncE0EEEvPKT5_PKbPfiPT4_PiiiibPKf.kd
    .uniform_work_group_size: 1
    .uses_dynamic_stack: false
    .vgpr_count:     38
    .vgpr_spill_count: 0
    .wavefront_size: 32
    .workgroup_processor_mode: 1
  - .args:
      - .address_space:  global
        .offset:         0
        .size:           8
        .value_kind:     global_buffer
      - .address_space:  global
        .offset:         8
        .size:           8
        .value_kind:     global_buffer
      - .address_space:  global
        .offset:         16
        .size:           8
        .value_kind:     global_buffer
      - .offset:         24
        .size:           4
        .value_kind:     by_value
      - .address_space:  global
        .offset:         32
        .size:           8
        .value_kind:     global_buffer
      - .address_space:  global
        .offset:         40
        .size:           8
        .value_kind:     global_buffer
      - .offset:         48
        .size:           4
        .value_kind:     by_value
      - .offset:         52
        .size:           4
        .value_kind:     by_value
      - .offset:         56
        .size:           4
        .value_kind:     by_value
      - .offset:         60
        .size:           1
        .value_kind:     by_value
      - .address_space:  global
        .offset:         64
        .size:           8
        .value_kind:     global_buffer
    .group_segment_fixed_size: 0
    .kernarg_segment_align: 8
    .kernarg_segment_size: 72
    .language:       OpenCL C
    .language_version:
      - 2
      - 0
    .max_flat_workgroup_size: 128
    .name:           _ZN4vllm3moe10topkGatingILi8ELi128ELi4ELi16ELi32Ej6__halfLNS0_11ScoringFuncE0EEEvPKT5_PKbPfiPT4_PiiiibPKf
    .private_segment_fixed_size: 0
    .sgpr_count:     20
    .sgpr_spill_count: 0
    .symbol:         _ZN4vllm3moe10topkGatingILi8ELi128ELi4ELi16ELi32Ej6__halfLNS0_11ScoringFuncE0EEEvPKT5_PKbPfiPT4_PiiiibPKf.kd
    .uniform_work_group_size: 1
    .uses_dynamic_stack: false
    .vgpr_count:     38
    .vgpr_spill_count: 0
    .wavefront_size: 32
    .workgroup_processor_mode: 1
  - .args:
      - .address_space:  global
        .offset:         0
        .size:           8
        .value_kind:     global_buffer
      - .address_space:  global
        .offset:         8
        .size:           8
        .value_kind:     global_buffer
      - .address_space:  global
        .offset:         16
        .size:           8
        .value_kind:     global_buffer
      - .offset:         24
        .size:           4
        .value_kind:     by_value
      - .address_space:  global
        .offset:         32
        .size:           8
        .value_kind:     global_buffer
      - .address_space:  global
        .offset:         40
        .size:           8
        .value_kind:     global_buffer
      - .offset:         48
        .size:           4
        .value_kind:     by_value
      - .offset:         52
        .size:           4
        .value_kind:     by_value
      - .offset:         56
        .size:           4
        .value_kind:     by_value
      - .offset:         60
        .size:           1
        .value_kind:     by_value
      - .address_space:  global
        .offset:         64
        .size:           8
        .value_kind:     global_buffer
    .group_segment_fixed_size: 0
    .kernarg_segment_align: 8
    .kernarg_segment_size: 72
    .language:       OpenCL C
    .language_version:
      - 2
      - 0
    .max_flat_workgroup_size: 256
    .name:           _ZN4vllm3moe10topkGatingILi8ELi256ELi4ELi16ELi64Ej6__halfLNS0_11ScoringFuncE0EEEvPKT5_PKbPfiPT4_PiiiibPKf
    .private_segment_fixed_size: 0
    .sgpr_count:     20
    .sgpr_spill_count: 0
    .symbol:         _ZN4vllm3moe10topkGatingILi8ELi256ELi4ELi16ELi64Ej6__halfLNS0_11ScoringFuncE0EEEvPKT5_PKbPfiPT4_PiiiibPKf.kd
    .uniform_work_group_size: 1
    .uses_dynamic_stack: false
    .vgpr_count:     39
    .vgpr_spill_count: 0
    .wavefront_size: 32
    .workgroup_processor_mode: 1
  - .args:
      - .address_space:  global
        .offset:         0
        .size:           8
        .value_kind:     global_buffer
      - .address_space:  global
        .offset:         8
        .size:           8
        .value_kind:     global_buffer
      - .address_space:  global
        .offset:         16
        .size:           8
        .value_kind:     global_buffer
      - .offset:         24
        .size:           4
        .value_kind:     by_value
      - .address_space:  global
        .offset:         32
        .size:           8
        .value_kind:     global_buffer
      - .address_space:  global
        .offset:         40
        .size:           8
        .value_kind:     global_buffer
      - .offset:         48
        .size:           4
        .value_kind:     by_value
      - .offset:         52
        .size:           4
        .value_kind:     by_value
      - .offset:         56
        .size:           4
        .value_kind:     by_value
      - .offset:         60
        .size:           1
        .value_kind:     by_value
      - .address_space:  global
        .offset:         64
        .size:           8
        .value_kind:     global_buffer
    .group_segment_fixed_size: 0
    .kernarg_segment_align: 8
    .kernarg_segment_size: 72
    .language:       OpenCL C
    .language_version:
      - 2
      - 0
    .max_flat_workgroup_size: 128
    .name:           _ZN4vllm3moe10topkGatingILi8ELi256ELi4ELi16ELi32Ej6__halfLNS0_11ScoringFuncE0EEEvPKT5_PKbPfiPT4_PiiiibPKf
    .private_segment_fixed_size: 0
    .sgpr_count:     20
    .sgpr_spill_count: 0
    .symbol:         _ZN4vllm3moe10topkGatingILi8ELi256ELi4ELi16ELi32Ej6__halfLNS0_11ScoringFuncE0EEEvPKT5_PKbPfiPT4_PiiiibPKf.kd
    .uniform_work_group_size: 1
    .uses_dynamic_stack: false
    .vgpr_count:     39
    .vgpr_spill_count: 0
    .wavefront_size: 32
    .workgroup_processor_mode: 1
  - .args:
      - .address_space:  global
        .offset:         0
        .size:           8
        .value_kind:     global_buffer
      - .address_space:  global
        .offset:         8
        .size:           8
        .value_kind:     global_buffer
      - .address_space:  global
        .offset:         16
        .size:           8
        .value_kind:     global_buffer
      - .offset:         24
        .size:           4
        .value_kind:     by_value
      - .address_space:  global
        .offset:         32
        .size:           8
        .value_kind:     global_buffer
      - .address_space:  global
        .offset:         40
        .size:           8
        .value_kind:     global_buffer
      - .offset:         48
        .size:           4
        .value_kind:     by_value
      - .offset:         52
        .size:           4
        .value_kind:     by_value
      - .offset:         56
        .size:           4
        .value_kind:     by_value
      - .offset:         60
        .size:           1
        .value_kind:     by_value
      - .address_space:  global
        .offset:         64
        .size:           8
        .value_kind:     global_buffer
    .group_segment_fixed_size: 0
    .kernarg_segment_align: 8
    .kernarg_segment_size: 72
    .language:       OpenCL C
    .language_version:
      - 2
      - 0
    .max_flat_workgroup_size: 256
    .name:           _ZN4vllm3moe10topkGatingILi8ELi512ELi4ELi16ELi64Ej6__halfLNS0_11ScoringFuncE0EEEvPKT5_PKbPfiPT4_PiiiibPKf
    .private_segment_fixed_size: 0
    .sgpr_count:     20
    .sgpr_spill_count: 0
    .symbol:         _ZN4vllm3moe10topkGatingILi8ELi512ELi4ELi16ELi64Ej6__halfLNS0_11ScoringFuncE0EEEvPKT5_PKbPfiPT4_PiiiibPKf.kd
    .uniform_work_group_size: 1
    .uses_dynamic_stack: false
    .vgpr_count:     40
    .vgpr_spill_count: 0
    .wavefront_size: 32
    .workgroup_processor_mode: 1
  - .args:
      - .address_space:  global
        .offset:         0
        .size:           8
        .value_kind:     global_buffer
      - .address_space:  global
        .offset:         8
        .size:           8
        .value_kind:     global_buffer
      - .address_space:  global
        .offset:         16
        .size:           8
        .value_kind:     global_buffer
      - .offset:         24
        .size:           4
        .value_kind:     by_value
      - .address_space:  global
        .offset:         32
        .size:           8
        .value_kind:     global_buffer
      - .address_space:  global
        .offset:         40
        .size:           8
        .value_kind:     global_buffer
      - .offset:         48
        .size:           4
        .value_kind:     by_value
      - .offset:         52
        .size:           4
        .value_kind:     by_value
      - .offset:         56
        .size:           4
        .value_kind:     by_value
      - .offset:         60
        .size:           1
        .value_kind:     by_value
      - .address_space:  global
        .offset:         64
        .size:           8
        .value_kind:     global_buffer
    .group_segment_fixed_size: 0
    .kernarg_segment_align: 8
    .kernarg_segment_size: 72
    .language:       OpenCL C
    .language_version:
      - 2
      - 0
    .max_flat_workgroup_size: 128
    .name:           _ZN4vllm3moe10topkGatingILi16ELi512ELi4ELi16ELi32Ej6__halfLNS0_11ScoringFuncE0EEEvPKT5_PKbPfiPT4_PiiiibPKf
    .private_segment_fixed_size: 0
    .sgpr_count:     20
    .sgpr_spill_count: 0
    .symbol:         _ZN4vllm3moe10topkGatingILi16ELi512ELi4ELi16ELi32Ej6__halfLNS0_11ScoringFuncE0EEEvPKT5_PKbPfiPT4_PiiiibPKf.kd
    .uniform_work_group_size: 1
    .uses_dynamic_stack: false
    .vgpr_count:     71
    .vgpr_spill_count: 0
    .wavefront_size: 32
    .workgroup_processor_mode: 1
  - .args:
      - .address_space:  global
        .offset:         0
        .size:           8
        .value_kind:     global_buffer
      - .address_space:  global
        .offset:         8
        .size:           8
        .value_kind:     global_buffer
      - .address_space:  global
        .offset:         16
        .size:           8
        .value_kind:     global_buffer
      - .offset:         24
        .size:           4
        .value_kind:     by_value
      - .address_space:  global
        .offset:         32
        .size:           8
        .value_kind:     global_buffer
      - .address_space:  global
        .offset:         40
        .size:           8
        .value_kind:     global_buffer
      - .offset:         48
        .size:           4
        .value_kind:     by_value
      - .offset:         52
        .size:           4
        .value_kind:     by_value
      - .offset:         56
        .size:           4
        .value_kind:     by_value
      - .offset:         60
        .size:           1
        .value_kind:     by_value
      - .address_space:  global
        .offset:         64
        .size:           8
        .value_kind:     global_buffer
    .group_segment_fixed_size: 0
    .kernarg_segment_align: 8
    .kernarg_segment_size: 72
    .language:       OpenCL C
    .language_version:
      - 2
      - 0
    .max_flat_workgroup_size: 256
    .name:           _ZN4vllm3moe10topkGatingILi1ELi1ELi4ELi2ELi64El6__halfLNS0_11ScoringFuncE0EEEvPKT5_PKbPfiPT4_PiiiibPKf
    .private_segment_fixed_size: 0
    .sgpr_count:     18
    .sgpr_spill_count: 0
    .symbol:         _ZN4vllm3moe10topkGatingILi1ELi1ELi4ELi2ELi64El6__halfLNS0_11ScoringFuncE0EEEvPKT5_PKbPfiPT4_PiiiibPKf.kd
    .uniform_work_group_size: 1
    .uses_dynamic_stack: false
    .vgpr_count:     14
    .vgpr_spill_count: 0
    .wavefront_size: 32
    .workgroup_processor_mode: 1
  - .args:
      - .address_space:  global
        .offset:         0
        .size:           8
        .value_kind:     global_buffer
      - .address_space:  global
        .offset:         8
        .size:           8
        .value_kind:     global_buffer
      - .address_space:  global
        .offset:         16
        .size:           8
        .value_kind:     global_buffer
      - .offset:         24
        .size:           4
        .value_kind:     by_value
      - .address_space:  global
        .offset:         32
        .size:           8
        .value_kind:     global_buffer
      - .address_space:  global
        .offset:         40
        .size:           8
        .value_kind:     global_buffer
      - .offset:         48
        .size:           4
        .value_kind:     by_value
      - .offset:         52
        .size:           4
        .value_kind:     by_value
      - .offset:         56
        .size:           4
        .value_kind:     by_value
      - .offset:         60
        .size:           1
        .value_kind:     by_value
      - .address_space:  global
        .offset:         64
        .size:           8
        .value_kind:     global_buffer
    .group_segment_fixed_size: 0
    .kernarg_segment_align: 8
    .kernarg_segment_size: 72
    .language:       OpenCL C
    .language_version:
      - 2
      - 0
    .max_flat_workgroup_size: 128
    .name:           _ZN4vllm3moe10topkGatingILi1ELi1ELi4ELi2ELi32El6__halfLNS0_11ScoringFuncE0EEEvPKT5_PKbPfiPT4_PiiiibPKf
    .private_segment_fixed_size: 0
    .sgpr_count:     18
    .sgpr_spill_count: 0
    .symbol:         _ZN4vllm3moe10topkGatingILi1ELi1ELi4ELi2ELi32El6__halfLNS0_11ScoringFuncE0EEEvPKT5_PKbPfiPT4_PiiiibPKf.kd
    .uniform_work_group_size: 1
    .uses_dynamic_stack: false
    .vgpr_count:     14
    .vgpr_spill_count: 0
    .wavefront_size: 32
    .workgroup_processor_mode: 1
  - .args:
      - .address_space:  global
        .offset:         0
        .size:           8
        .value_kind:     global_buffer
      - .address_space:  global
        .offset:         8
        .size:           8
        .value_kind:     global_buffer
      - .address_space:  global
        .offset:         16
        .size:           8
        .value_kind:     global_buffer
      - .offset:         24
        .size:           4
        .value_kind:     by_value
      - .address_space:  global
        .offset:         32
        .size:           8
        .value_kind:     global_buffer
      - .address_space:  global
        .offset:         40
        .size:           8
        .value_kind:     global_buffer
      - .offset:         48
        .size:           4
        .value_kind:     by_value
      - .offset:         52
        .size:           4
        .value_kind:     by_value
      - .offset:         56
        .size:           4
        .value_kind:     by_value
      - .offset:         60
        .size:           1
        .value_kind:     by_value
      - .address_space:  global
        .offset:         64
        .size:           8
        .value_kind:     global_buffer
    .group_segment_fixed_size: 0
    .kernarg_segment_align: 8
    .kernarg_segment_size: 72
    .language:       OpenCL C
    .language_version:
      - 2
      - 0
    .max_flat_workgroup_size: 256
    .name:           _ZN4vllm3moe10topkGatingILi2ELi2ELi4ELi4ELi64El6__halfLNS0_11ScoringFuncE0EEEvPKT5_PKbPfiPT4_PiiiibPKf
    .private_segment_fixed_size: 0
    .sgpr_count:     18
    .sgpr_spill_count: 0
    .symbol:         _ZN4vllm3moe10topkGatingILi2ELi2ELi4ELi4ELi64El6__halfLNS0_11ScoringFuncE0EEEvPKT5_PKbPfiPT4_PiiiibPKf.kd
    .uniform_work_group_size: 1
    .uses_dynamic_stack: false
    .vgpr_count:     18
    .vgpr_spill_count: 0
    .wavefront_size: 32
    .workgroup_processor_mode: 1
  - .args:
      - .address_space:  global
        .offset:         0
        .size:           8
        .value_kind:     global_buffer
      - .address_space:  global
        .offset:         8
        .size:           8
        .value_kind:     global_buffer
      - .address_space:  global
        .offset:         16
        .size:           8
        .value_kind:     global_buffer
      - .offset:         24
        .size:           4
        .value_kind:     by_value
      - .address_space:  global
        .offset:         32
        .size:           8
        .value_kind:     global_buffer
      - .address_space:  global
        .offset:         40
        .size:           8
        .value_kind:     global_buffer
      - .offset:         48
        .size:           4
        .value_kind:     by_value
      - .offset:         52
        .size:           4
        .value_kind:     by_value
      - .offset:         56
        .size:           4
        .value_kind:     by_value
      - .offset:         60
        .size:           1
        .value_kind:     by_value
      - .address_space:  global
        .offset:         64
        .size:           8
        .value_kind:     global_buffer
    .group_segment_fixed_size: 0
    .kernarg_segment_align: 8
    .kernarg_segment_size: 72
    .language:       OpenCL C
    .language_version:
      - 2
      - 0
    .max_flat_workgroup_size: 128
    .name:           _ZN4vllm3moe10topkGatingILi2ELi2ELi4ELi4ELi32El6__halfLNS0_11ScoringFuncE0EEEvPKT5_PKbPfiPT4_PiiiibPKf
    .private_segment_fixed_size: 0
    .sgpr_count:     18
    .sgpr_spill_count: 0
    .symbol:         _ZN4vllm3moe10topkGatingILi2ELi2ELi4ELi4ELi32El6__halfLNS0_11ScoringFuncE0EEEvPKT5_PKbPfiPT4_PiiiibPKf.kd
    .uniform_work_group_size: 1
    .uses_dynamic_stack: false
    .vgpr_count:     18
    .vgpr_spill_count: 0
    .wavefront_size: 32
    .workgroup_processor_mode: 1
  - .args:
      - .address_space:  global
        .offset:         0
        .size:           8
        .value_kind:     global_buffer
      - .address_space:  global
        .offset:         8
        .size:           8
        .value_kind:     global_buffer
      - .address_space:  global
        .offset:         16
        .size:           8
        .value_kind:     global_buffer
      - .offset:         24
        .size:           4
        .value_kind:     by_value
      - .address_space:  global
        .offset:         32
        .size:           8
        .value_kind:     global_buffer
      - .address_space:  global
        .offset:         40
        .size:           8
        .value_kind:     global_buffer
      - .offset:         48
        .size:           4
        .value_kind:     by_value
      - .offset:         52
        .size:           4
        .value_kind:     by_value
      - .offset:         56
        .size:           4
        .value_kind:     by_value
      - .offset:         60
        .size:           1
        .value_kind:     by_value
      - .address_space:  global
        .offset:         64
        .size:           8
        .value_kind:     global_buffer
    .group_segment_fixed_size: 0
    .kernarg_segment_align: 8
    .kernarg_segment_size: 72
    .language:       OpenCL C
    .language_version:
      - 2
      - 0
    .max_flat_workgroup_size: 256
    .name:           _ZN4vllm3moe10topkGatingILi4ELi4ELi4ELi8ELi64El6__halfLNS0_11ScoringFuncE0EEEvPKT5_PKbPfiPT4_PiiiibPKf
    .private_segment_fixed_size: 0
    .sgpr_count:     18
    .sgpr_spill_count: 0
    .symbol:         _ZN4vllm3moe10topkGatingILi4ELi4ELi4ELi8ELi64El6__halfLNS0_11ScoringFuncE0EEEvPKT5_PKbPfiPT4_PiiiibPKf.kd
    .uniform_work_group_size: 1
    .uses_dynamic_stack: false
    .vgpr_count:     24
    .vgpr_spill_count: 0
    .wavefront_size: 32
    .workgroup_processor_mode: 1
  - .args:
      - .address_space:  global
        .offset:         0
        .size:           8
        .value_kind:     global_buffer
      - .address_space:  global
        .offset:         8
        .size:           8
        .value_kind:     global_buffer
      - .address_space:  global
        .offset:         16
        .size:           8
        .value_kind:     global_buffer
      - .offset:         24
        .size:           4
        .value_kind:     by_value
      - .address_space:  global
        .offset:         32
        .size:           8
        .value_kind:     global_buffer
      - .address_space:  global
        .offset:         40
        .size:           8
        .value_kind:     global_buffer
      - .offset:         48
        .size:           4
        .value_kind:     by_value
      - .offset:         52
        .size:           4
        .value_kind:     by_value
      - .offset:         56
        .size:           4
        .value_kind:     by_value
      - .offset:         60
        .size:           1
        .value_kind:     by_value
      - .address_space:  global
        .offset:         64
        .size:           8
        .value_kind:     global_buffer
    .group_segment_fixed_size: 0
    .kernarg_segment_align: 8
    .kernarg_segment_size: 72
    .language:       OpenCL C
    .language_version:
      - 2
      - 0
    .max_flat_workgroup_size: 128
    .name:           _ZN4vllm3moe10topkGatingILi4ELi4ELi4ELi8ELi32El6__halfLNS0_11ScoringFuncE0EEEvPKT5_PKbPfiPT4_PiiiibPKf
    .private_segment_fixed_size: 0
    .sgpr_count:     18
    .sgpr_spill_count: 0
    .symbol:         _ZN4vllm3moe10topkGatingILi4ELi4ELi4ELi8ELi32El6__halfLNS0_11ScoringFuncE0EEEvPKT5_PKbPfiPT4_PiiiibPKf.kd
    .uniform_work_group_size: 1
    .uses_dynamic_stack: false
    .vgpr_count:     24
    .vgpr_spill_count: 0
    .wavefront_size: 32
    .workgroup_processor_mode: 1
  - .args:
      - .address_space:  global
        .offset:         0
        .size:           8
        .value_kind:     global_buffer
      - .address_space:  global
        .offset:         8
        .size:           8
        .value_kind:     global_buffer
      - .address_space:  global
        .offset:         16
        .size:           8
        .value_kind:     global_buffer
      - .offset:         24
        .size:           4
        .value_kind:     by_value
      - .address_space:  global
        .offset:         32
        .size:           8
        .value_kind:     global_buffer
      - .address_space:  global
        .offset:         40
        .size:           8
        .value_kind:     global_buffer
      - .offset:         48
        .size:           4
        .value_kind:     by_value
      - .offset:         52
        .size:           4
        .value_kind:     by_value
      - .offset:         56
        .size:           4
        .value_kind:     by_value
      - .offset:         60
        .size:           1
        .value_kind:     by_value
      - .address_space:  global
        .offset:         64
        .size:           8
        .value_kind:     global_buffer
    .group_segment_fixed_size: 0
    .kernarg_segment_align: 8
    .kernarg_segment_size: 72
    .language:       OpenCL C
    .language_version:
      - 2
      - 0
    .max_flat_workgroup_size: 256
    .name:           _ZN4vllm3moe10topkGatingILi8ELi8ELi4ELi16ELi64El6__halfLNS0_11ScoringFuncE0EEEvPKT5_PKbPfiPT4_PiiiibPKf
    .private_segment_fixed_size: 0
    .sgpr_count:     18
    .sgpr_spill_count: 0
    .symbol:         _ZN4vllm3moe10topkGatingILi8ELi8ELi4ELi16ELi64El6__halfLNS0_11ScoringFuncE0EEEvPKT5_PKbPfiPT4_PiiiibPKf.kd
    .uniform_work_group_size: 1
    .uses_dynamic_stack: false
    .vgpr_count:     35
    .vgpr_spill_count: 0
    .wavefront_size: 32
    .workgroup_processor_mode: 1
  - .args:
      - .address_space:  global
        .offset:         0
        .size:           8
        .value_kind:     global_buffer
      - .address_space:  global
        .offset:         8
        .size:           8
        .value_kind:     global_buffer
      - .address_space:  global
        .offset:         16
        .size:           8
        .value_kind:     global_buffer
      - .offset:         24
        .size:           4
        .value_kind:     by_value
      - .address_space:  global
        .offset:         32
        .size:           8
        .value_kind:     global_buffer
      - .address_space:  global
        .offset:         40
        .size:           8
        .value_kind:     global_buffer
      - .offset:         48
        .size:           4
        .value_kind:     by_value
      - .offset:         52
        .size:           4
        .value_kind:     by_value
      - .offset:         56
        .size:           4
        .value_kind:     by_value
      - .offset:         60
        .size:           1
        .value_kind:     by_value
      - .address_space:  global
        .offset:         64
        .size:           8
        .value_kind:     global_buffer
    .group_segment_fixed_size: 0
    .kernarg_segment_align: 8
    .kernarg_segment_size: 72
    .language:       OpenCL C
    .language_version:
      - 2
      - 0
    .max_flat_workgroup_size: 128
    .name:           _ZN4vllm3moe10topkGatingILi8ELi8ELi4ELi16ELi32El6__halfLNS0_11ScoringFuncE0EEEvPKT5_PKbPfiPT4_PiiiibPKf
    .private_segment_fixed_size: 0
    .sgpr_count:     18
    .sgpr_spill_count: 0
    .symbol:         _ZN4vllm3moe10topkGatingILi8ELi8ELi4ELi16ELi32El6__halfLNS0_11ScoringFuncE0EEEvPKT5_PKbPfiPT4_PiiiibPKf.kd
    .uniform_work_group_size: 1
    .uses_dynamic_stack: false
    .vgpr_count:     35
    .vgpr_spill_count: 0
    .wavefront_size: 32
    .workgroup_processor_mode: 1
  - .args:
      - .address_space:  global
        .offset:         0
        .size:           8
        .value_kind:     global_buffer
      - .address_space:  global
        .offset:         8
        .size:           8
        .value_kind:     global_buffer
      - .address_space:  global
        .offset:         16
        .size:           8
        .value_kind:     global_buffer
      - .offset:         24
        .size:           4
        .value_kind:     by_value
      - .address_space:  global
        .offset:         32
        .size:           8
        .value_kind:     global_buffer
      - .address_space:  global
        .offset:         40
        .size:           8
        .value_kind:     global_buffer
      - .offset:         48
        .size:           4
        .value_kind:     by_value
      - .offset:         52
        .size:           4
        .value_kind:     by_value
      - .offset:         56
        .size:           4
        .value_kind:     by_value
      - .offset:         60
        .size:           1
        .value_kind:     by_value
      - .address_space:  global
        .offset:         64
        .size:           8
        .value_kind:     global_buffer
    .group_segment_fixed_size: 0
    .kernarg_segment_align: 8
    .kernarg_segment_size: 72
    .language:       OpenCL C
    .language_version:
      - 2
      - 0
    .max_flat_workgroup_size: 256
    .name:           _ZN4vllm3moe10topkGatingILi8ELi16ELi4ELi16ELi64El6__halfLNS0_11ScoringFuncE0EEEvPKT5_PKbPfiPT4_PiiiibPKf
    .private_segment_fixed_size: 0
    .sgpr_count:     20
    .sgpr_spill_count: 0
    .symbol:         _ZN4vllm3moe10topkGatingILi8ELi16ELi4ELi16ELi64El6__halfLNS0_11ScoringFuncE0EEEvPKT5_PKbPfiPT4_PiiiibPKf.kd
    .uniform_work_group_size: 1
    .uses_dynamic_stack: false
    .vgpr_count:     35
    .vgpr_spill_count: 0
    .wavefront_size: 32
    .workgroup_processor_mode: 1
  - .args:
      - .address_space:  global
        .offset:         0
        .size:           8
        .value_kind:     global_buffer
      - .address_space:  global
        .offset:         8
        .size:           8
        .value_kind:     global_buffer
      - .address_space:  global
        .offset:         16
        .size:           8
        .value_kind:     global_buffer
      - .offset:         24
        .size:           4
        .value_kind:     by_value
      - .address_space:  global
        .offset:         32
        .size:           8
        .value_kind:     global_buffer
      - .address_space:  global
        .offset:         40
        .size:           8
        .value_kind:     global_buffer
      - .offset:         48
        .size:           4
        .value_kind:     by_value
      - .offset:         52
        .size:           4
        .value_kind:     by_value
      - .offset:         56
        .size:           4
        .value_kind:     by_value
      - .offset:         60
        .size:           1
        .value_kind:     by_value
      - .address_space:  global
        .offset:         64
        .size:           8
        .value_kind:     global_buffer
    .group_segment_fixed_size: 0
    .kernarg_segment_align: 8
    .kernarg_segment_size: 72
    .language:       OpenCL C
    .language_version:
      - 2
      - 0
    .max_flat_workgroup_size: 128
    .name:           _ZN4vllm3moe10topkGatingILi8ELi16ELi4ELi16ELi32El6__halfLNS0_11ScoringFuncE0EEEvPKT5_PKbPfiPT4_PiiiibPKf
    .private_segment_fixed_size: 0
    .sgpr_count:     20
    .sgpr_spill_count: 0
    .symbol:         _ZN4vllm3moe10topkGatingILi8ELi16ELi4ELi16ELi32El6__halfLNS0_11ScoringFuncE0EEEvPKT5_PKbPfiPT4_PiiiibPKf.kd
    .uniform_work_group_size: 1
    .uses_dynamic_stack: false
    .vgpr_count:     35
    .vgpr_spill_count: 0
    .wavefront_size: 32
    .workgroup_processor_mode: 1
  - .args:
      - .address_space:  global
        .offset:         0
        .size:           8
        .value_kind:     global_buffer
      - .address_space:  global
        .offset:         8
        .size:           8
        .value_kind:     global_buffer
      - .address_space:  global
        .offset:         16
        .size:           8
        .value_kind:     global_buffer
      - .offset:         24
        .size:           4
        .value_kind:     by_value
      - .address_space:  global
        .offset:         32
        .size:           8
        .value_kind:     global_buffer
      - .address_space:  global
        .offset:         40
        .size:           8
        .value_kind:     global_buffer
      - .offset:         48
        .size:           4
        .value_kind:     by_value
      - .offset:         52
        .size:           4
        .value_kind:     by_value
      - .offset:         56
        .size:           4
        .value_kind:     by_value
      - .offset:         60
        .size:           1
        .value_kind:     by_value
      - .address_space:  global
        .offset:         64
        .size:           8
        .value_kind:     global_buffer
    .group_segment_fixed_size: 0
    .kernarg_segment_align: 8
    .kernarg_segment_size: 72
    .language:       OpenCL C
    .language_version:
      - 2
      - 0
    .max_flat_workgroup_size: 256
    .name:           _ZN4vllm3moe10topkGatingILi8ELi32ELi4ELi16ELi64El6__halfLNS0_11ScoringFuncE0EEEvPKT5_PKbPfiPT4_PiiiibPKf
    .private_segment_fixed_size: 0
    .sgpr_count:     20
    .sgpr_spill_count: 0
    .symbol:         _ZN4vllm3moe10topkGatingILi8ELi32ELi4ELi16ELi64El6__halfLNS0_11ScoringFuncE0EEEvPKT5_PKbPfiPT4_PiiiibPKf.kd
    .uniform_work_group_size: 1
    .uses_dynamic_stack: false
    .vgpr_count:     36
    .vgpr_spill_count: 0
    .wavefront_size: 32
    .workgroup_processor_mode: 1
  - .args:
      - .address_space:  global
        .offset:         0
        .size:           8
        .value_kind:     global_buffer
      - .address_space:  global
        .offset:         8
        .size:           8
        .value_kind:     global_buffer
      - .address_space:  global
        .offset:         16
        .size:           8
        .value_kind:     global_buffer
      - .offset:         24
        .size:           4
        .value_kind:     by_value
      - .address_space:  global
        .offset:         32
        .size:           8
        .value_kind:     global_buffer
      - .address_space:  global
        .offset:         40
        .size:           8
        .value_kind:     global_buffer
      - .offset:         48
        .size:           4
        .value_kind:     by_value
      - .offset:         52
        .size:           4
        .value_kind:     by_value
      - .offset:         56
        .size:           4
        .value_kind:     by_value
      - .offset:         60
        .size:           1
        .value_kind:     by_value
      - .address_space:  global
        .offset:         64
        .size:           8
        .value_kind:     global_buffer
    .group_segment_fixed_size: 0
    .kernarg_segment_align: 8
    .kernarg_segment_size: 72
    .language:       OpenCL C
    .language_version:
      - 2
      - 0
    .max_flat_workgroup_size: 128
    .name:           _ZN4vllm3moe10topkGatingILi8ELi32ELi4ELi16ELi32El6__halfLNS0_11ScoringFuncE0EEEvPKT5_PKbPfiPT4_PiiiibPKf
    .private_segment_fixed_size: 0
    .sgpr_count:     20
    .sgpr_spill_count: 0
    .symbol:         _ZN4vllm3moe10topkGatingILi8ELi32ELi4ELi16ELi32El6__halfLNS0_11ScoringFuncE0EEEvPKT5_PKbPfiPT4_PiiiibPKf.kd
    .uniform_work_group_size: 1
    .uses_dynamic_stack: false
    .vgpr_count:     36
    .vgpr_spill_count: 0
    .wavefront_size: 32
    .workgroup_processor_mode: 1
  - .args:
      - .address_space:  global
        .offset:         0
        .size:           8
        .value_kind:     global_buffer
      - .address_space:  global
        .offset:         8
        .size:           8
        .value_kind:     global_buffer
      - .address_space:  global
        .offset:         16
        .size:           8
        .value_kind:     global_buffer
      - .offset:         24
        .size:           4
        .value_kind:     by_value
      - .address_space:  global
        .offset:         32
        .size:           8
        .value_kind:     global_buffer
      - .address_space:  global
        .offset:         40
        .size:           8
        .value_kind:     global_buffer
      - .offset:         48
        .size:           4
        .value_kind:     by_value
      - .offset:         52
        .size:           4
        .value_kind:     by_value
      - .offset:         56
        .size:           4
        .value_kind:     by_value
      - .offset:         60
        .size:           1
        .value_kind:     by_value
      - .address_space:  global
        .offset:         64
        .size:           8
        .value_kind:     global_buffer
    .group_segment_fixed_size: 0
    .kernarg_segment_align: 8
    .kernarg_segment_size: 72
    .language:       OpenCL C
    .language_version:
      - 2
      - 0
    .max_flat_workgroup_size: 256
    .name:           _ZN4vllm3moe10topkGatingILi8ELi64ELi4ELi16ELi64El6__halfLNS0_11ScoringFuncE0EEEvPKT5_PKbPfiPT4_PiiiibPKf
    .private_segment_fixed_size: 0
    .sgpr_count:     20
    .sgpr_spill_count: 0
    .symbol:         _ZN4vllm3moe10topkGatingILi8ELi64ELi4ELi16ELi64El6__halfLNS0_11ScoringFuncE0EEEvPKT5_PKbPfiPT4_PiiiibPKf.kd
    .uniform_work_group_size: 1
    .uses_dynamic_stack: false
    .vgpr_count:     37
    .vgpr_spill_count: 0
    .wavefront_size: 32
    .workgroup_processor_mode: 1
  - .args:
      - .address_space:  global
        .offset:         0
        .size:           8
        .value_kind:     global_buffer
      - .address_space:  global
        .offset:         8
        .size:           8
        .value_kind:     global_buffer
      - .address_space:  global
        .offset:         16
        .size:           8
        .value_kind:     global_buffer
      - .offset:         24
        .size:           4
        .value_kind:     by_value
      - .address_space:  global
        .offset:         32
        .size:           8
        .value_kind:     global_buffer
      - .address_space:  global
        .offset:         40
        .size:           8
        .value_kind:     global_buffer
      - .offset:         48
        .size:           4
        .value_kind:     by_value
      - .offset:         52
        .size:           4
        .value_kind:     by_value
      - .offset:         56
        .size:           4
        .value_kind:     by_value
      - .offset:         60
        .size:           1
        .value_kind:     by_value
      - .address_space:  global
        .offset:         64
        .size:           8
        .value_kind:     global_buffer
    .group_segment_fixed_size: 0
    .kernarg_segment_align: 8
    .kernarg_segment_size: 72
    .language:       OpenCL C
    .language_version:
      - 2
      - 0
    .max_flat_workgroup_size: 128
    .name:           _ZN4vllm3moe10topkGatingILi8ELi64ELi4ELi16ELi32El6__halfLNS0_11ScoringFuncE0EEEvPKT5_PKbPfiPT4_PiiiibPKf
    .private_segment_fixed_size: 0
    .sgpr_count:     20
    .sgpr_spill_count: 0
    .symbol:         _ZN4vllm3moe10topkGatingILi8ELi64ELi4ELi16ELi32El6__halfLNS0_11ScoringFuncE0EEEvPKT5_PKbPfiPT4_PiiiibPKf.kd
    .uniform_work_group_size: 1
    .uses_dynamic_stack: false
    .vgpr_count:     37
    .vgpr_spill_count: 0
    .wavefront_size: 32
    .workgroup_processor_mode: 1
  - .args:
      - .address_space:  global
        .offset:         0
        .size:           8
        .value_kind:     global_buffer
      - .address_space:  global
        .offset:         8
        .size:           8
        .value_kind:     global_buffer
      - .address_space:  global
        .offset:         16
        .size:           8
        .value_kind:     global_buffer
      - .offset:         24
        .size:           4
        .value_kind:     by_value
      - .address_space:  global
        .offset:         32
        .size:           8
        .value_kind:     global_buffer
      - .address_space:  global
        .offset:         40
        .size:           8
        .value_kind:     global_buffer
      - .offset:         48
        .size:           4
        .value_kind:     by_value
      - .offset:         52
        .size:           4
        .value_kind:     by_value
      - .offset:         56
        .size:           4
        .value_kind:     by_value
      - .offset:         60
        .size:           1
        .value_kind:     by_value
      - .address_space:  global
        .offset:         64
        .size:           8
        .value_kind:     global_buffer
    .group_segment_fixed_size: 0
    .kernarg_segment_align: 8
    .kernarg_segment_size: 72
    .language:       OpenCL C
    .language_version:
      - 2
      - 0
    .max_flat_workgroup_size: 256
    .name:           _ZN4vllm3moe10topkGatingILi8ELi128ELi4ELi16ELi64El6__halfLNS0_11ScoringFuncE0EEEvPKT5_PKbPfiPT4_PiiiibPKf
    .private_segment_fixed_size: 0
    .sgpr_count:     20
    .sgpr_spill_count: 0
    .symbol:         _ZN4vllm3moe10topkGatingILi8ELi128ELi4ELi16ELi64El6__halfLNS0_11ScoringFuncE0EEEvPKT5_PKbPfiPT4_PiiiibPKf.kd
    .uniform_work_group_size: 1
    .uses_dynamic_stack: false
    .vgpr_count:     38
    .vgpr_spill_count: 0
    .wavefront_size: 32
    .workgroup_processor_mode: 1
  - .args:
      - .address_space:  global
        .offset:         0
        .size:           8
        .value_kind:     global_buffer
      - .address_space:  global
        .offset:         8
        .size:           8
        .value_kind:     global_buffer
      - .address_space:  global
        .offset:         16
        .size:           8
        .value_kind:     global_buffer
      - .offset:         24
        .size:           4
        .value_kind:     by_value
      - .address_space:  global
        .offset:         32
        .size:           8
        .value_kind:     global_buffer
      - .address_space:  global
        .offset:         40
        .size:           8
        .value_kind:     global_buffer
      - .offset:         48
        .size:           4
        .value_kind:     by_value
      - .offset:         52
        .size:           4
        .value_kind:     by_value
      - .offset:         56
        .size:           4
        .value_kind:     by_value
      - .offset:         60
        .size:           1
        .value_kind:     by_value
      - .address_space:  global
        .offset:         64
        .size:           8
        .value_kind:     global_buffer
    .group_segment_fixed_size: 0
    .kernarg_segment_align: 8
    .kernarg_segment_size: 72
    .language:       OpenCL C
    .language_version:
      - 2
      - 0
    .max_flat_workgroup_size: 128
    .name:           _ZN4vllm3moe10topkGatingILi8ELi128ELi4ELi16ELi32El6__halfLNS0_11ScoringFuncE0EEEvPKT5_PKbPfiPT4_PiiiibPKf
    .private_segment_fixed_size: 0
    .sgpr_count:     20
    .sgpr_spill_count: 0
    .symbol:         _ZN4vllm3moe10topkGatingILi8ELi128ELi4ELi16ELi32El6__halfLNS0_11ScoringFuncE0EEEvPKT5_PKbPfiPT4_PiiiibPKf.kd
    .uniform_work_group_size: 1
    .uses_dynamic_stack: false
    .vgpr_count:     38
    .vgpr_spill_count: 0
    .wavefront_size: 32
    .workgroup_processor_mode: 1
  - .args:
      - .address_space:  global
        .offset:         0
        .size:           8
        .value_kind:     global_buffer
      - .address_space:  global
        .offset:         8
        .size:           8
        .value_kind:     global_buffer
      - .address_space:  global
        .offset:         16
        .size:           8
        .value_kind:     global_buffer
      - .offset:         24
        .size:           4
        .value_kind:     by_value
      - .address_space:  global
        .offset:         32
        .size:           8
        .value_kind:     global_buffer
      - .address_space:  global
        .offset:         40
        .size:           8
        .value_kind:     global_buffer
      - .offset:         48
        .size:           4
        .value_kind:     by_value
      - .offset:         52
        .size:           4
        .value_kind:     by_value
      - .offset:         56
        .size:           4
        .value_kind:     by_value
      - .offset:         60
        .size:           1
        .value_kind:     by_value
      - .address_space:  global
        .offset:         64
        .size:           8
        .value_kind:     global_buffer
    .group_segment_fixed_size: 0
    .kernarg_segment_align: 8
    .kernarg_segment_size: 72
    .language:       OpenCL C
    .language_version:
      - 2
      - 0
    .max_flat_workgroup_size: 256
    .name:           _ZN4vllm3moe10topkGatingILi8ELi256ELi4ELi16ELi64El6__halfLNS0_11ScoringFuncE0EEEvPKT5_PKbPfiPT4_PiiiibPKf
    .private_segment_fixed_size: 0
    .sgpr_count:     20
    .sgpr_spill_count: 0
    .symbol:         _ZN4vllm3moe10topkGatingILi8ELi256ELi4ELi16ELi64El6__halfLNS0_11ScoringFuncE0EEEvPKT5_PKbPfiPT4_PiiiibPKf.kd
    .uniform_work_group_size: 1
    .uses_dynamic_stack: false
    .vgpr_count:     39
    .vgpr_spill_count: 0
    .wavefront_size: 32
    .workgroup_processor_mode: 1
  - .args:
      - .address_space:  global
        .offset:         0
        .size:           8
        .value_kind:     global_buffer
      - .address_space:  global
        .offset:         8
        .size:           8
        .value_kind:     global_buffer
      - .address_space:  global
        .offset:         16
        .size:           8
        .value_kind:     global_buffer
      - .offset:         24
        .size:           4
        .value_kind:     by_value
      - .address_space:  global
        .offset:         32
        .size:           8
        .value_kind:     global_buffer
      - .address_space:  global
        .offset:         40
        .size:           8
        .value_kind:     global_buffer
      - .offset:         48
        .size:           4
        .value_kind:     by_value
      - .offset:         52
        .size:           4
        .value_kind:     by_value
      - .offset:         56
        .size:           4
        .value_kind:     by_value
      - .offset:         60
        .size:           1
        .value_kind:     by_value
      - .address_space:  global
        .offset:         64
        .size:           8
        .value_kind:     global_buffer
    .group_segment_fixed_size: 0
    .kernarg_segment_align: 8
    .kernarg_segment_size: 72
    .language:       OpenCL C
    .language_version:
      - 2
      - 0
    .max_flat_workgroup_size: 128
    .name:           _ZN4vllm3moe10topkGatingILi8ELi256ELi4ELi16ELi32El6__halfLNS0_11ScoringFuncE0EEEvPKT5_PKbPfiPT4_PiiiibPKf
    .private_segment_fixed_size: 0
    .sgpr_count:     20
    .sgpr_spill_count: 0
    .symbol:         _ZN4vllm3moe10topkGatingILi8ELi256ELi4ELi16ELi32El6__halfLNS0_11ScoringFuncE0EEEvPKT5_PKbPfiPT4_PiiiibPKf.kd
    .uniform_work_group_size: 1
    .uses_dynamic_stack: false
    .vgpr_count:     39
    .vgpr_spill_count: 0
    .wavefront_size: 32
    .workgroup_processor_mode: 1
  - .args:
      - .address_space:  global
        .offset:         0
        .size:           8
        .value_kind:     global_buffer
      - .address_space:  global
        .offset:         8
        .size:           8
        .value_kind:     global_buffer
      - .address_space:  global
        .offset:         16
        .size:           8
        .value_kind:     global_buffer
      - .offset:         24
        .size:           4
        .value_kind:     by_value
      - .address_space:  global
        .offset:         32
        .size:           8
        .value_kind:     global_buffer
      - .address_space:  global
        .offset:         40
        .size:           8
        .value_kind:     global_buffer
      - .offset:         48
        .size:           4
        .value_kind:     by_value
      - .offset:         52
        .size:           4
        .value_kind:     by_value
      - .offset:         56
        .size:           4
        .value_kind:     by_value
      - .offset:         60
        .size:           1
        .value_kind:     by_value
      - .address_space:  global
        .offset:         64
        .size:           8
        .value_kind:     global_buffer
    .group_segment_fixed_size: 0
    .kernarg_segment_align: 8
    .kernarg_segment_size: 72
    .language:       OpenCL C
    .language_version:
      - 2
      - 0
    .max_flat_workgroup_size: 256
    .name:           _ZN4vllm3moe10topkGatingILi8ELi512ELi4ELi16ELi64El6__halfLNS0_11ScoringFuncE0EEEvPKT5_PKbPfiPT4_PiiiibPKf
    .private_segment_fixed_size: 0
    .sgpr_count:     20
    .sgpr_spill_count: 0
    .symbol:         _ZN4vllm3moe10topkGatingILi8ELi512ELi4ELi16ELi64El6__halfLNS0_11ScoringFuncE0EEEvPKT5_PKbPfiPT4_PiiiibPKf.kd
    .uniform_work_group_size: 1
    .uses_dynamic_stack: false
    .vgpr_count:     40
    .vgpr_spill_count: 0
    .wavefront_size: 32
    .workgroup_processor_mode: 1
  - .args:
      - .address_space:  global
        .offset:         0
        .size:           8
        .value_kind:     global_buffer
      - .address_space:  global
        .offset:         8
        .size:           8
        .value_kind:     global_buffer
      - .address_space:  global
        .offset:         16
        .size:           8
        .value_kind:     global_buffer
      - .offset:         24
        .size:           4
        .value_kind:     by_value
      - .address_space:  global
        .offset:         32
        .size:           8
        .value_kind:     global_buffer
      - .address_space:  global
        .offset:         40
        .size:           8
        .value_kind:     global_buffer
      - .offset:         48
        .size:           4
        .value_kind:     by_value
      - .offset:         52
        .size:           4
        .value_kind:     by_value
      - .offset:         56
        .size:           4
        .value_kind:     by_value
      - .offset:         60
        .size:           1
        .value_kind:     by_value
      - .address_space:  global
        .offset:         64
        .size:           8
        .value_kind:     global_buffer
    .group_segment_fixed_size: 0
    .kernarg_segment_align: 8
    .kernarg_segment_size: 72
    .language:       OpenCL C
    .language_version:
      - 2
      - 0
    .max_flat_workgroup_size: 128
    .name:           _ZN4vllm3moe10topkGatingILi16ELi512ELi4ELi16ELi32El6__halfLNS0_11ScoringFuncE0EEEvPKT5_PKbPfiPT4_PiiiibPKf
    .private_segment_fixed_size: 0
    .sgpr_count:     20
    .sgpr_spill_count: 0
    .symbol:         _ZN4vllm3moe10topkGatingILi16ELi512ELi4ELi16ELi32El6__halfLNS0_11ScoringFuncE0EEEvPKT5_PKbPfiPT4_PiiiibPKf.kd
    .uniform_work_group_size: 1
    .uses_dynamic_stack: false
    .vgpr_count:     71
    .vgpr_spill_count: 0
    .wavefront_size: 32
    .workgroup_processor_mode: 1
  - .args:
      - .address_space:  global
        .offset:         0
        .size:           8
        .value_kind:     global_buffer
      - .address_space:  global
        .offset:         8
        .size:           8
        .value_kind:     global_buffer
      - .address_space:  global
        .offset:         16
        .size:           8
        .value_kind:     global_buffer
      - .offset:         24
        .size:           4
        .value_kind:     by_value
      - .address_space:  global
        .offset:         32
        .size:           8
        .value_kind:     global_buffer
      - .address_space:  global
        .offset:         40
        .size:           8
        .value_kind:     global_buffer
      - .offset:         48
        .size:           4
        .value_kind:     by_value
      - .offset:         52
        .size:           4
        .value_kind:     by_value
      - .offset:         56
        .size:           4
        .value_kind:     by_value
      - .offset:         60
        .size:           1
        .value_kind:     by_value
      - .address_space:  global
        .offset:         64
        .size:           8
        .value_kind:     global_buffer
    .group_segment_fixed_size: 0
    .kernarg_segment_align: 8
    .kernarg_segment_size: 72
    .language:       OpenCL C
    .language_version:
      - 2
      - 0
    .max_flat_workgroup_size: 256
    .name:           _ZN4vllm3moe10topkGatingILi1ELi1ELi4ELi2ELi64Ei14__hip_bfloat16LNS0_11ScoringFuncE0EEEvPKT5_PKbPfiPT4_PiiiibPKf
    .private_segment_fixed_size: 0
    .sgpr_count:     22
    .sgpr_spill_count: 0
    .symbol:         _ZN4vllm3moe10topkGatingILi1ELi1ELi4ELi2ELi64Ei14__hip_bfloat16LNS0_11ScoringFuncE0EEEvPKT5_PKbPfiPT4_PiiiibPKf.kd
    .uniform_work_group_size: 1
    .uses_dynamic_stack: false
    .vgpr_count:     12
    .vgpr_spill_count: 0
    .wavefront_size: 32
    .workgroup_processor_mode: 1
  - .args:
      - .address_space:  global
        .offset:         0
        .size:           8
        .value_kind:     global_buffer
      - .address_space:  global
        .offset:         8
        .size:           8
        .value_kind:     global_buffer
      - .address_space:  global
        .offset:         16
        .size:           8
        .value_kind:     global_buffer
      - .offset:         24
        .size:           4
        .value_kind:     by_value
      - .address_space:  global
        .offset:         32
        .size:           8
        .value_kind:     global_buffer
      - .address_space:  global
        .offset:         40
        .size:           8
        .value_kind:     global_buffer
      - .offset:         48
        .size:           4
        .value_kind:     by_value
      - .offset:         52
        .size:           4
        .value_kind:     by_value
      - .offset:         56
        .size:           4
        .value_kind:     by_value
      - .offset:         60
        .size:           1
        .value_kind:     by_value
      - .address_space:  global
        .offset:         64
        .size:           8
        .value_kind:     global_buffer
    .group_segment_fixed_size: 0
    .kernarg_segment_align: 8
    .kernarg_segment_size: 72
    .language:       OpenCL C
    .language_version:
      - 2
      - 0
    .max_flat_workgroup_size: 128
    .name:           _ZN4vllm3moe10topkGatingILi1ELi1ELi4ELi2ELi32Ei14__hip_bfloat16LNS0_11ScoringFuncE0EEEvPKT5_PKbPfiPT4_PiiiibPKf
    .private_segment_fixed_size: 0
    .sgpr_count:     22
    .sgpr_spill_count: 0
    .symbol:         _ZN4vllm3moe10topkGatingILi1ELi1ELi4ELi2ELi32Ei14__hip_bfloat16LNS0_11ScoringFuncE0EEEvPKT5_PKbPfiPT4_PiiiibPKf.kd
    .uniform_work_group_size: 1
    .uses_dynamic_stack: false
    .vgpr_count:     12
    .vgpr_spill_count: 0
    .wavefront_size: 32
    .workgroup_processor_mode: 1
  - .args:
      - .address_space:  global
        .offset:         0
        .size:           8
        .value_kind:     global_buffer
      - .address_space:  global
        .offset:         8
        .size:           8
        .value_kind:     global_buffer
      - .address_space:  global
        .offset:         16
        .size:           8
        .value_kind:     global_buffer
      - .offset:         24
        .size:           4
        .value_kind:     by_value
      - .address_space:  global
        .offset:         32
        .size:           8
        .value_kind:     global_buffer
      - .address_space:  global
        .offset:         40
        .size:           8
        .value_kind:     global_buffer
      - .offset:         48
        .size:           4
        .value_kind:     by_value
      - .offset:         52
        .size:           4
        .value_kind:     by_value
      - .offset:         56
        .size:           4
        .value_kind:     by_value
      - .offset:         60
        .size:           1
        .value_kind:     by_value
      - .address_space:  global
        .offset:         64
        .size:           8
        .value_kind:     global_buffer
    .group_segment_fixed_size: 0
    .kernarg_segment_align: 8
    .kernarg_segment_size: 72
    .language:       OpenCL C
    .language_version:
      - 2
      - 0
    .max_flat_workgroup_size: 256
    .name:           _ZN4vllm3moe10topkGatingILi2ELi2ELi4ELi4ELi64Ei14__hip_bfloat16LNS0_11ScoringFuncE0EEEvPKT5_PKbPfiPT4_PiiiibPKf
    .private_segment_fixed_size: 0
    .sgpr_count:     18
    .sgpr_spill_count: 0
    .symbol:         _ZN4vllm3moe10topkGatingILi2ELi2ELi4ELi4ELi64Ei14__hip_bfloat16LNS0_11ScoringFuncE0EEEvPKT5_PKbPfiPT4_PiiiibPKf.kd
    .uniform_work_group_size: 1
    .uses_dynamic_stack: false
    .vgpr_count:     17
    .vgpr_spill_count: 0
    .wavefront_size: 32
    .workgroup_processor_mode: 1
  - .args:
      - .address_space:  global
        .offset:         0
        .size:           8
        .value_kind:     global_buffer
      - .address_space:  global
        .offset:         8
        .size:           8
        .value_kind:     global_buffer
      - .address_space:  global
        .offset:         16
        .size:           8
        .value_kind:     global_buffer
      - .offset:         24
        .size:           4
        .value_kind:     by_value
      - .address_space:  global
        .offset:         32
        .size:           8
        .value_kind:     global_buffer
      - .address_space:  global
        .offset:         40
        .size:           8
        .value_kind:     global_buffer
      - .offset:         48
        .size:           4
        .value_kind:     by_value
      - .offset:         52
        .size:           4
        .value_kind:     by_value
      - .offset:         56
        .size:           4
        .value_kind:     by_value
      - .offset:         60
        .size:           1
        .value_kind:     by_value
      - .address_space:  global
        .offset:         64
        .size:           8
        .value_kind:     global_buffer
    .group_segment_fixed_size: 0
    .kernarg_segment_align: 8
    .kernarg_segment_size: 72
    .language:       OpenCL C
    .language_version:
      - 2
      - 0
    .max_flat_workgroup_size: 128
    .name:           _ZN4vllm3moe10topkGatingILi2ELi2ELi4ELi4ELi32Ei14__hip_bfloat16LNS0_11ScoringFuncE0EEEvPKT5_PKbPfiPT4_PiiiibPKf
    .private_segment_fixed_size: 0
    .sgpr_count:     18
    .sgpr_spill_count: 0
    .symbol:         _ZN4vllm3moe10topkGatingILi2ELi2ELi4ELi4ELi32Ei14__hip_bfloat16LNS0_11ScoringFuncE0EEEvPKT5_PKbPfiPT4_PiiiibPKf.kd
    .uniform_work_group_size: 1
    .uses_dynamic_stack: false
    .vgpr_count:     17
    .vgpr_spill_count: 0
    .wavefront_size: 32
    .workgroup_processor_mode: 1
  - .args:
      - .address_space:  global
        .offset:         0
        .size:           8
        .value_kind:     global_buffer
      - .address_space:  global
        .offset:         8
        .size:           8
        .value_kind:     global_buffer
      - .address_space:  global
        .offset:         16
        .size:           8
        .value_kind:     global_buffer
      - .offset:         24
        .size:           4
        .value_kind:     by_value
      - .address_space:  global
        .offset:         32
        .size:           8
        .value_kind:     global_buffer
      - .address_space:  global
        .offset:         40
        .size:           8
        .value_kind:     global_buffer
      - .offset:         48
        .size:           4
        .value_kind:     by_value
      - .offset:         52
        .size:           4
        .value_kind:     by_value
      - .offset:         56
        .size:           4
        .value_kind:     by_value
      - .offset:         60
        .size:           1
        .value_kind:     by_value
      - .address_space:  global
        .offset:         64
        .size:           8
        .value_kind:     global_buffer
    .group_segment_fixed_size: 0
    .kernarg_segment_align: 8
    .kernarg_segment_size: 72
    .language:       OpenCL C
    .language_version:
      - 2
      - 0
    .max_flat_workgroup_size: 256
    .name:           _ZN4vllm3moe10topkGatingILi4ELi4ELi4ELi8ELi64Ei14__hip_bfloat16LNS0_11ScoringFuncE0EEEvPKT5_PKbPfiPT4_PiiiibPKf
    .private_segment_fixed_size: 0
    .sgpr_count:     18
    .sgpr_spill_count: 0
    .symbol:         _ZN4vllm3moe10topkGatingILi4ELi4ELi4ELi8ELi64Ei14__hip_bfloat16LNS0_11ScoringFuncE0EEEvPKT5_PKbPfiPT4_PiiiibPKf.kd
    .uniform_work_group_size: 1
    .uses_dynamic_stack: false
    .vgpr_count:     23
    .vgpr_spill_count: 0
    .wavefront_size: 32
    .workgroup_processor_mode: 1
  - .args:
      - .address_space:  global
        .offset:         0
        .size:           8
        .value_kind:     global_buffer
      - .address_space:  global
        .offset:         8
        .size:           8
        .value_kind:     global_buffer
      - .address_space:  global
        .offset:         16
        .size:           8
        .value_kind:     global_buffer
      - .offset:         24
        .size:           4
        .value_kind:     by_value
      - .address_space:  global
        .offset:         32
        .size:           8
        .value_kind:     global_buffer
      - .address_space:  global
        .offset:         40
        .size:           8
        .value_kind:     global_buffer
      - .offset:         48
        .size:           4
        .value_kind:     by_value
      - .offset:         52
        .size:           4
        .value_kind:     by_value
      - .offset:         56
        .size:           4
        .value_kind:     by_value
      - .offset:         60
        .size:           1
        .value_kind:     by_value
      - .address_space:  global
        .offset:         64
        .size:           8
        .value_kind:     global_buffer
    .group_segment_fixed_size: 0
    .kernarg_segment_align: 8
    .kernarg_segment_size: 72
    .language:       OpenCL C
    .language_version:
      - 2
      - 0
    .max_flat_workgroup_size: 128
    .name:           _ZN4vllm3moe10topkGatingILi4ELi4ELi4ELi8ELi32Ei14__hip_bfloat16LNS0_11ScoringFuncE0EEEvPKT5_PKbPfiPT4_PiiiibPKf
    .private_segment_fixed_size: 0
    .sgpr_count:     18
    .sgpr_spill_count: 0
    .symbol:         _ZN4vllm3moe10topkGatingILi4ELi4ELi4ELi8ELi32Ei14__hip_bfloat16LNS0_11ScoringFuncE0EEEvPKT5_PKbPfiPT4_PiiiibPKf.kd
    .uniform_work_group_size: 1
    .uses_dynamic_stack: false
    .vgpr_count:     23
    .vgpr_spill_count: 0
    .wavefront_size: 32
    .workgroup_processor_mode: 1
  - .args:
      - .address_space:  global
        .offset:         0
        .size:           8
        .value_kind:     global_buffer
      - .address_space:  global
        .offset:         8
        .size:           8
        .value_kind:     global_buffer
      - .address_space:  global
        .offset:         16
        .size:           8
        .value_kind:     global_buffer
      - .offset:         24
        .size:           4
        .value_kind:     by_value
      - .address_space:  global
        .offset:         32
        .size:           8
        .value_kind:     global_buffer
      - .address_space:  global
        .offset:         40
        .size:           8
        .value_kind:     global_buffer
      - .offset:         48
        .size:           4
        .value_kind:     by_value
      - .offset:         52
        .size:           4
        .value_kind:     by_value
      - .offset:         56
        .size:           4
        .value_kind:     by_value
      - .offset:         60
        .size:           1
        .value_kind:     by_value
      - .address_space:  global
        .offset:         64
        .size:           8
        .value_kind:     global_buffer
    .group_segment_fixed_size: 0
    .kernarg_segment_align: 8
    .kernarg_segment_size: 72
    .language:       OpenCL C
    .language_version:
      - 2
      - 0
    .max_flat_workgroup_size: 256
    .name:           _ZN4vllm3moe10topkGatingILi8ELi8ELi4ELi16ELi64Ei14__hip_bfloat16LNS0_11ScoringFuncE0EEEvPKT5_PKbPfiPT4_PiiiibPKf
    .private_segment_fixed_size: 0
    .sgpr_count:     18
    .sgpr_spill_count: 0
    .symbol:         _ZN4vllm3moe10topkGatingILi8ELi8ELi4ELi16ELi64Ei14__hip_bfloat16LNS0_11ScoringFuncE0EEEvPKT5_PKbPfiPT4_PiiiibPKf.kd
    .uniform_work_group_size: 1
    .uses_dynamic_stack: false
    .vgpr_count:     33
    .vgpr_spill_count: 0
    .wavefront_size: 32
    .workgroup_processor_mode: 1
  - .args:
      - .address_space:  global
        .offset:         0
        .size:           8
        .value_kind:     global_buffer
      - .address_space:  global
        .offset:         8
        .size:           8
        .value_kind:     global_buffer
      - .address_space:  global
        .offset:         16
        .size:           8
        .value_kind:     global_buffer
      - .offset:         24
        .size:           4
        .value_kind:     by_value
      - .address_space:  global
        .offset:         32
        .size:           8
        .value_kind:     global_buffer
      - .address_space:  global
        .offset:         40
        .size:           8
        .value_kind:     global_buffer
      - .offset:         48
        .size:           4
        .value_kind:     by_value
      - .offset:         52
        .size:           4
        .value_kind:     by_value
      - .offset:         56
        .size:           4
        .value_kind:     by_value
      - .offset:         60
        .size:           1
        .value_kind:     by_value
      - .address_space:  global
        .offset:         64
        .size:           8
        .value_kind:     global_buffer
    .group_segment_fixed_size: 0
    .kernarg_segment_align: 8
    .kernarg_segment_size: 72
    .language:       OpenCL C
    .language_version:
      - 2
      - 0
    .max_flat_workgroup_size: 128
    .name:           _ZN4vllm3moe10topkGatingILi8ELi8ELi4ELi16ELi32Ei14__hip_bfloat16LNS0_11ScoringFuncE0EEEvPKT5_PKbPfiPT4_PiiiibPKf
    .private_segment_fixed_size: 0
    .sgpr_count:     18
    .sgpr_spill_count: 0
    .symbol:         _ZN4vllm3moe10topkGatingILi8ELi8ELi4ELi16ELi32Ei14__hip_bfloat16LNS0_11ScoringFuncE0EEEvPKT5_PKbPfiPT4_PiiiibPKf.kd
    .uniform_work_group_size: 1
    .uses_dynamic_stack: false
    .vgpr_count:     33
    .vgpr_spill_count: 0
    .wavefront_size: 32
    .workgroup_processor_mode: 1
  - .args:
      - .address_space:  global
        .offset:         0
        .size:           8
        .value_kind:     global_buffer
      - .address_space:  global
        .offset:         8
        .size:           8
        .value_kind:     global_buffer
      - .address_space:  global
        .offset:         16
        .size:           8
        .value_kind:     global_buffer
      - .offset:         24
        .size:           4
        .value_kind:     by_value
      - .address_space:  global
        .offset:         32
        .size:           8
        .value_kind:     global_buffer
      - .address_space:  global
        .offset:         40
        .size:           8
        .value_kind:     global_buffer
      - .offset:         48
        .size:           4
        .value_kind:     by_value
      - .offset:         52
        .size:           4
        .value_kind:     by_value
      - .offset:         56
        .size:           4
        .value_kind:     by_value
      - .offset:         60
        .size:           1
        .value_kind:     by_value
      - .address_space:  global
        .offset:         64
        .size:           8
        .value_kind:     global_buffer
    .group_segment_fixed_size: 0
    .kernarg_segment_align: 8
    .kernarg_segment_size: 72
    .language:       OpenCL C
    .language_version:
      - 2
      - 0
    .max_flat_workgroup_size: 256
    .name:           _ZN4vllm3moe10topkGatingILi8ELi16ELi4ELi16ELi64Ei14__hip_bfloat16LNS0_11ScoringFuncE0EEEvPKT5_PKbPfiPT4_PiiiibPKf
    .private_segment_fixed_size: 0
    .sgpr_count:     20
    .sgpr_spill_count: 0
    .symbol:         _ZN4vllm3moe10topkGatingILi8ELi16ELi4ELi16ELi64Ei14__hip_bfloat16LNS0_11ScoringFuncE0EEEvPKT5_PKbPfiPT4_PiiiibPKf.kd
    .uniform_work_group_size: 1
    .uses_dynamic_stack: false
    .vgpr_count:     35
    .vgpr_spill_count: 0
    .wavefront_size: 32
    .workgroup_processor_mode: 1
  - .args:
      - .address_space:  global
        .offset:         0
        .size:           8
        .value_kind:     global_buffer
      - .address_space:  global
        .offset:         8
        .size:           8
        .value_kind:     global_buffer
      - .address_space:  global
        .offset:         16
        .size:           8
        .value_kind:     global_buffer
      - .offset:         24
        .size:           4
        .value_kind:     by_value
      - .address_space:  global
        .offset:         32
        .size:           8
        .value_kind:     global_buffer
      - .address_space:  global
        .offset:         40
        .size:           8
        .value_kind:     global_buffer
      - .offset:         48
        .size:           4
        .value_kind:     by_value
      - .offset:         52
        .size:           4
        .value_kind:     by_value
      - .offset:         56
        .size:           4
        .value_kind:     by_value
      - .offset:         60
        .size:           1
        .value_kind:     by_value
      - .address_space:  global
        .offset:         64
        .size:           8
        .value_kind:     global_buffer
    .group_segment_fixed_size: 0
    .kernarg_segment_align: 8
    .kernarg_segment_size: 72
    .language:       OpenCL C
    .language_version:
      - 2
      - 0
    .max_flat_workgroup_size: 128
    .name:           _ZN4vllm3moe10topkGatingILi8ELi16ELi4ELi16ELi32Ei14__hip_bfloat16LNS0_11ScoringFuncE0EEEvPKT5_PKbPfiPT4_PiiiibPKf
    .private_segment_fixed_size: 0
    .sgpr_count:     20
    .sgpr_spill_count: 0
    .symbol:         _ZN4vllm3moe10topkGatingILi8ELi16ELi4ELi16ELi32Ei14__hip_bfloat16LNS0_11ScoringFuncE0EEEvPKT5_PKbPfiPT4_PiiiibPKf.kd
    .uniform_work_group_size: 1
    .uses_dynamic_stack: false
    .vgpr_count:     35
    .vgpr_spill_count: 0
    .wavefront_size: 32
    .workgroup_processor_mode: 1
  - .args:
      - .address_space:  global
        .offset:         0
        .size:           8
        .value_kind:     global_buffer
      - .address_space:  global
        .offset:         8
        .size:           8
        .value_kind:     global_buffer
      - .address_space:  global
        .offset:         16
        .size:           8
        .value_kind:     global_buffer
      - .offset:         24
        .size:           4
        .value_kind:     by_value
      - .address_space:  global
        .offset:         32
        .size:           8
        .value_kind:     global_buffer
      - .address_space:  global
        .offset:         40
        .size:           8
        .value_kind:     global_buffer
      - .offset:         48
        .size:           4
        .value_kind:     by_value
      - .offset:         52
        .size:           4
        .value_kind:     by_value
      - .offset:         56
        .size:           4
        .value_kind:     by_value
      - .offset:         60
        .size:           1
        .value_kind:     by_value
      - .address_space:  global
        .offset:         64
        .size:           8
        .value_kind:     global_buffer
    .group_segment_fixed_size: 0
    .kernarg_segment_align: 8
    .kernarg_segment_size: 72
    .language:       OpenCL C
    .language_version:
      - 2
      - 0
    .max_flat_workgroup_size: 256
    .name:           _ZN4vllm3moe10topkGatingILi8ELi32ELi4ELi16ELi64Ei14__hip_bfloat16LNS0_11ScoringFuncE0EEEvPKT5_PKbPfiPT4_PiiiibPKf
    .private_segment_fixed_size: 0
    .sgpr_count:     20
    .sgpr_spill_count: 0
    .symbol:         _ZN4vllm3moe10topkGatingILi8ELi32ELi4ELi16ELi64Ei14__hip_bfloat16LNS0_11ScoringFuncE0EEEvPKT5_PKbPfiPT4_PiiiibPKf.kd
    .uniform_work_group_size: 1
    .uses_dynamic_stack: false
    .vgpr_count:     36
    .vgpr_spill_count: 0
    .wavefront_size: 32
    .workgroup_processor_mode: 1
  - .args:
      - .address_space:  global
        .offset:         0
        .size:           8
        .value_kind:     global_buffer
      - .address_space:  global
        .offset:         8
        .size:           8
        .value_kind:     global_buffer
      - .address_space:  global
        .offset:         16
        .size:           8
        .value_kind:     global_buffer
      - .offset:         24
        .size:           4
        .value_kind:     by_value
      - .address_space:  global
        .offset:         32
        .size:           8
        .value_kind:     global_buffer
      - .address_space:  global
        .offset:         40
        .size:           8
        .value_kind:     global_buffer
      - .offset:         48
        .size:           4
        .value_kind:     by_value
      - .offset:         52
        .size:           4
        .value_kind:     by_value
      - .offset:         56
        .size:           4
        .value_kind:     by_value
      - .offset:         60
        .size:           1
        .value_kind:     by_value
      - .address_space:  global
        .offset:         64
        .size:           8
        .value_kind:     global_buffer
    .group_segment_fixed_size: 0
    .kernarg_segment_align: 8
    .kernarg_segment_size: 72
    .language:       OpenCL C
    .language_version:
      - 2
      - 0
    .max_flat_workgroup_size: 128
    .name:           _ZN4vllm3moe10topkGatingILi8ELi32ELi4ELi16ELi32Ei14__hip_bfloat16LNS0_11ScoringFuncE0EEEvPKT5_PKbPfiPT4_PiiiibPKf
    .private_segment_fixed_size: 0
    .sgpr_count:     20
    .sgpr_spill_count: 0
    .symbol:         _ZN4vllm3moe10topkGatingILi8ELi32ELi4ELi16ELi32Ei14__hip_bfloat16LNS0_11ScoringFuncE0EEEvPKT5_PKbPfiPT4_PiiiibPKf.kd
    .uniform_work_group_size: 1
    .uses_dynamic_stack: false
    .vgpr_count:     36
    .vgpr_spill_count: 0
    .wavefront_size: 32
    .workgroup_processor_mode: 1
  - .args:
      - .address_space:  global
        .offset:         0
        .size:           8
        .value_kind:     global_buffer
      - .address_space:  global
        .offset:         8
        .size:           8
        .value_kind:     global_buffer
      - .address_space:  global
        .offset:         16
        .size:           8
        .value_kind:     global_buffer
      - .offset:         24
        .size:           4
        .value_kind:     by_value
      - .address_space:  global
        .offset:         32
        .size:           8
        .value_kind:     global_buffer
      - .address_space:  global
        .offset:         40
        .size:           8
        .value_kind:     global_buffer
      - .offset:         48
        .size:           4
        .value_kind:     by_value
      - .offset:         52
        .size:           4
        .value_kind:     by_value
      - .offset:         56
        .size:           4
        .value_kind:     by_value
      - .offset:         60
        .size:           1
        .value_kind:     by_value
      - .address_space:  global
        .offset:         64
        .size:           8
        .value_kind:     global_buffer
    .group_segment_fixed_size: 0
    .kernarg_segment_align: 8
    .kernarg_segment_size: 72
    .language:       OpenCL C
    .language_version:
      - 2
      - 0
    .max_flat_workgroup_size: 256
    .name:           _ZN4vllm3moe10topkGatingILi8ELi64ELi4ELi16ELi64Ei14__hip_bfloat16LNS0_11ScoringFuncE0EEEvPKT5_PKbPfiPT4_PiiiibPKf
    .private_segment_fixed_size: 0
    .sgpr_count:     20
    .sgpr_spill_count: 0
    .symbol:         _ZN4vllm3moe10topkGatingILi8ELi64ELi4ELi16ELi64Ei14__hip_bfloat16LNS0_11ScoringFuncE0EEEvPKT5_PKbPfiPT4_PiiiibPKf.kd
    .uniform_work_group_size: 1
    .uses_dynamic_stack: false
    .vgpr_count:     37
    .vgpr_spill_count: 0
    .wavefront_size: 32
    .workgroup_processor_mode: 1
  - .args:
      - .address_space:  global
        .offset:         0
        .size:           8
        .value_kind:     global_buffer
      - .address_space:  global
        .offset:         8
        .size:           8
        .value_kind:     global_buffer
      - .address_space:  global
        .offset:         16
        .size:           8
        .value_kind:     global_buffer
      - .offset:         24
        .size:           4
        .value_kind:     by_value
      - .address_space:  global
        .offset:         32
        .size:           8
        .value_kind:     global_buffer
      - .address_space:  global
        .offset:         40
        .size:           8
        .value_kind:     global_buffer
      - .offset:         48
        .size:           4
        .value_kind:     by_value
      - .offset:         52
        .size:           4
        .value_kind:     by_value
      - .offset:         56
        .size:           4
        .value_kind:     by_value
      - .offset:         60
        .size:           1
        .value_kind:     by_value
      - .address_space:  global
        .offset:         64
        .size:           8
        .value_kind:     global_buffer
    .group_segment_fixed_size: 0
    .kernarg_segment_align: 8
    .kernarg_segment_size: 72
    .language:       OpenCL C
    .language_version:
      - 2
      - 0
    .max_flat_workgroup_size: 128
    .name:           _ZN4vllm3moe10topkGatingILi8ELi64ELi4ELi16ELi32Ei14__hip_bfloat16LNS0_11ScoringFuncE0EEEvPKT5_PKbPfiPT4_PiiiibPKf
    .private_segment_fixed_size: 0
    .sgpr_count:     20
    .sgpr_spill_count: 0
    .symbol:         _ZN4vllm3moe10topkGatingILi8ELi64ELi4ELi16ELi32Ei14__hip_bfloat16LNS0_11ScoringFuncE0EEEvPKT5_PKbPfiPT4_PiiiibPKf.kd
    .uniform_work_group_size: 1
    .uses_dynamic_stack: false
    .vgpr_count:     37
    .vgpr_spill_count: 0
    .wavefront_size: 32
    .workgroup_processor_mode: 1
  - .args:
      - .address_space:  global
        .offset:         0
        .size:           8
        .value_kind:     global_buffer
      - .address_space:  global
        .offset:         8
        .size:           8
        .value_kind:     global_buffer
      - .address_space:  global
        .offset:         16
        .size:           8
        .value_kind:     global_buffer
      - .offset:         24
        .size:           4
        .value_kind:     by_value
      - .address_space:  global
        .offset:         32
        .size:           8
        .value_kind:     global_buffer
      - .address_space:  global
        .offset:         40
        .size:           8
        .value_kind:     global_buffer
      - .offset:         48
        .size:           4
        .value_kind:     by_value
      - .offset:         52
        .size:           4
        .value_kind:     by_value
      - .offset:         56
        .size:           4
        .value_kind:     by_value
      - .offset:         60
        .size:           1
        .value_kind:     by_value
      - .address_space:  global
        .offset:         64
        .size:           8
        .value_kind:     global_buffer
    .group_segment_fixed_size: 0
    .kernarg_segment_align: 8
    .kernarg_segment_size: 72
    .language:       OpenCL C
    .language_version:
      - 2
      - 0
    .max_flat_workgroup_size: 256
    .name:           _ZN4vllm3moe10topkGatingILi8ELi128ELi4ELi16ELi64Ei14__hip_bfloat16LNS0_11ScoringFuncE0EEEvPKT5_PKbPfiPT4_PiiiibPKf
    .private_segment_fixed_size: 0
    .sgpr_count:     20
    .sgpr_spill_count: 0
    .symbol:         _ZN4vllm3moe10topkGatingILi8ELi128ELi4ELi16ELi64Ei14__hip_bfloat16LNS0_11ScoringFuncE0EEEvPKT5_PKbPfiPT4_PiiiibPKf.kd
    .uniform_work_group_size: 1
    .uses_dynamic_stack: false
    .vgpr_count:     38
    .vgpr_spill_count: 0
    .wavefront_size: 32
    .workgroup_processor_mode: 1
  - .args:
      - .address_space:  global
        .offset:         0
        .size:           8
        .value_kind:     global_buffer
      - .address_space:  global
        .offset:         8
        .size:           8
        .value_kind:     global_buffer
      - .address_space:  global
        .offset:         16
        .size:           8
        .value_kind:     global_buffer
      - .offset:         24
        .size:           4
        .value_kind:     by_value
      - .address_space:  global
        .offset:         32
        .size:           8
        .value_kind:     global_buffer
      - .address_space:  global
        .offset:         40
        .size:           8
        .value_kind:     global_buffer
      - .offset:         48
        .size:           4
        .value_kind:     by_value
      - .offset:         52
        .size:           4
        .value_kind:     by_value
      - .offset:         56
        .size:           4
        .value_kind:     by_value
      - .offset:         60
        .size:           1
        .value_kind:     by_value
      - .address_space:  global
        .offset:         64
        .size:           8
        .value_kind:     global_buffer
    .group_segment_fixed_size: 0
    .kernarg_segment_align: 8
    .kernarg_segment_size: 72
    .language:       OpenCL C
    .language_version:
      - 2
      - 0
    .max_flat_workgroup_size: 128
    .name:           _ZN4vllm3moe10topkGatingILi8ELi128ELi4ELi16ELi32Ei14__hip_bfloat16LNS0_11ScoringFuncE0EEEvPKT5_PKbPfiPT4_PiiiibPKf
    .private_segment_fixed_size: 0
    .sgpr_count:     20
    .sgpr_spill_count: 0
    .symbol:         _ZN4vllm3moe10topkGatingILi8ELi128ELi4ELi16ELi32Ei14__hip_bfloat16LNS0_11ScoringFuncE0EEEvPKT5_PKbPfiPT4_PiiiibPKf.kd
    .uniform_work_group_size: 1
    .uses_dynamic_stack: false
    .vgpr_count:     38
    .vgpr_spill_count: 0
    .wavefront_size: 32
    .workgroup_processor_mode: 1
  - .args:
      - .address_space:  global
        .offset:         0
        .size:           8
        .value_kind:     global_buffer
      - .address_space:  global
        .offset:         8
        .size:           8
        .value_kind:     global_buffer
      - .address_space:  global
        .offset:         16
        .size:           8
        .value_kind:     global_buffer
      - .offset:         24
        .size:           4
        .value_kind:     by_value
      - .address_space:  global
        .offset:         32
        .size:           8
        .value_kind:     global_buffer
      - .address_space:  global
        .offset:         40
        .size:           8
        .value_kind:     global_buffer
      - .offset:         48
        .size:           4
        .value_kind:     by_value
      - .offset:         52
        .size:           4
        .value_kind:     by_value
      - .offset:         56
        .size:           4
        .value_kind:     by_value
      - .offset:         60
        .size:           1
        .value_kind:     by_value
      - .address_space:  global
        .offset:         64
        .size:           8
        .value_kind:     global_buffer
    .group_segment_fixed_size: 0
    .kernarg_segment_align: 8
    .kernarg_segment_size: 72
    .language:       OpenCL C
    .language_version:
      - 2
      - 0
    .max_flat_workgroup_size: 256
    .name:           _ZN4vllm3moe10topkGatingILi8ELi256ELi4ELi16ELi64Ei14__hip_bfloat16LNS0_11ScoringFuncE0EEEvPKT5_PKbPfiPT4_PiiiibPKf
    .private_segment_fixed_size: 0
    .sgpr_count:     20
    .sgpr_spill_count: 0
    .symbol:         _ZN4vllm3moe10topkGatingILi8ELi256ELi4ELi16ELi64Ei14__hip_bfloat16LNS0_11ScoringFuncE0EEEvPKT5_PKbPfiPT4_PiiiibPKf.kd
    .uniform_work_group_size: 1
    .uses_dynamic_stack: false
    .vgpr_count:     39
    .vgpr_spill_count: 0
    .wavefront_size: 32
    .workgroup_processor_mode: 1
  - .args:
      - .address_space:  global
        .offset:         0
        .size:           8
        .value_kind:     global_buffer
      - .address_space:  global
        .offset:         8
        .size:           8
        .value_kind:     global_buffer
      - .address_space:  global
        .offset:         16
        .size:           8
        .value_kind:     global_buffer
      - .offset:         24
        .size:           4
        .value_kind:     by_value
      - .address_space:  global
        .offset:         32
        .size:           8
        .value_kind:     global_buffer
      - .address_space:  global
        .offset:         40
        .size:           8
        .value_kind:     global_buffer
      - .offset:         48
        .size:           4
        .value_kind:     by_value
      - .offset:         52
        .size:           4
        .value_kind:     by_value
      - .offset:         56
        .size:           4
        .value_kind:     by_value
      - .offset:         60
        .size:           1
        .value_kind:     by_value
      - .address_space:  global
        .offset:         64
        .size:           8
        .value_kind:     global_buffer
    .group_segment_fixed_size: 0
    .kernarg_segment_align: 8
    .kernarg_segment_size: 72
    .language:       OpenCL C
    .language_version:
      - 2
      - 0
    .max_flat_workgroup_size: 128
    .name:           _ZN4vllm3moe10topkGatingILi8ELi256ELi4ELi16ELi32Ei14__hip_bfloat16LNS0_11ScoringFuncE0EEEvPKT5_PKbPfiPT4_PiiiibPKf
    .private_segment_fixed_size: 0
    .sgpr_count:     20
    .sgpr_spill_count: 0
    .symbol:         _ZN4vllm3moe10topkGatingILi8ELi256ELi4ELi16ELi32Ei14__hip_bfloat16LNS0_11ScoringFuncE0EEEvPKT5_PKbPfiPT4_PiiiibPKf.kd
    .uniform_work_group_size: 1
    .uses_dynamic_stack: false
    .vgpr_count:     39
    .vgpr_spill_count: 0
    .wavefront_size: 32
    .workgroup_processor_mode: 1
  - .args:
      - .address_space:  global
        .offset:         0
        .size:           8
        .value_kind:     global_buffer
      - .address_space:  global
        .offset:         8
        .size:           8
        .value_kind:     global_buffer
      - .address_space:  global
        .offset:         16
        .size:           8
        .value_kind:     global_buffer
      - .offset:         24
        .size:           4
        .value_kind:     by_value
      - .address_space:  global
        .offset:         32
        .size:           8
        .value_kind:     global_buffer
      - .address_space:  global
        .offset:         40
        .size:           8
        .value_kind:     global_buffer
      - .offset:         48
        .size:           4
        .value_kind:     by_value
      - .offset:         52
        .size:           4
        .value_kind:     by_value
      - .offset:         56
        .size:           4
        .value_kind:     by_value
      - .offset:         60
        .size:           1
        .value_kind:     by_value
      - .address_space:  global
        .offset:         64
        .size:           8
        .value_kind:     global_buffer
    .group_segment_fixed_size: 0
    .kernarg_segment_align: 8
    .kernarg_segment_size: 72
    .language:       OpenCL C
    .language_version:
      - 2
      - 0
    .max_flat_workgroup_size: 256
    .name:           _ZN4vllm3moe10topkGatingILi8ELi512ELi4ELi16ELi64Ei14__hip_bfloat16LNS0_11ScoringFuncE0EEEvPKT5_PKbPfiPT4_PiiiibPKf
    .private_segment_fixed_size: 0
    .sgpr_count:     20
    .sgpr_spill_count: 0
    .symbol:         _ZN4vllm3moe10topkGatingILi8ELi512ELi4ELi16ELi64Ei14__hip_bfloat16LNS0_11ScoringFuncE0EEEvPKT5_PKbPfiPT4_PiiiibPKf.kd
    .uniform_work_group_size: 1
    .uses_dynamic_stack: false
    .vgpr_count:     40
    .vgpr_spill_count: 0
    .wavefront_size: 32
    .workgroup_processor_mode: 1
  - .args:
      - .address_space:  global
        .offset:         0
        .size:           8
        .value_kind:     global_buffer
      - .address_space:  global
        .offset:         8
        .size:           8
        .value_kind:     global_buffer
      - .address_space:  global
        .offset:         16
        .size:           8
        .value_kind:     global_buffer
      - .offset:         24
        .size:           4
        .value_kind:     by_value
      - .address_space:  global
        .offset:         32
        .size:           8
        .value_kind:     global_buffer
      - .address_space:  global
        .offset:         40
        .size:           8
        .value_kind:     global_buffer
      - .offset:         48
        .size:           4
        .value_kind:     by_value
      - .offset:         52
        .size:           4
        .value_kind:     by_value
      - .offset:         56
        .size:           4
        .value_kind:     by_value
      - .offset:         60
        .size:           1
        .value_kind:     by_value
      - .address_space:  global
        .offset:         64
        .size:           8
        .value_kind:     global_buffer
    .group_segment_fixed_size: 0
    .kernarg_segment_align: 8
    .kernarg_segment_size: 72
    .language:       OpenCL C
    .language_version:
      - 2
      - 0
    .max_flat_workgroup_size: 128
    .name:           _ZN4vllm3moe10topkGatingILi16ELi512ELi4ELi16ELi32Ei14__hip_bfloat16LNS0_11ScoringFuncE0EEEvPKT5_PKbPfiPT4_PiiiibPKf
    .private_segment_fixed_size: 0
    .sgpr_count:     20
    .sgpr_spill_count: 0
    .symbol:         _ZN4vllm3moe10topkGatingILi16ELi512ELi4ELi16ELi32Ei14__hip_bfloat16LNS0_11ScoringFuncE0EEEvPKT5_PKbPfiPT4_PiiiibPKf.kd
    .uniform_work_group_size: 1
    .uses_dynamic_stack: false
    .vgpr_count:     71
    .vgpr_spill_count: 0
    .wavefront_size: 32
    .workgroup_processor_mode: 1
  - .args:
      - .address_space:  global
        .offset:         0
        .size:           8
        .value_kind:     global_buffer
      - .address_space:  global
        .offset:         8
        .size:           8
        .value_kind:     global_buffer
      - .address_space:  global
        .offset:         16
        .size:           8
        .value_kind:     global_buffer
      - .offset:         24
        .size:           4
        .value_kind:     by_value
    .group_segment_fixed_size: 40
    .kernarg_segment_align: 8
    .kernarg_segment_size: 28
    .language:       OpenCL C
    .language_version:
      - 2
      - 0
    .max_flat_workgroup_size: 256
    .name:           _ZN4vllm3moe10moeSoftmaxILi256E14__hip_bfloat16EEvPKT0_PKbPfi
    .private_segment_fixed_size: 0
    .sgpr_count:     18
    .sgpr_spill_count: 0
    .symbol:         _ZN4vllm3moe10moeSoftmaxILi256E14__hip_bfloat16EEvPKT0_PKbPfi.kd
    .uniform_work_group_size: 1
    .uses_dynamic_stack: false
    .vgpr_count:     15
    .vgpr_spill_count: 0
    .wavefront_size: 32
    .workgroup_processor_mode: 1
  - .args:
      - .address_space:  global
        .offset:         0
        .size:           8
        .value_kind:     global_buffer
      - .address_space:  global
        .offset:         8
        .size:           8
        .value_kind:     global_buffer
      - .address_space:  global
        .offset:         16
        .size:           8
        .value_kind:     global_buffer
      - .offset:         24
        .size:           4
        .value_kind:     by_value
      - .address_space:  global
        .offset:         32
        .size:           8
        .value_kind:     global_buffer
      - .address_space:  global
        .offset:         40
        .size:           8
        .value_kind:     global_buffer
      - .offset:         48
        .size:           4
        .value_kind:     by_value
      - .offset:         52
        .size:           4
        .value_kind:     by_value
      - .offset:         56
        .size:           4
        .value_kind:     by_value
      - .offset:         60
        .size:           1
        .value_kind:     by_value
      - .address_space:  global
        .offset:         64
        .size:           8
        .value_kind:     global_buffer
    .group_segment_fixed_size: 0
    .kernarg_segment_align: 8
    .kernarg_segment_size: 72
    .language:       OpenCL C
    .language_version:
      - 2
      - 0
    .max_flat_workgroup_size: 256
    .name:           _ZN4vllm3moe10topkGatingILi1ELi1ELi4ELi2ELi64Ej14__hip_bfloat16LNS0_11ScoringFuncE0EEEvPKT5_PKbPfiPT4_PiiiibPKf
    .private_segment_fixed_size: 0
    .sgpr_count:     22
    .sgpr_spill_count: 0
    .symbol:         _ZN4vllm3moe10topkGatingILi1ELi1ELi4ELi2ELi64Ej14__hip_bfloat16LNS0_11ScoringFuncE0EEEvPKT5_PKbPfiPT4_PiiiibPKf.kd
    .uniform_work_group_size: 1
    .uses_dynamic_stack: false
    .vgpr_count:     12
    .vgpr_spill_count: 0
    .wavefront_size: 32
    .workgroup_processor_mode: 1
  - .args:
      - .address_space:  global
        .offset:         0
        .size:           8
        .value_kind:     global_buffer
      - .address_space:  global
        .offset:         8
        .size:           8
        .value_kind:     global_buffer
      - .address_space:  global
        .offset:         16
        .size:           8
        .value_kind:     global_buffer
      - .offset:         24
        .size:           4
        .value_kind:     by_value
      - .address_space:  global
        .offset:         32
        .size:           8
        .value_kind:     global_buffer
      - .address_space:  global
        .offset:         40
        .size:           8
        .value_kind:     global_buffer
      - .offset:         48
        .size:           4
        .value_kind:     by_value
      - .offset:         52
        .size:           4
        .value_kind:     by_value
      - .offset:         56
        .size:           4
        .value_kind:     by_value
      - .offset:         60
        .size:           1
        .value_kind:     by_value
      - .address_space:  global
        .offset:         64
        .size:           8
        .value_kind:     global_buffer
    .group_segment_fixed_size: 0
    .kernarg_segment_align: 8
    .kernarg_segment_size: 72
    .language:       OpenCL C
    .language_version:
      - 2
      - 0
    .max_flat_workgroup_size: 128
    .name:           _ZN4vllm3moe10topkGatingILi1ELi1ELi4ELi2ELi32Ej14__hip_bfloat16LNS0_11ScoringFuncE0EEEvPKT5_PKbPfiPT4_PiiiibPKf
    .private_segment_fixed_size: 0
    .sgpr_count:     22
    .sgpr_spill_count: 0
    .symbol:         _ZN4vllm3moe10topkGatingILi1ELi1ELi4ELi2ELi32Ej14__hip_bfloat16LNS0_11ScoringFuncE0EEEvPKT5_PKbPfiPT4_PiiiibPKf.kd
    .uniform_work_group_size: 1
    .uses_dynamic_stack: false
    .vgpr_count:     12
    .vgpr_spill_count: 0
    .wavefront_size: 32
    .workgroup_processor_mode: 1
  - .args:
      - .address_space:  global
        .offset:         0
        .size:           8
        .value_kind:     global_buffer
      - .address_space:  global
        .offset:         8
        .size:           8
        .value_kind:     global_buffer
      - .address_space:  global
        .offset:         16
        .size:           8
        .value_kind:     global_buffer
      - .offset:         24
        .size:           4
        .value_kind:     by_value
      - .address_space:  global
        .offset:         32
        .size:           8
        .value_kind:     global_buffer
      - .address_space:  global
        .offset:         40
        .size:           8
        .value_kind:     global_buffer
      - .offset:         48
        .size:           4
        .value_kind:     by_value
      - .offset:         52
        .size:           4
        .value_kind:     by_value
      - .offset:         56
        .size:           4
        .value_kind:     by_value
      - .offset:         60
        .size:           1
        .value_kind:     by_value
      - .address_space:  global
        .offset:         64
        .size:           8
        .value_kind:     global_buffer
    .group_segment_fixed_size: 0
    .kernarg_segment_align: 8
    .kernarg_segment_size: 72
    .language:       OpenCL C
    .language_version:
      - 2
      - 0
    .max_flat_workgroup_size: 256
    .name:           _ZN4vllm3moe10topkGatingILi2ELi2ELi4ELi4ELi64Ej14__hip_bfloat16LNS0_11ScoringFuncE0EEEvPKT5_PKbPfiPT4_PiiiibPKf
    .private_segment_fixed_size: 0
    .sgpr_count:     18
    .sgpr_spill_count: 0
    .symbol:         _ZN4vllm3moe10topkGatingILi2ELi2ELi4ELi4ELi64Ej14__hip_bfloat16LNS0_11ScoringFuncE0EEEvPKT5_PKbPfiPT4_PiiiibPKf.kd
    .uniform_work_group_size: 1
    .uses_dynamic_stack: false
    .vgpr_count:     17
    .vgpr_spill_count: 0
    .wavefront_size: 32
    .workgroup_processor_mode: 1
  - .args:
      - .address_space:  global
        .offset:         0
        .size:           8
        .value_kind:     global_buffer
      - .address_space:  global
        .offset:         8
        .size:           8
        .value_kind:     global_buffer
      - .address_space:  global
        .offset:         16
        .size:           8
        .value_kind:     global_buffer
      - .offset:         24
        .size:           4
        .value_kind:     by_value
      - .address_space:  global
        .offset:         32
        .size:           8
        .value_kind:     global_buffer
      - .address_space:  global
        .offset:         40
        .size:           8
        .value_kind:     global_buffer
      - .offset:         48
        .size:           4
        .value_kind:     by_value
      - .offset:         52
        .size:           4
        .value_kind:     by_value
      - .offset:         56
        .size:           4
        .value_kind:     by_value
      - .offset:         60
        .size:           1
        .value_kind:     by_value
      - .address_space:  global
        .offset:         64
        .size:           8
        .value_kind:     global_buffer
    .group_segment_fixed_size: 0
    .kernarg_segment_align: 8
    .kernarg_segment_size: 72
    .language:       OpenCL C
    .language_version:
      - 2
      - 0
    .max_flat_workgroup_size: 128
    .name:           _ZN4vllm3moe10topkGatingILi2ELi2ELi4ELi4ELi32Ej14__hip_bfloat16LNS0_11ScoringFuncE0EEEvPKT5_PKbPfiPT4_PiiiibPKf
    .private_segment_fixed_size: 0
    .sgpr_count:     18
    .sgpr_spill_count: 0
    .symbol:         _ZN4vllm3moe10topkGatingILi2ELi2ELi4ELi4ELi32Ej14__hip_bfloat16LNS0_11ScoringFuncE0EEEvPKT5_PKbPfiPT4_PiiiibPKf.kd
    .uniform_work_group_size: 1
    .uses_dynamic_stack: false
    .vgpr_count:     17
    .vgpr_spill_count: 0
    .wavefront_size: 32
    .workgroup_processor_mode: 1
  - .args:
      - .address_space:  global
        .offset:         0
        .size:           8
        .value_kind:     global_buffer
      - .address_space:  global
        .offset:         8
        .size:           8
        .value_kind:     global_buffer
      - .address_space:  global
        .offset:         16
        .size:           8
        .value_kind:     global_buffer
      - .offset:         24
        .size:           4
        .value_kind:     by_value
      - .address_space:  global
        .offset:         32
        .size:           8
        .value_kind:     global_buffer
      - .address_space:  global
        .offset:         40
        .size:           8
        .value_kind:     global_buffer
      - .offset:         48
        .size:           4
        .value_kind:     by_value
      - .offset:         52
        .size:           4
        .value_kind:     by_value
      - .offset:         56
        .size:           4
        .value_kind:     by_value
      - .offset:         60
        .size:           1
        .value_kind:     by_value
      - .address_space:  global
        .offset:         64
        .size:           8
        .value_kind:     global_buffer
    .group_segment_fixed_size: 0
    .kernarg_segment_align: 8
    .kernarg_segment_size: 72
    .language:       OpenCL C
    .language_version:
      - 2
      - 0
    .max_flat_workgroup_size: 256
    .name:           _ZN4vllm3moe10topkGatingILi4ELi4ELi4ELi8ELi64Ej14__hip_bfloat16LNS0_11ScoringFuncE0EEEvPKT5_PKbPfiPT4_PiiiibPKf
    .private_segment_fixed_size: 0
    .sgpr_count:     18
    .sgpr_spill_count: 0
    .symbol:         _ZN4vllm3moe10topkGatingILi4ELi4ELi4ELi8ELi64Ej14__hip_bfloat16LNS0_11ScoringFuncE0EEEvPKT5_PKbPfiPT4_PiiiibPKf.kd
    .uniform_work_group_size: 1
    .uses_dynamic_stack: false
    .vgpr_count:     23
    .vgpr_spill_count: 0
    .wavefront_size: 32
    .workgroup_processor_mode: 1
  - .args:
      - .address_space:  global
        .offset:         0
        .size:           8
        .value_kind:     global_buffer
      - .address_space:  global
        .offset:         8
        .size:           8
        .value_kind:     global_buffer
      - .address_space:  global
        .offset:         16
        .size:           8
        .value_kind:     global_buffer
      - .offset:         24
        .size:           4
        .value_kind:     by_value
      - .address_space:  global
        .offset:         32
        .size:           8
        .value_kind:     global_buffer
      - .address_space:  global
        .offset:         40
        .size:           8
        .value_kind:     global_buffer
      - .offset:         48
        .size:           4
        .value_kind:     by_value
      - .offset:         52
        .size:           4
        .value_kind:     by_value
      - .offset:         56
        .size:           4
        .value_kind:     by_value
      - .offset:         60
        .size:           1
        .value_kind:     by_value
      - .address_space:  global
        .offset:         64
        .size:           8
        .value_kind:     global_buffer
    .group_segment_fixed_size: 0
    .kernarg_segment_align: 8
    .kernarg_segment_size: 72
    .language:       OpenCL C
    .language_version:
      - 2
      - 0
    .max_flat_workgroup_size: 128
    .name:           _ZN4vllm3moe10topkGatingILi4ELi4ELi4ELi8ELi32Ej14__hip_bfloat16LNS0_11ScoringFuncE0EEEvPKT5_PKbPfiPT4_PiiiibPKf
    .private_segment_fixed_size: 0
    .sgpr_count:     18
    .sgpr_spill_count: 0
    .symbol:         _ZN4vllm3moe10topkGatingILi4ELi4ELi4ELi8ELi32Ej14__hip_bfloat16LNS0_11ScoringFuncE0EEEvPKT5_PKbPfiPT4_PiiiibPKf.kd
    .uniform_work_group_size: 1
    .uses_dynamic_stack: false
    .vgpr_count:     23
    .vgpr_spill_count: 0
    .wavefront_size: 32
    .workgroup_processor_mode: 1
  - .args:
      - .address_space:  global
        .offset:         0
        .size:           8
        .value_kind:     global_buffer
      - .address_space:  global
        .offset:         8
        .size:           8
        .value_kind:     global_buffer
      - .address_space:  global
        .offset:         16
        .size:           8
        .value_kind:     global_buffer
      - .offset:         24
        .size:           4
        .value_kind:     by_value
      - .address_space:  global
        .offset:         32
        .size:           8
        .value_kind:     global_buffer
      - .address_space:  global
        .offset:         40
        .size:           8
        .value_kind:     global_buffer
      - .offset:         48
        .size:           4
        .value_kind:     by_value
      - .offset:         52
        .size:           4
        .value_kind:     by_value
      - .offset:         56
        .size:           4
        .value_kind:     by_value
      - .offset:         60
        .size:           1
        .value_kind:     by_value
      - .address_space:  global
        .offset:         64
        .size:           8
        .value_kind:     global_buffer
    .group_segment_fixed_size: 0
    .kernarg_segment_align: 8
    .kernarg_segment_size: 72
    .language:       OpenCL C
    .language_version:
      - 2
      - 0
    .max_flat_workgroup_size: 256
    .name:           _ZN4vllm3moe10topkGatingILi8ELi8ELi4ELi16ELi64Ej14__hip_bfloat16LNS0_11ScoringFuncE0EEEvPKT5_PKbPfiPT4_PiiiibPKf
    .private_segment_fixed_size: 0
    .sgpr_count:     18
    .sgpr_spill_count: 0
    .symbol:         _ZN4vllm3moe10topkGatingILi8ELi8ELi4ELi16ELi64Ej14__hip_bfloat16LNS0_11ScoringFuncE0EEEvPKT5_PKbPfiPT4_PiiiibPKf.kd
    .uniform_work_group_size: 1
    .uses_dynamic_stack: false
    .vgpr_count:     33
    .vgpr_spill_count: 0
    .wavefront_size: 32
    .workgroup_processor_mode: 1
  - .args:
      - .address_space:  global
        .offset:         0
        .size:           8
        .value_kind:     global_buffer
      - .address_space:  global
        .offset:         8
        .size:           8
        .value_kind:     global_buffer
      - .address_space:  global
        .offset:         16
        .size:           8
        .value_kind:     global_buffer
      - .offset:         24
        .size:           4
        .value_kind:     by_value
      - .address_space:  global
        .offset:         32
        .size:           8
        .value_kind:     global_buffer
      - .address_space:  global
        .offset:         40
        .size:           8
        .value_kind:     global_buffer
      - .offset:         48
        .size:           4
        .value_kind:     by_value
      - .offset:         52
        .size:           4
        .value_kind:     by_value
      - .offset:         56
        .size:           4
        .value_kind:     by_value
      - .offset:         60
        .size:           1
        .value_kind:     by_value
      - .address_space:  global
        .offset:         64
        .size:           8
        .value_kind:     global_buffer
    .group_segment_fixed_size: 0
    .kernarg_segment_align: 8
    .kernarg_segment_size: 72
    .language:       OpenCL C
    .language_version:
      - 2
      - 0
    .max_flat_workgroup_size: 128
    .name:           _ZN4vllm3moe10topkGatingILi8ELi8ELi4ELi16ELi32Ej14__hip_bfloat16LNS0_11ScoringFuncE0EEEvPKT5_PKbPfiPT4_PiiiibPKf
    .private_segment_fixed_size: 0
    .sgpr_count:     18
    .sgpr_spill_count: 0
    .symbol:         _ZN4vllm3moe10topkGatingILi8ELi8ELi4ELi16ELi32Ej14__hip_bfloat16LNS0_11ScoringFuncE0EEEvPKT5_PKbPfiPT4_PiiiibPKf.kd
    .uniform_work_group_size: 1
    .uses_dynamic_stack: false
    .vgpr_count:     33
    .vgpr_spill_count: 0
    .wavefront_size: 32
    .workgroup_processor_mode: 1
  - .args:
      - .address_space:  global
        .offset:         0
        .size:           8
        .value_kind:     global_buffer
      - .address_space:  global
        .offset:         8
        .size:           8
        .value_kind:     global_buffer
      - .address_space:  global
        .offset:         16
        .size:           8
        .value_kind:     global_buffer
      - .offset:         24
        .size:           4
        .value_kind:     by_value
      - .address_space:  global
        .offset:         32
        .size:           8
        .value_kind:     global_buffer
      - .address_space:  global
        .offset:         40
        .size:           8
        .value_kind:     global_buffer
      - .offset:         48
        .size:           4
        .value_kind:     by_value
      - .offset:         52
        .size:           4
        .value_kind:     by_value
      - .offset:         56
        .size:           4
        .value_kind:     by_value
      - .offset:         60
        .size:           1
        .value_kind:     by_value
      - .address_space:  global
        .offset:         64
        .size:           8
        .value_kind:     global_buffer
    .group_segment_fixed_size: 0
    .kernarg_segment_align: 8
    .kernarg_segment_size: 72
    .language:       OpenCL C
    .language_version:
      - 2
      - 0
    .max_flat_workgroup_size: 256
    .name:           _ZN4vllm3moe10topkGatingILi8ELi16ELi4ELi16ELi64Ej14__hip_bfloat16LNS0_11ScoringFuncE0EEEvPKT5_PKbPfiPT4_PiiiibPKf
    .private_segment_fixed_size: 0
    .sgpr_count:     20
    .sgpr_spill_count: 0
    .symbol:         _ZN4vllm3moe10topkGatingILi8ELi16ELi4ELi16ELi64Ej14__hip_bfloat16LNS0_11ScoringFuncE0EEEvPKT5_PKbPfiPT4_PiiiibPKf.kd
    .uniform_work_group_size: 1
    .uses_dynamic_stack: false
    .vgpr_count:     35
    .vgpr_spill_count: 0
    .wavefront_size: 32
    .workgroup_processor_mode: 1
  - .args:
      - .address_space:  global
        .offset:         0
        .size:           8
        .value_kind:     global_buffer
      - .address_space:  global
        .offset:         8
        .size:           8
        .value_kind:     global_buffer
      - .address_space:  global
        .offset:         16
        .size:           8
        .value_kind:     global_buffer
      - .offset:         24
        .size:           4
        .value_kind:     by_value
      - .address_space:  global
        .offset:         32
        .size:           8
        .value_kind:     global_buffer
      - .address_space:  global
        .offset:         40
        .size:           8
        .value_kind:     global_buffer
      - .offset:         48
        .size:           4
        .value_kind:     by_value
      - .offset:         52
        .size:           4
        .value_kind:     by_value
      - .offset:         56
        .size:           4
        .value_kind:     by_value
      - .offset:         60
        .size:           1
        .value_kind:     by_value
      - .address_space:  global
        .offset:         64
        .size:           8
        .value_kind:     global_buffer
    .group_segment_fixed_size: 0
    .kernarg_segment_align: 8
    .kernarg_segment_size: 72
    .language:       OpenCL C
    .language_version:
      - 2
      - 0
    .max_flat_workgroup_size: 128
    .name:           _ZN4vllm3moe10topkGatingILi8ELi16ELi4ELi16ELi32Ej14__hip_bfloat16LNS0_11ScoringFuncE0EEEvPKT5_PKbPfiPT4_PiiiibPKf
    .private_segment_fixed_size: 0
    .sgpr_count:     20
    .sgpr_spill_count: 0
    .symbol:         _ZN4vllm3moe10topkGatingILi8ELi16ELi4ELi16ELi32Ej14__hip_bfloat16LNS0_11ScoringFuncE0EEEvPKT5_PKbPfiPT4_PiiiibPKf.kd
    .uniform_work_group_size: 1
    .uses_dynamic_stack: false
    .vgpr_count:     35
    .vgpr_spill_count: 0
    .wavefront_size: 32
    .workgroup_processor_mode: 1
  - .args:
      - .address_space:  global
        .offset:         0
        .size:           8
        .value_kind:     global_buffer
      - .address_space:  global
        .offset:         8
        .size:           8
        .value_kind:     global_buffer
      - .address_space:  global
        .offset:         16
        .size:           8
        .value_kind:     global_buffer
      - .offset:         24
        .size:           4
        .value_kind:     by_value
      - .address_space:  global
        .offset:         32
        .size:           8
        .value_kind:     global_buffer
      - .address_space:  global
        .offset:         40
        .size:           8
        .value_kind:     global_buffer
      - .offset:         48
        .size:           4
        .value_kind:     by_value
      - .offset:         52
        .size:           4
        .value_kind:     by_value
      - .offset:         56
        .size:           4
        .value_kind:     by_value
      - .offset:         60
        .size:           1
        .value_kind:     by_value
      - .address_space:  global
        .offset:         64
        .size:           8
        .value_kind:     global_buffer
    .group_segment_fixed_size: 0
    .kernarg_segment_align: 8
    .kernarg_segment_size: 72
    .language:       OpenCL C
    .language_version:
      - 2
      - 0
    .max_flat_workgroup_size: 256
    .name:           _ZN4vllm3moe10topkGatingILi8ELi32ELi4ELi16ELi64Ej14__hip_bfloat16LNS0_11ScoringFuncE0EEEvPKT5_PKbPfiPT4_PiiiibPKf
    .private_segment_fixed_size: 0
    .sgpr_count:     20
    .sgpr_spill_count: 0
    .symbol:         _ZN4vllm3moe10topkGatingILi8ELi32ELi4ELi16ELi64Ej14__hip_bfloat16LNS0_11ScoringFuncE0EEEvPKT5_PKbPfiPT4_PiiiibPKf.kd
    .uniform_work_group_size: 1
    .uses_dynamic_stack: false
    .vgpr_count:     36
    .vgpr_spill_count: 0
    .wavefront_size: 32
    .workgroup_processor_mode: 1
  - .args:
      - .address_space:  global
        .offset:         0
        .size:           8
        .value_kind:     global_buffer
      - .address_space:  global
        .offset:         8
        .size:           8
        .value_kind:     global_buffer
      - .address_space:  global
        .offset:         16
        .size:           8
        .value_kind:     global_buffer
      - .offset:         24
        .size:           4
        .value_kind:     by_value
      - .address_space:  global
        .offset:         32
        .size:           8
        .value_kind:     global_buffer
      - .address_space:  global
        .offset:         40
        .size:           8
        .value_kind:     global_buffer
      - .offset:         48
        .size:           4
        .value_kind:     by_value
      - .offset:         52
        .size:           4
        .value_kind:     by_value
      - .offset:         56
        .size:           4
        .value_kind:     by_value
      - .offset:         60
        .size:           1
        .value_kind:     by_value
      - .address_space:  global
        .offset:         64
        .size:           8
        .value_kind:     global_buffer
    .group_segment_fixed_size: 0
    .kernarg_segment_align: 8
    .kernarg_segment_size: 72
    .language:       OpenCL C
    .language_version:
      - 2
      - 0
    .max_flat_workgroup_size: 128
    .name:           _ZN4vllm3moe10topkGatingILi8ELi32ELi4ELi16ELi32Ej14__hip_bfloat16LNS0_11ScoringFuncE0EEEvPKT5_PKbPfiPT4_PiiiibPKf
    .private_segment_fixed_size: 0
    .sgpr_count:     20
    .sgpr_spill_count: 0
    .symbol:         _ZN4vllm3moe10topkGatingILi8ELi32ELi4ELi16ELi32Ej14__hip_bfloat16LNS0_11ScoringFuncE0EEEvPKT5_PKbPfiPT4_PiiiibPKf.kd
    .uniform_work_group_size: 1
    .uses_dynamic_stack: false
    .vgpr_count:     36
    .vgpr_spill_count: 0
    .wavefront_size: 32
    .workgroup_processor_mode: 1
  - .args:
      - .address_space:  global
        .offset:         0
        .size:           8
        .value_kind:     global_buffer
      - .address_space:  global
        .offset:         8
        .size:           8
        .value_kind:     global_buffer
      - .address_space:  global
        .offset:         16
        .size:           8
        .value_kind:     global_buffer
      - .offset:         24
        .size:           4
        .value_kind:     by_value
      - .address_space:  global
        .offset:         32
        .size:           8
        .value_kind:     global_buffer
      - .address_space:  global
        .offset:         40
        .size:           8
        .value_kind:     global_buffer
      - .offset:         48
        .size:           4
        .value_kind:     by_value
      - .offset:         52
        .size:           4
        .value_kind:     by_value
      - .offset:         56
        .size:           4
        .value_kind:     by_value
      - .offset:         60
        .size:           1
        .value_kind:     by_value
      - .address_space:  global
        .offset:         64
        .size:           8
        .value_kind:     global_buffer
    .group_segment_fixed_size: 0
    .kernarg_segment_align: 8
    .kernarg_segment_size: 72
    .language:       OpenCL C
    .language_version:
      - 2
      - 0
    .max_flat_workgroup_size: 256
    .name:           _ZN4vllm3moe10topkGatingILi8ELi64ELi4ELi16ELi64Ej14__hip_bfloat16LNS0_11ScoringFuncE0EEEvPKT5_PKbPfiPT4_PiiiibPKf
    .private_segment_fixed_size: 0
    .sgpr_count:     20
    .sgpr_spill_count: 0
    .symbol:         _ZN4vllm3moe10topkGatingILi8ELi64ELi4ELi16ELi64Ej14__hip_bfloat16LNS0_11ScoringFuncE0EEEvPKT5_PKbPfiPT4_PiiiibPKf.kd
    .uniform_work_group_size: 1
    .uses_dynamic_stack: false
    .vgpr_count:     37
    .vgpr_spill_count: 0
    .wavefront_size: 32
    .workgroup_processor_mode: 1
  - .args:
      - .address_space:  global
        .offset:         0
        .size:           8
        .value_kind:     global_buffer
      - .address_space:  global
        .offset:         8
        .size:           8
        .value_kind:     global_buffer
      - .address_space:  global
        .offset:         16
        .size:           8
        .value_kind:     global_buffer
      - .offset:         24
        .size:           4
        .value_kind:     by_value
      - .address_space:  global
        .offset:         32
        .size:           8
        .value_kind:     global_buffer
      - .address_space:  global
        .offset:         40
        .size:           8
        .value_kind:     global_buffer
      - .offset:         48
        .size:           4
        .value_kind:     by_value
      - .offset:         52
        .size:           4
        .value_kind:     by_value
      - .offset:         56
        .size:           4
        .value_kind:     by_value
      - .offset:         60
        .size:           1
        .value_kind:     by_value
      - .address_space:  global
        .offset:         64
        .size:           8
        .value_kind:     global_buffer
    .group_segment_fixed_size: 0
    .kernarg_segment_align: 8
    .kernarg_segment_size: 72
    .language:       OpenCL C
    .language_version:
      - 2
      - 0
    .max_flat_workgroup_size: 128
    .name:           _ZN4vllm3moe10topkGatingILi8ELi64ELi4ELi16ELi32Ej14__hip_bfloat16LNS0_11ScoringFuncE0EEEvPKT5_PKbPfiPT4_PiiiibPKf
    .private_segment_fixed_size: 0
    .sgpr_count:     20
    .sgpr_spill_count: 0
    .symbol:         _ZN4vllm3moe10topkGatingILi8ELi64ELi4ELi16ELi32Ej14__hip_bfloat16LNS0_11ScoringFuncE0EEEvPKT5_PKbPfiPT4_PiiiibPKf.kd
    .uniform_work_group_size: 1
    .uses_dynamic_stack: false
    .vgpr_count:     37
    .vgpr_spill_count: 0
    .wavefront_size: 32
    .workgroup_processor_mode: 1
  - .args:
      - .address_space:  global
        .offset:         0
        .size:           8
        .value_kind:     global_buffer
      - .address_space:  global
        .offset:         8
        .size:           8
        .value_kind:     global_buffer
      - .address_space:  global
        .offset:         16
        .size:           8
        .value_kind:     global_buffer
      - .offset:         24
        .size:           4
        .value_kind:     by_value
      - .address_space:  global
        .offset:         32
        .size:           8
        .value_kind:     global_buffer
      - .address_space:  global
        .offset:         40
        .size:           8
        .value_kind:     global_buffer
      - .offset:         48
        .size:           4
        .value_kind:     by_value
      - .offset:         52
        .size:           4
        .value_kind:     by_value
      - .offset:         56
        .size:           4
        .value_kind:     by_value
      - .offset:         60
        .size:           1
        .value_kind:     by_value
      - .address_space:  global
        .offset:         64
        .size:           8
        .value_kind:     global_buffer
    .group_segment_fixed_size: 0
    .kernarg_segment_align: 8
    .kernarg_segment_size: 72
    .language:       OpenCL C
    .language_version:
      - 2
      - 0
    .max_flat_workgroup_size: 256
    .name:           _ZN4vllm3moe10topkGatingILi8ELi128ELi4ELi16ELi64Ej14__hip_bfloat16LNS0_11ScoringFuncE0EEEvPKT5_PKbPfiPT4_PiiiibPKf
    .private_segment_fixed_size: 0
    .sgpr_count:     20
    .sgpr_spill_count: 0
    .symbol:         _ZN4vllm3moe10topkGatingILi8ELi128ELi4ELi16ELi64Ej14__hip_bfloat16LNS0_11ScoringFuncE0EEEvPKT5_PKbPfiPT4_PiiiibPKf.kd
    .uniform_work_group_size: 1
    .uses_dynamic_stack: false
    .vgpr_count:     38
    .vgpr_spill_count: 0
    .wavefront_size: 32
    .workgroup_processor_mode: 1
  - .args:
      - .address_space:  global
        .offset:         0
        .size:           8
        .value_kind:     global_buffer
      - .address_space:  global
        .offset:         8
        .size:           8
        .value_kind:     global_buffer
      - .address_space:  global
        .offset:         16
        .size:           8
        .value_kind:     global_buffer
      - .offset:         24
        .size:           4
        .value_kind:     by_value
      - .address_space:  global
        .offset:         32
        .size:           8
        .value_kind:     global_buffer
      - .address_space:  global
        .offset:         40
        .size:           8
        .value_kind:     global_buffer
      - .offset:         48
        .size:           4
        .value_kind:     by_value
      - .offset:         52
        .size:           4
        .value_kind:     by_value
      - .offset:         56
        .size:           4
        .value_kind:     by_value
      - .offset:         60
        .size:           1
        .value_kind:     by_value
      - .address_space:  global
        .offset:         64
        .size:           8
        .value_kind:     global_buffer
    .group_segment_fixed_size: 0
    .kernarg_segment_align: 8
    .kernarg_segment_size: 72
    .language:       OpenCL C
    .language_version:
      - 2
      - 0
    .max_flat_workgroup_size: 128
    .name:           _ZN4vllm3moe10topkGatingILi8ELi128ELi4ELi16ELi32Ej14__hip_bfloat16LNS0_11ScoringFuncE0EEEvPKT5_PKbPfiPT4_PiiiibPKf
    .private_segment_fixed_size: 0
    .sgpr_count:     20
    .sgpr_spill_count: 0
    .symbol:         _ZN4vllm3moe10topkGatingILi8ELi128ELi4ELi16ELi32Ej14__hip_bfloat16LNS0_11ScoringFuncE0EEEvPKT5_PKbPfiPT4_PiiiibPKf.kd
    .uniform_work_group_size: 1
    .uses_dynamic_stack: false
    .vgpr_count:     38
    .vgpr_spill_count: 0
    .wavefront_size: 32
    .workgroup_processor_mode: 1
  - .args:
      - .address_space:  global
        .offset:         0
        .size:           8
        .value_kind:     global_buffer
      - .address_space:  global
        .offset:         8
        .size:           8
        .value_kind:     global_buffer
      - .address_space:  global
        .offset:         16
        .size:           8
        .value_kind:     global_buffer
      - .offset:         24
        .size:           4
        .value_kind:     by_value
      - .address_space:  global
        .offset:         32
        .size:           8
        .value_kind:     global_buffer
      - .address_space:  global
        .offset:         40
        .size:           8
        .value_kind:     global_buffer
      - .offset:         48
        .size:           4
        .value_kind:     by_value
      - .offset:         52
        .size:           4
        .value_kind:     by_value
      - .offset:         56
        .size:           4
        .value_kind:     by_value
      - .offset:         60
        .size:           1
        .value_kind:     by_value
      - .address_space:  global
        .offset:         64
        .size:           8
        .value_kind:     global_buffer
    .group_segment_fixed_size: 0
    .kernarg_segment_align: 8
    .kernarg_segment_size: 72
    .language:       OpenCL C
    .language_version:
      - 2
      - 0
    .max_flat_workgroup_size: 256
    .name:           _ZN4vllm3moe10topkGatingILi8ELi256ELi4ELi16ELi64Ej14__hip_bfloat16LNS0_11ScoringFuncE0EEEvPKT5_PKbPfiPT4_PiiiibPKf
    .private_segment_fixed_size: 0
    .sgpr_count:     20
    .sgpr_spill_count: 0
    .symbol:         _ZN4vllm3moe10topkGatingILi8ELi256ELi4ELi16ELi64Ej14__hip_bfloat16LNS0_11ScoringFuncE0EEEvPKT5_PKbPfiPT4_PiiiibPKf.kd
    .uniform_work_group_size: 1
    .uses_dynamic_stack: false
    .vgpr_count:     39
    .vgpr_spill_count: 0
    .wavefront_size: 32
    .workgroup_processor_mode: 1
  - .args:
      - .address_space:  global
        .offset:         0
        .size:           8
        .value_kind:     global_buffer
      - .address_space:  global
        .offset:         8
        .size:           8
        .value_kind:     global_buffer
      - .address_space:  global
        .offset:         16
        .size:           8
        .value_kind:     global_buffer
      - .offset:         24
        .size:           4
        .value_kind:     by_value
      - .address_space:  global
        .offset:         32
        .size:           8
        .value_kind:     global_buffer
      - .address_space:  global
        .offset:         40
        .size:           8
        .value_kind:     global_buffer
      - .offset:         48
        .size:           4
        .value_kind:     by_value
      - .offset:         52
        .size:           4
        .value_kind:     by_value
      - .offset:         56
        .size:           4
        .value_kind:     by_value
      - .offset:         60
        .size:           1
        .value_kind:     by_value
      - .address_space:  global
        .offset:         64
        .size:           8
        .value_kind:     global_buffer
    .group_segment_fixed_size: 0
    .kernarg_segment_align: 8
    .kernarg_segment_size: 72
    .language:       OpenCL C
    .language_version:
      - 2
      - 0
    .max_flat_workgroup_size: 128
    .name:           _ZN4vllm3moe10topkGatingILi8ELi256ELi4ELi16ELi32Ej14__hip_bfloat16LNS0_11ScoringFuncE0EEEvPKT5_PKbPfiPT4_PiiiibPKf
    .private_segment_fixed_size: 0
    .sgpr_count:     20
    .sgpr_spill_count: 0
    .symbol:         _ZN4vllm3moe10topkGatingILi8ELi256ELi4ELi16ELi32Ej14__hip_bfloat16LNS0_11ScoringFuncE0EEEvPKT5_PKbPfiPT4_PiiiibPKf.kd
    .uniform_work_group_size: 1
    .uses_dynamic_stack: false
    .vgpr_count:     39
    .vgpr_spill_count: 0
    .wavefront_size: 32
    .workgroup_processor_mode: 1
  - .args:
      - .address_space:  global
        .offset:         0
        .size:           8
        .value_kind:     global_buffer
      - .address_space:  global
        .offset:         8
        .size:           8
        .value_kind:     global_buffer
      - .address_space:  global
        .offset:         16
        .size:           8
        .value_kind:     global_buffer
      - .offset:         24
        .size:           4
        .value_kind:     by_value
      - .address_space:  global
        .offset:         32
        .size:           8
        .value_kind:     global_buffer
      - .address_space:  global
        .offset:         40
        .size:           8
        .value_kind:     global_buffer
      - .offset:         48
        .size:           4
        .value_kind:     by_value
      - .offset:         52
        .size:           4
        .value_kind:     by_value
      - .offset:         56
        .size:           4
        .value_kind:     by_value
      - .offset:         60
        .size:           1
        .value_kind:     by_value
      - .address_space:  global
        .offset:         64
        .size:           8
        .value_kind:     global_buffer
    .group_segment_fixed_size: 0
    .kernarg_segment_align: 8
    .kernarg_segment_size: 72
    .language:       OpenCL C
    .language_version:
      - 2
      - 0
    .max_flat_workgroup_size: 256
    .name:           _ZN4vllm3moe10topkGatingILi8ELi512ELi4ELi16ELi64Ej14__hip_bfloat16LNS0_11ScoringFuncE0EEEvPKT5_PKbPfiPT4_PiiiibPKf
    .private_segment_fixed_size: 0
    .sgpr_count:     20
    .sgpr_spill_count: 0
    .symbol:         _ZN4vllm3moe10topkGatingILi8ELi512ELi4ELi16ELi64Ej14__hip_bfloat16LNS0_11ScoringFuncE0EEEvPKT5_PKbPfiPT4_PiiiibPKf.kd
    .uniform_work_group_size: 1
    .uses_dynamic_stack: false
    .vgpr_count:     40
    .vgpr_spill_count: 0
    .wavefront_size: 32
    .workgroup_processor_mode: 1
  - .args:
      - .address_space:  global
        .offset:         0
        .size:           8
        .value_kind:     global_buffer
      - .address_space:  global
        .offset:         8
        .size:           8
        .value_kind:     global_buffer
      - .address_space:  global
        .offset:         16
        .size:           8
        .value_kind:     global_buffer
      - .offset:         24
        .size:           4
        .value_kind:     by_value
      - .address_space:  global
        .offset:         32
        .size:           8
        .value_kind:     global_buffer
      - .address_space:  global
        .offset:         40
        .size:           8
        .value_kind:     global_buffer
      - .offset:         48
        .size:           4
        .value_kind:     by_value
      - .offset:         52
        .size:           4
        .value_kind:     by_value
      - .offset:         56
        .size:           4
        .value_kind:     by_value
      - .offset:         60
        .size:           1
        .value_kind:     by_value
      - .address_space:  global
        .offset:         64
        .size:           8
        .value_kind:     global_buffer
    .group_segment_fixed_size: 0
    .kernarg_segment_align: 8
    .kernarg_segment_size: 72
    .language:       OpenCL C
    .language_version:
      - 2
      - 0
    .max_flat_workgroup_size: 128
    .name:           _ZN4vllm3moe10topkGatingILi16ELi512ELi4ELi16ELi32Ej14__hip_bfloat16LNS0_11ScoringFuncE0EEEvPKT5_PKbPfiPT4_PiiiibPKf
    .private_segment_fixed_size: 0
    .sgpr_count:     20
    .sgpr_spill_count: 0
    .symbol:         _ZN4vllm3moe10topkGatingILi16ELi512ELi4ELi16ELi32Ej14__hip_bfloat16LNS0_11ScoringFuncE0EEEvPKT5_PKbPfiPT4_PiiiibPKf.kd
    .uniform_work_group_size: 1
    .uses_dynamic_stack: false
    .vgpr_count:     71
    .vgpr_spill_count: 0
    .wavefront_size: 32
    .workgroup_processor_mode: 1
  - .args:
      - .address_space:  global
        .offset:         0
        .size:           8
        .value_kind:     global_buffer
      - .address_space:  global
        .offset:         8
        .size:           8
        .value_kind:     global_buffer
      - .address_space:  global
        .offset:         16
        .size:           8
        .value_kind:     global_buffer
      - .offset:         24
        .size:           4
        .value_kind:     by_value
      - .address_space:  global
        .offset:         32
        .size:           8
        .value_kind:     global_buffer
      - .address_space:  global
        .offset:         40
        .size:           8
        .value_kind:     global_buffer
      - .offset:         48
        .size:           4
        .value_kind:     by_value
      - .offset:         52
        .size:           4
        .value_kind:     by_value
      - .offset:         56
        .size:           4
        .value_kind:     by_value
      - .offset:         60
        .size:           1
        .value_kind:     by_value
      - .address_space:  global
        .offset:         64
        .size:           8
        .value_kind:     global_buffer
    .group_segment_fixed_size: 0
    .kernarg_segment_align: 8
    .kernarg_segment_size: 72
    .language:       OpenCL C
    .language_version:
      - 2
      - 0
    .max_flat_workgroup_size: 256
    .name:           _ZN4vllm3moe10topkGatingILi1ELi1ELi4ELi2ELi64El14__hip_bfloat16LNS0_11ScoringFuncE0EEEvPKT5_PKbPfiPT4_PiiiibPKf
    .private_segment_fixed_size: 0
    .sgpr_count:     18
    .sgpr_spill_count: 0
    .symbol:         _ZN4vllm3moe10topkGatingILi1ELi1ELi4ELi2ELi64El14__hip_bfloat16LNS0_11ScoringFuncE0EEEvPKT5_PKbPfiPT4_PiiiibPKf.kd
    .uniform_work_group_size: 1
    .uses_dynamic_stack: false
    .vgpr_count:     14
    .vgpr_spill_count: 0
    .wavefront_size: 32
    .workgroup_processor_mode: 1
  - .args:
      - .address_space:  global
        .offset:         0
        .size:           8
        .value_kind:     global_buffer
      - .address_space:  global
        .offset:         8
        .size:           8
        .value_kind:     global_buffer
      - .address_space:  global
        .offset:         16
        .size:           8
        .value_kind:     global_buffer
      - .offset:         24
        .size:           4
        .value_kind:     by_value
      - .address_space:  global
        .offset:         32
        .size:           8
        .value_kind:     global_buffer
      - .address_space:  global
        .offset:         40
        .size:           8
        .value_kind:     global_buffer
      - .offset:         48
        .size:           4
        .value_kind:     by_value
      - .offset:         52
        .size:           4
        .value_kind:     by_value
      - .offset:         56
        .size:           4
        .value_kind:     by_value
      - .offset:         60
        .size:           1
        .value_kind:     by_value
      - .address_space:  global
        .offset:         64
        .size:           8
        .value_kind:     global_buffer
    .group_segment_fixed_size: 0
    .kernarg_segment_align: 8
    .kernarg_segment_size: 72
    .language:       OpenCL C
    .language_version:
      - 2
      - 0
    .max_flat_workgroup_size: 128
    .name:           _ZN4vllm3moe10topkGatingILi1ELi1ELi4ELi2ELi32El14__hip_bfloat16LNS0_11ScoringFuncE0EEEvPKT5_PKbPfiPT4_PiiiibPKf
    .private_segment_fixed_size: 0
    .sgpr_count:     18
    .sgpr_spill_count: 0
    .symbol:         _ZN4vllm3moe10topkGatingILi1ELi1ELi4ELi2ELi32El14__hip_bfloat16LNS0_11ScoringFuncE0EEEvPKT5_PKbPfiPT4_PiiiibPKf.kd
    .uniform_work_group_size: 1
    .uses_dynamic_stack: false
    .vgpr_count:     14
    .vgpr_spill_count: 0
    .wavefront_size: 32
    .workgroup_processor_mode: 1
  - .args:
      - .address_space:  global
        .offset:         0
        .size:           8
        .value_kind:     global_buffer
      - .address_space:  global
        .offset:         8
        .size:           8
        .value_kind:     global_buffer
      - .address_space:  global
        .offset:         16
        .size:           8
        .value_kind:     global_buffer
      - .offset:         24
        .size:           4
        .value_kind:     by_value
      - .address_space:  global
        .offset:         32
        .size:           8
        .value_kind:     global_buffer
      - .address_space:  global
        .offset:         40
        .size:           8
        .value_kind:     global_buffer
      - .offset:         48
        .size:           4
        .value_kind:     by_value
      - .offset:         52
        .size:           4
        .value_kind:     by_value
      - .offset:         56
        .size:           4
        .value_kind:     by_value
      - .offset:         60
        .size:           1
        .value_kind:     by_value
      - .address_space:  global
        .offset:         64
        .size:           8
        .value_kind:     global_buffer
    .group_segment_fixed_size: 0
    .kernarg_segment_align: 8
    .kernarg_segment_size: 72
    .language:       OpenCL C
    .language_version:
      - 2
      - 0
    .max_flat_workgroup_size: 256
    .name:           _ZN4vllm3moe10topkGatingILi2ELi2ELi4ELi4ELi64El14__hip_bfloat16LNS0_11ScoringFuncE0EEEvPKT5_PKbPfiPT4_PiiiibPKf
    .private_segment_fixed_size: 0
    .sgpr_count:     18
    .sgpr_spill_count: 0
    .symbol:         _ZN4vllm3moe10topkGatingILi2ELi2ELi4ELi4ELi64El14__hip_bfloat16LNS0_11ScoringFuncE0EEEvPKT5_PKbPfiPT4_PiiiibPKf.kd
    .uniform_work_group_size: 1
    .uses_dynamic_stack: false
    .vgpr_count:     18
    .vgpr_spill_count: 0
    .wavefront_size: 32
    .workgroup_processor_mode: 1
  - .args:
      - .address_space:  global
        .offset:         0
        .size:           8
        .value_kind:     global_buffer
      - .address_space:  global
        .offset:         8
        .size:           8
        .value_kind:     global_buffer
      - .address_space:  global
        .offset:         16
        .size:           8
        .value_kind:     global_buffer
      - .offset:         24
        .size:           4
        .value_kind:     by_value
      - .address_space:  global
        .offset:         32
        .size:           8
        .value_kind:     global_buffer
      - .address_space:  global
        .offset:         40
        .size:           8
        .value_kind:     global_buffer
      - .offset:         48
        .size:           4
        .value_kind:     by_value
      - .offset:         52
        .size:           4
        .value_kind:     by_value
      - .offset:         56
        .size:           4
        .value_kind:     by_value
      - .offset:         60
        .size:           1
        .value_kind:     by_value
      - .address_space:  global
        .offset:         64
        .size:           8
        .value_kind:     global_buffer
    .group_segment_fixed_size: 0
    .kernarg_segment_align: 8
    .kernarg_segment_size: 72
    .language:       OpenCL C
    .language_version:
      - 2
      - 0
    .max_flat_workgroup_size: 128
    .name:           _ZN4vllm3moe10topkGatingILi2ELi2ELi4ELi4ELi32El14__hip_bfloat16LNS0_11ScoringFuncE0EEEvPKT5_PKbPfiPT4_PiiiibPKf
    .private_segment_fixed_size: 0
    .sgpr_count:     18
    .sgpr_spill_count: 0
    .symbol:         _ZN4vllm3moe10topkGatingILi2ELi2ELi4ELi4ELi32El14__hip_bfloat16LNS0_11ScoringFuncE0EEEvPKT5_PKbPfiPT4_PiiiibPKf.kd
    .uniform_work_group_size: 1
    .uses_dynamic_stack: false
    .vgpr_count:     18
    .vgpr_spill_count: 0
    .wavefront_size: 32
    .workgroup_processor_mode: 1
  - .args:
      - .address_space:  global
        .offset:         0
        .size:           8
        .value_kind:     global_buffer
      - .address_space:  global
        .offset:         8
        .size:           8
        .value_kind:     global_buffer
      - .address_space:  global
        .offset:         16
        .size:           8
        .value_kind:     global_buffer
      - .offset:         24
        .size:           4
        .value_kind:     by_value
      - .address_space:  global
        .offset:         32
        .size:           8
        .value_kind:     global_buffer
      - .address_space:  global
        .offset:         40
        .size:           8
        .value_kind:     global_buffer
      - .offset:         48
        .size:           4
        .value_kind:     by_value
      - .offset:         52
        .size:           4
        .value_kind:     by_value
      - .offset:         56
        .size:           4
        .value_kind:     by_value
      - .offset:         60
        .size:           1
        .value_kind:     by_value
      - .address_space:  global
        .offset:         64
        .size:           8
        .value_kind:     global_buffer
    .group_segment_fixed_size: 0
    .kernarg_segment_align: 8
    .kernarg_segment_size: 72
    .language:       OpenCL C
    .language_version:
      - 2
      - 0
    .max_flat_workgroup_size: 256
    .name:           _ZN4vllm3moe10topkGatingILi4ELi4ELi4ELi8ELi64El14__hip_bfloat16LNS0_11ScoringFuncE0EEEvPKT5_PKbPfiPT4_PiiiibPKf
    .private_segment_fixed_size: 0
    .sgpr_count:     18
    .sgpr_spill_count: 0
    .symbol:         _ZN4vllm3moe10topkGatingILi4ELi4ELi4ELi8ELi64El14__hip_bfloat16LNS0_11ScoringFuncE0EEEvPKT5_PKbPfiPT4_PiiiibPKf.kd
    .uniform_work_group_size: 1
    .uses_dynamic_stack: false
    .vgpr_count:     24
    .vgpr_spill_count: 0
    .wavefront_size: 32
    .workgroup_processor_mode: 1
  - .args:
      - .address_space:  global
        .offset:         0
        .size:           8
        .value_kind:     global_buffer
      - .address_space:  global
        .offset:         8
        .size:           8
        .value_kind:     global_buffer
      - .address_space:  global
        .offset:         16
        .size:           8
        .value_kind:     global_buffer
      - .offset:         24
        .size:           4
        .value_kind:     by_value
      - .address_space:  global
        .offset:         32
        .size:           8
        .value_kind:     global_buffer
      - .address_space:  global
        .offset:         40
        .size:           8
        .value_kind:     global_buffer
      - .offset:         48
        .size:           4
        .value_kind:     by_value
      - .offset:         52
        .size:           4
        .value_kind:     by_value
      - .offset:         56
        .size:           4
        .value_kind:     by_value
      - .offset:         60
        .size:           1
        .value_kind:     by_value
      - .address_space:  global
        .offset:         64
        .size:           8
        .value_kind:     global_buffer
    .group_segment_fixed_size: 0
    .kernarg_segment_align: 8
    .kernarg_segment_size: 72
    .language:       OpenCL C
    .language_version:
      - 2
      - 0
    .max_flat_workgroup_size: 128
    .name:           _ZN4vllm3moe10topkGatingILi4ELi4ELi4ELi8ELi32El14__hip_bfloat16LNS0_11ScoringFuncE0EEEvPKT5_PKbPfiPT4_PiiiibPKf
    .private_segment_fixed_size: 0
    .sgpr_count:     18
    .sgpr_spill_count: 0
    .symbol:         _ZN4vllm3moe10topkGatingILi4ELi4ELi4ELi8ELi32El14__hip_bfloat16LNS0_11ScoringFuncE0EEEvPKT5_PKbPfiPT4_PiiiibPKf.kd
    .uniform_work_group_size: 1
    .uses_dynamic_stack: false
    .vgpr_count:     24
    .vgpr_spill_count: 0
    .wavefront_size: 32
    .workgroup_processor_mode: 1
  - .args:
      - .address_space:  global
        .offset:         0
        .size:           8
        .value_kind:     global_buffer
      - .address_space:  global
        .offset:         8
        .size:           8
        .value_kind:     global_buffer
      - .address_space:  global
        .offset:         16
        .size:           8
        .value_kind:     global_buffer
      - .offset:         24
        .size:           4
        .value_kind:     by_value
      - .address_space:  global
        .offset:         32
        .size:           8
        .value_kind:     global_buffer
      - .address_space:  global
        .offset:         40
        .size:           8
        .value_kind:     global_buffer
      - .offset:         48
        .size:           4
        .value_kind:     by_value
      - .offset:         52
        .size:           4
        .value_kind:     by_value
      - .offset:         56
        .size:           4
        .value_kind:     by_value
      - .offset:         60
        .size:           1
        .value_kind:     by_value
      - .address_space:  global
        .offset:         64
        .size:           8
        .value_kind:     global_buffer
    .group_segment_fixed_size: 0
    .kernarg_segment_align: 8
    .kernarg_segment_size: 72
    .language:       OpenCL C
    .language_version:
      - 2
      - 0
    .max_flat_workgroup_size: 256
    .name:           _ZN4vllm3moe10topkGatingILi8ELi8ELi4ELi16ELi64El14__hip_bfloat16LNS0_11ScoringFuncE0EEEvPKT5_PKbPfiPT4_PiiiibPKf
    .private_segment_fixed_size: 0
    .sgpr_count:     18
    .sgpr_spill_count: 0
    .symbol:         _ZN4vllm3moe10topkGatingILi8ELi8ELi4ELi16ELi64El14__hip_bfloat16LNS0_11ScoringFuncE0EEEvPKT5_PKbPfiPT4_PiiiibPKf.kd
    .uniform_work_group_size: 1
    .uses_dynamic_stack: false
    .vgpr_count:     35
    .vgpr_spill_count: 0
    .wavefront_size: 32
    .workgroup_processor_mode: 1
  - .args:
      - .address_space:  global
        .offset:         0
        .size:           8
        .value_kind:     global_buffer
      - .address_space:  global
        .offset:         8
        .size:           8
        .value_kind:     global_buffer
      - .address_space:  global
        .offset:         16
        .size:           8
        .value_kind:     global_buffer
      - .offset:         24
        .size:           4
        .value_kind:     by_value
      - .address_space:  global
        .offset:         32
        .size:           8
        .value_kind:     global_buffer
      - .address_space:  global
        .offset:         40
        .size:           8
        .value_kind:     global_buffer
      - .offset:         48
        .size:           4
        .value_kind:     by_value
      - .offset:         52
        .size:           4
        .value_kind:     by_value
      - .offset:         56
        .size:           4
        .value_kind:     by_value
      - .offset:         60
        .size:           1
        .value_kind:     by_value
      - .address_space:  global
        .offset:         64
        .size:           8
        .value_kind:     global_buffer
    .group_segment_fixed_size: 0
    .kernarg_segment_align: 8
    .kernarg_segment_size: 72
    .language:       OpenCL C
    .language_version:
      - 2
      - 0
    .max_flat_workgroup_size: 128
    .name:           _ZN4vllm3moe10topkGatingILi8ELi8ELi4ELi16ELi32El14__hip_bfloat16LNS0_11ScoringFuncE0EEEvPKT5_PKbPfiPT4_PiiiibPKf
    .private_segment_fixed_size: 0
    .sgpr_count:     18
    .sgpr_spill_count: 0
    .symbol:         _ZN4vllm3moe10topkGatingILi8ELi8ELi4ELi16ELi32El14__hip_bfloat16LNS0_11ScoringFuncE0EEEvPKT5_PKbPfiPT4_PiiiibPKf.kd
    .uniform_work_group_size: 1
    .uses_dynamic_stack: false
    .vgpr_count:     35
    .vgpr_spill_count: 0
    .wavefront_size: 32
    .workgroup_processor_mode: 1
  - .args:
      - .address_space:  global
        .offset:         0
        .size:           8
        .value_kind:     global_buffer
      - .address_space:  global
        .offset:         8
        .size:           8
        .value_kind:     global_buffer
      - .address_space:  global
        .offset:         16
        .size:           8
        .value_kind:     global_buffer
      - .offset:         24
        .size:           4
        .value_kind:     by_value
      - .address_space:  global
        .offset:         32
        .size:           8
        .value_kind:     global_buffer
      - .address_space:  global
        .offset:         40
        .size:           8
        .value_kind:     global_buffer
      - .offset:         48
        .size:           4
        .value_kind:     by_value
      - .offset:         52
        .size:           4
        .value_kind:     by_value
      - .offset:         56
        .size:           4
        .value_kind:     by_value
      - .offset:         60
        .size:           1
        .value_kind:     by_value
      - .address_space:  global
        .offset:         64
        .size:           8
        .value_kind:     global_buffer
    .group_segment_fixed_size: 0
    .kernarg_segment_align: 8
    .kernarg_segment_size: 72
    .language:       OpenCL C
    .language_version:
      - 2
      - 0
    .max_flat_workgroup_size: 256
    .name:           _ZN4vllm3moe10topkGatingILi8ELi16ELi4ELi16ELi64El14__hip_bfloat16LNS0_11ScoringFuncE0EEEvPKT5_PKbPfiPT4_PiiiibPKf
    .private_segment_fixed_size: 0
    .sgpr_count:     20
    .sgpr_spill_count: 0
    .symbol:         _ZN4vllm3moe10topkGatingILi8ELi16ELi4ELi16ELi64El14__hip_bfloat16LNS0_11ScoringFuncE0EEEvPKT5_PKbPfiPT4_PiiiibPKf.kd
    .uniform_work_group_size: 1
    .uses_dynamic_stack: false
    .vgpr_count:     35
    .vgpr_spill_count: 0
    .wavefront_size: 32
    .workgroup_processor_mode: 1
  - .args:
      - .address_space:  global
        .offset:         0
        .size:           8
        .value_kind:     global_buffer
      - .address_space:  global
        .offset:         8
        .size:           8
        .value_kind:     global_buffer
      - .address_space:  global
        .offset:         16
        .size:           8
        .value_kind:     global_buffer
      - .offset:         24
        .size:           4
        .value_kind:     by_value
      - .address_space:  global
        .offset:         32
        .size:           8
        .value_kind:     global_buffer
      - .address_space:  global
        .offset:         40
        .size:           8
        .value_kind:     global_buffer
      - .offset:         48
        .size:           4
        .value_kind:     by_value
      - .offset:         52
        .size:           4
        .value_kind:     by_value
      - .offset:         56
        .size:           4
        .value_kind:     by_value
      - .offset:         60
        .size:           1
        .value_kind:     by_value
      - .address_space:  global
        .offset:         64
        .size:           8
        .value_kind:     global_buffer
    .group_segment_fixed_size: 0
    .kernarg_segment_align: 8
    .kernarg_segment_size: 72
    .language:       OpenCL C
    .language_version:
      - 2
      - 0
    .max_flat_workgroup_size: 128
    .name:           _ZN4vllm3moe10topkGatingILi8ELi16ELi4ELi16ELi32El14__hip_bfloat16LNS0_11ScoringFuncE0EEEvPKT5_PKbPfiPT4_PiiiibPKf
    .private_segment_fixed_size: 0
    .sgpr_count:     20
    .sgpr_spill_count: 0
    .symbol:         _ZN4vllm3moe10topkGatingILi8ELi16ELi4ELi16ELi32El14__hip_bfloat16LNS0_11ScoringFuncE0EEEvPKT5_PKbPfiPT4_PiiiibPKf.kd
    .uniform_work_group_size: 1
    .uses_dynamic_stack: false
    .vgpr_count:     35
    .vgpr_spill_count: 0
    .wavefront_size: 32
    .workgroup_processor_mode: 1
  - .args:
      - .address_space:  global
        .offset:         0
        .size:           8
        .value_kind:     global_buffer
      - .address_space:  global
        .offset:         8
        .size:           8
        .value_kind:     global_buffer
      - .address_space:  global
        .offset:         16
        .size:           8
        .value_kind:     global_buffer
      - .offset:         24
        .size:           4
        .value_kind:     by_value
      - .address_space:  global
        .offset:         32
        .size:           8
        .value_kind:     global_buffer
      - .address_space:  global
        .offset:         40
        .size:           8
        .value_kind:     global_buffer
      - .offset:         48
        .size:           4
        .value_kind:     by_value
      - .offset:         52
        .size:           4
        .value_kind:     by_value
      - .offset:         56
        .size:           4
        .value_kind:     by_value
      - .offset:         60
        .size:           1
        .value_kind:     by_value
      - .address_space:  global
        .offset:         64
        .size:           8
        .value_kind:     global_buffer
    .group_segment_fixed_size: 0
    .kernarg_segment_align: 8
    .kernarg_segment_size: 72
    .language:       OpenCL C
    .language_version:
      - 2
      - 0
    .max_flat_workgroup_size: 256
    .name:           _ZN4vllm3moe10topkGatingILi8ELi32ELi4ELi16ELi64El14__hip_bfloat16LNS0_11ScoringFuncE0EEEvPKT5_PKbPfiPT4_PiiiibPKf
    .private_segment_fixed_size: 0
    .sgpr_count:     20
    .sgpr_spill_count: 0
    .symbol:         _ZN4vllm3moe10topkGatingILi8ELi32ELi4ELi16ELi64El14__hip_bfloat16LNS0_11ScoringFuncE0EEEvPKT5_PKbPfiPT4_PiiiibPKf.kd
    .uniform_work_group_size: 1
    .uses_dynamic_stack: false
    .vgpr_count:     36
    .vgpr_spill_count: 0
    .wavefront_size: 32
    .workgroup_processor_mode: 1
  - .args:
      - .address_space:  global
        .offset:         0
        .size:           8
        .value_kind:     global_buffer
      - .address_space:  global
        .offset:         8
        .size:           8
        .value_kind:     global_buffer
      - .address_space:  global
        .offset:         16
        .size:           8
        .value_kind:     global_buffer
      - .offset:         24
        .size:           4
        .value_kind:     by_value
      - .address_space:  global
        .offset:         32
        .size:           8
        .value_kind:     global_buffer
      - .address_space:  global
        .offset:         40
        .size:           8
        .value_kind:     global_buffer
      - .offset:         48
        .size:           4
        .value_kind:     by_value
      - .offset:         52
        .size:           4
        .value_kind:     by_value
      - .offset:         56
        .size:           4
        .value_kind:     by_value
      - .offset:         60
        .size:           1
        .value_kind:     by_value
      - .address_space:  global
        .offset:         64
        .size:           8
        .value_kind:     global_buffer
    .group_segment_fixed_size: 0
    .kernarg_segment_align: 8
    .kernarg_segment_size: 72
    .language:       OpenCL C
    .language_version:
      - 2
      - 0
    .max_flat_workgroup_size: 128
    .name:           _ZN4vllm3moe10topkGatingILi8ELi32ELi4ELi16ELi32El14__hip_bfloat16LNS0_11ScoringFuncE0EEEvPKT5_PKbPfiPT4_PiiiibPKf
    .private_segment_fixed_size: 0
    .sgpr_count:     20
    .sgpr_spill_count: 0
    .symbol:         _ZN4vllm3moe10topkGatingILi8ELi32ELi4ELi16ELi32El14__hip_bfloat16LNS0_11ScoringFuncE0EEEvPKT5_PKbPfiPT4_PiiiibPKf.kd
    .uniform_work_group_size: 1
    .uses_dynamic_stack: false
    .vgpr_count:     36
    .vgpr_spill_count: 0
    .wavefront_size: 32
    .workgroup_processor_mode: 1
  - .args:
      - .address_space:  global
        .offset:         0
        .size:           8
        .value_kind:     global_buffer
      - .address_space:  global
        .offset:         8
        .size:           8
        .value_kind:     global_buffer
      - .address_space:  global
        .offset:         16
        .size:           8
        .value_kind:     global_buffer
      - .offset:         24
        .size:           4
        .value_kind:     by_value
      - .address_space:  global
        .offset:         32
        .size:           8
        .value_kind:     global_buffer
      - .address_space:  global
        .offset:         40
        .size:           8
        .value_kind:     global_buffer
      - .offset:         48
        .size:           4
        .value_kind:     by_value
      - .offset:         52
        .size:           4
        .value_kind:     by_value
      - .offset:         56
        .size:           4
        .value_kind:     by_value
      - .offset:         60
        .size:           1
        .value_kind:     by_value
      - .address_space:  global
        .offset:         64
        .size:           8
        .value_kind:     global_buffer
    .group_segment_fixed_size: 0
    .kernarg_segment_align: 8
    .kernarg_segment_size: 72
    .language:       OpenCL C
    .language_version:
      - 2
      - 0
    .max_flat_workgroup_size: 256
    .name:           _ZN4vllm3moe10topkGatingILi8ELi64ELi4ELi16ELi64El14__hip_bfloat16LNS0_11ScoringFuncE0EEEvPKT5_PKbPfiPT4_PiiiibPKf
    .private_segment_fixed_size: 0
    .sgpr_count:     20
    .sgpr_spill_count: 0
    .symbol:         _ZN4vllm3moe10topkGatingILi8ELi64ELi4ELi16ELi64El14__hip_bfloat16LNS0_11ScoringFuncE0EEEvPKT5_PKbPfiPT4_PiiiibPKf.kd
    .uniform_work_group_size: 1
    .uses_dynamic_stack: false
    .vgpr_count:     37
    .vgpr_spill_count: 0
    .wavefront_size: 32
    .workgroup_processor_mode: 1
  - .args:
      - .address_space:  global
        .offset:         0
        .size:           8
        .value_kind:     global_buffer
      - .address_space:  global
        .offset:         8
        .size:           8
        .value_kind:     global_buffer
      - .address_space:  global
        .offset:         16
        .size:           8
        .value_kind:     global_buffer
      - .offset:         24
        .size:           4
        .value_kind:     by_value
      - .address_space:  global
        .offset:         32
        .size:           8
        .value_kind:     global_buffer
      - .address_space:  global
        .offset:         40
        .size:           8
        .value_kind:     global_buffer
      - .offset:         48
        .size:           4
        .value_kind:     by_value
      - .offset:         52
        .size:           4
        .value_kind:     by_value
      - .offset:         56
        .size:           4
        .value_kind:     by_value
      - .offset:         60
        .size:           1
        .value_kind:     by_value
      - .address_space:  global
        .offset:         64
        .size:           8
        .value_kind:     global_buffer
    .group_segment_fixed_size: 0
    .kernarg_segment_align: 8
    .kernarg_segment_size: 72
    .language:       OpenCL C
    .language_version:
      - 2
      - 0
    .max_flat_workgroup_size: 128
    .name:           _ZN4vllm3moe10topkGatingILi8ELi64ELi4ELi16ELi32El14__hip_bfloat16LNS0_11ScoringFuncE0EEEvPKT5_PKbPfiPT4_PiiiibPKf
    .private_segment_fixed_size: 0
    .sgpr_count:     20
    .sgpr_spill_count: 0
    .symbol:         _ZN4vllm3moe10topkGatingILi8ELi64ELi4ELi16ELi32El14__hip_bfloat16LNS0_11ScoringFuncE0EEEvPKT5_PKbPfiPT4_PiiiibPKf.kd
    .uniform_work_group_size: 1
    .uses_dynamic_stack: false
    .vgpr_count:     37
    .vgpr_spill_count: 0
    .wavefront_size: 32
    .workgroup_processor_mode: 1
  - .args:
      - .address_space:  global
        .offset:         0
        .size:           8
        .value_kind:     global_buffer
      - .address_space:  global
        .offset:         8
        .size:           8
        .value_kind:     global_buffer
      - .address_space:  global
        .offset:         16
        .size:           8
        .value_kind:     global_buffer
      - .offset:         24
        .size:           4
        .value_kind:     by_value
      - .address_space:  global
        .offset:         32
        .size:           8
        .value_kind:     global_buffer
      - .address_space:  global
        .offset:         40
        .size:           8
        .value_kind:     global_buffer
      - .offset:         48
        .size:           4
        .value_kind:     by_value
      - .offset:         52
        .size:           4
        .value_kind:     by_value
      - .offset:         56
        .size:           4
        .value_kind:     by_value
      - .offset:         60
        .size:           1
        .value_kind:     by_value
      - .address_space:  global
        .offset:         64
        .size:           8
        .value_kind:     global_buffer
    .group_segment_fixed_size: 0
    .kernarg_segment_align: 8
    .kernarg_segment_size: 72
    .language:       OpenCL C
    .language_version:
      - 2
      - 0
    .max_flat_workgroup_size: 256
    .name:           _ZN4vllm3moe10topkGatingILi8ELi128ELi4ELi16ELi64El14__hip_bfloat16LNS0_11ScoringFuncE0EEEvPKT5_PKbPfiPT4_PiiiibPKf
    .private_segment_fixed_size: 0
    .sgpr_count:     20
    .sgpr_spill_count: 0
    .symbol:         _ZN4vllm3moe10topkGatingILi8ELi128ELi4ELi16ELi64El14__hip_bfloat16LNS0_11ScoringFuncE0EEEvPKT5_PKbPfiPT4_PiiiibPKf.kd
    .uniform_work_group_size: 1
    .uses_dynamic_stack: false
    .vgpr_count:     38
    .vgpr_spill_count: 0
    .wavefront_size: 32
    .workgroup_processor_mode: 1
  - .args:
      - .address_space:  global
        .offset:         0
        .size:           8
        .value_kind:     global_buffer
      - .address_space:  global
        .offset:         8
        .size:           8
        .value_kind:     global_buffer
      - .address_space:  global
        .offset:         16
        .size:           8
        .value_kind:     global_buffer
      - .offset:         24
        .size:           4
        .value_kind:     by_value
      - .address_space:  global
        .offset:         32
        .size:           8
        .value_kind:     global_buffer
      - .address_space:  global
        .offset:         40
        .size:           8
        .value_kind:     global_buffer
      - .offset:         48
        .size:           4
        .value_kind:     by_value
      - .offset:         52
        .size:           4
        .value_kind:     by_value
      - .offset:         56
        .size:           4
        .value_kind:     by_value
      - .offset:         60
        .size:           1
        .value_kind:     by_value
      - .address_space:  global
        .offset:         64
        .size:           8
        .value_kind:     global_buffer
    .group_segment_fixed_size: 0
    .kernarg_segment_align: 8
    .kernarg_segment_size: 72
    .language:       OpenCL C
    .language_version:
      - 2
      - 0
    .max_flat_workgroup_size: 128
    .name:           _ZN4vllm3moe10topkGatingILi8ELi128ELi4ELi16ELi32El14__hip_bfloat16LNS0_11ScoringFuncE0EEEvPKT5_PKbPfiPT4_PiiiibPKf
    .private_segment_fixed_size: 0
    .sgpr_count:     20
    .sgpr_spill_count: 0
    .symbol:         _ZN4vllm3moe10topkGatingILi8ELi128ELi4ELi16ELi32El14__hip_bfloat16LNS0_11ScoringFuncE0EEEvPKT5_PKbPfiPT4_PiiiibPKf.kd
    .uniform_work_group_size: 1
    .uses_dynamic_stack: false
    .vgpr_count:     38
    .vgpr_spill_count: 0
    .wavefront_size: 32
    .workgroup_processor_mode: 1
  - .args:
      - .address_space:  global
        .offset:         0
        .size:           8
        .value_kind:     global_buffer
      - .address_space:  global
        .offset:         8
        .size:           8
        .value_kind:     global_buffer
      - .address_space:  global
        .offset:         16
        .size:           8
        .value_kind:     global_buffer
      - .offset:         24
        .size:           4
        .value_kind:     by_value
      - .address_space:  global
        .offset:         32
        .size:           8
        .value_kind:     global_buffer
      - .address_space:  global
        .offset:         40
        .size:           8
        .value_kind:     global_buffer
      - .offset:         48
        .size:           4
        .value_kind:     by_value
      - .offset:         52
        .size:           4
        .value_kind:     by_value
      - .offset:         56
        .size:           4
        .value_kind:     by_value
      - .offset:         60
        .size:           1
        .value_kind:     by_value
      - .address_space:  global
        .offset:         64
        .size:           8
        .value_kind:     global_buffer
    .group_segment_fixed_size: 0
    .kernarg_segment_align: 8
    .kernarg_segment_size: 72
    .language:       OpenCL C
    .language_version:
      - 2
      - 0
    .max_flat_workgroup_size: 256
    .name:           _ZN4vllm3moe10topkGatingILi8ELi256ELi4ELi16ELi64El14__hip_bfloat16LNS0_11ScoringFuncE0EEEvPKT5_PKbPfiPT4_PiiiibPKf
    .private_segment_fixed_size: 0
    .sgpr_count:     20
    .sgpr_spill_count: 0
    .symbol:         _ZN4vllm3moe10topkGatingILi8ELi256ELi4ELi16ELi64El14__hip_bfloat16LNS0_11ScoringFuncE0EEEvPKT5_PKbPfiPT4_PiiiibPKf.kd
    .uniform_work_group_size: 1
    .uses_dynamic_stack: false
    .vgpr_count:     39
    .vgpr_spill_count: 0
    .wavefront_size: 32
    .workgroup_processor_mode: 1
  - .args:
      - .address_space:  global
        .offset:         0
        .size:           8
        .value_kind:     global_buffer
      - .address_space:  global
        .offset:         8
        .size:           8
        .value_kind:     global_buffer
      - .address_space:  global
        .offset:         16
        .size:           8
        .value_kind:     global_buffer
      - .offset:         24
        .size:           4
        .value_kind:     by_value
      - .address_space:  global
        .offset:         32
        .size:           8
        .value_kind:     global_buffer
      - .address_space:  global
        .offset:         40
        .size:           8
        .value_kind:     global_buffer
      - .offset:         48
        .size:           4
        .value_kind:     by_value
      - .offset:         52
        .size:           4
        .value_kind:     by_value
      - .offset:         56
        .size:           4
        .value_kind:     by_value
      - .offset:         60
        .size:           1
        .value_kind:     by_value
      - .address_space:  global
        .offset:         64
        .size:           8
        .value_kind:     global_buffer
    .group_segment_fixed_size: 0
    .kernarg_segment_align: 8
    .kernarg_segment_size: 72
    .language:       OpenCL C
    .language_version:
      - 2
      - 0
    .max_flat_workgroup_size: 128
    .name:           _ZN4vllm3moe10topkGatingILi8ELi256ELi4ELi16ELi32El14__hip_bfloat16LNS0_11ScoringFuncE0EEEvPKT5_PKbPfiPT4_PiiiibPKf
    .private_segment_fixed_size: 0
    .sgpr_count:     20
    .sgpr_spill_count: 0
    .symbol:         _ZN4vllm3moe10topkGatingILi8ELi256ELi4ELi16ELi32El14__hip_bfloat16LNS0_11ScoringFuncE0EEEvPKT5_PKbPfiPT4_PiiiibPKf.kd
    .uniform_work_group_size: 1
    .uses_dynamic_stack: false
    .vgpr_count:     39
    .vgpr_spill_count: 0
    .wavefront_size: 32
    .workgroup_processor_mode: 1
  - .args:
      - .address_space:  global
        .offset:         0
        .size:           8
        .value_kind:     global_buffer
      - .address_space:  global
        .offset:         8
        .size:           8
        .value_kind:     global_buffer
      - .address_space:  global
        .offset:         16
        .size:           8
        .value_kind:     global_buffer
      - .offset:         24
        .size:           4
        .value_kind:     by_value
      - .address_space:  global
        .offset:         32
        .size:           8
        .value_kind:     global_buffer
      - .address_space:  global
        .offset:         40
        .size:           8
        .value_kind:     global_buffer
      - .offset:         48
        .size:           4
        .value_kind:     by_value
      - .offset:         52
        .size:           4
        .value_kind:     by_value
      - .offset:         56
        .size:           4
        .value_kind:     by_value
      - .offset:         60
        .size:           1
        .value_kind:     by_value
      - .address_space:  global
        .offset:         64
        .size:           8
        .value_kind:     global_buffer
    .group_segment_fixed_size: 0
    .kernarg_segment_align: 8
    .kernarg_segment_size: 72
    .language:       OpenCL C
    .language_version:
      - 2
      - 0
    .max_flat_workgroup_size: 256
    .name:           _ZN4vllm3moe10topkGatingILi8ELi512ELi4ELi16ELi64El14__hip_bfloat16LNS0_11ScoringFuncE0EEEvPKT5_PKbPfiPT4_PiiiibPKf
    .private_segment_fixed_size: 0
    .sgpr_count:     20
    .sgpr_spill_count: 0
    .symbol:         _ZN4vllm3moe10topkGatingILi8ELi512ELi4ELi16ELi64El14__hip_bfloat16LNS0_11ScoringFuncE0EEEvPKT5_PKbPfiPT4_PiiiibPKf.kd
    .uniform_work_group_size: 1
    .uses_dynamic_stack: false
    .vgpr_count:     40
    .vgpr_spill_count: 0
    .wavefront_size: 32
    .workgroup_processor_mode: 1
  - .args:
      - .address_space:  global
        .offset:         0
        .size:           8
        .value_kind:     global_buffer
      - .address_space:  global
        .offset:         8
        .size:           8
        .value_kind:     global_buffer
      - .address_space:  global
        .offset:         16
        .size:           8
        .value_kind:     global_buffer
      - .offset:         24
        .size:           4
        .value_kind:     by_value
      - .address_space:  global
        .offset:         32
        .size:           8
        .value_kind:     global_buffer
      - .address_space:  global
        .offset:         40
        .size:           8
        .value_kind:     global_buffer
      - .offset:         48
        .size:           4
        .value_kind:     by_value
      - .offset:         52
        .size:           4
        .value_kind:     by_value
      - .offset:         56
        .size:           4
        .value_kind:     by_value
      - .offset:         60
        .size:           1
        .value_kind:     by_value
      - .address_space:  global
        .offset:         64
        .size:           8
        .value_kind:     global_buffer
    .group_segment_fixed_size: 0
    .kernarg_segment_align: 8
    .kernarg_segment_size: 72
    .language:       OpenCL C
    .language_version:
      - 2
      - 0
    .max_flat_workgroup_size: 128
    .name:           _ZN4vllm3moe10topkGatingILi16ELi512ELi4ELi16ELi32El14__hip_bfloat16LNS0_11ScoringFuncE0EEEvPKT5_PKbPfiPT4_PiiiibPKf
    .private_segment_fixed_size: 0
    .sgpr_count:     20
    .sgpr_spill_count: 0
    .symbol:         _ZN4vllm3moe10topkGatingILi16ELi512ELi4ELi16ELi32El14__hip_bfloat16LNS0_11ScoringFuncE0EEEvPKT5_PKbPfiPT4_PiiiibPKf.kd
    .uniform_work_group_size: 1
    .uses_dynamic_stack: false
    .vgpr_count:     71
    .vgpr_spill_count: 0
    .wavefront_size: 32
    .workgroup_processor_mode: 1
  - .args:
      - .address_space:  global
        .offset:         0
        .size:           8
        .value_kind:     global_buffer
      - .address_space:  global
        .offset:         8
        .size:           8
        .value_kind:     global_buffer
      - .address_space:  global
        .offset:         16
        .size:           8
        .value_kind:     global_buffer
      - .offset:         24
        .size:           4
        .value_kind:     by_value
      - .address_space:  global
        .offset:         32
        .size:           8
        .value_kind:     global_buffer
      - .address_space:  global
        .offset:         40
        .size:           8
        .value_kind:     global_buffer
      - .offset:         48
        .size:           4
        .value_kind:     by_value
      - .offset:         52
        .size:           4
        .value_kind:     by_value
      - .offset:         56
        .size:           4
        .value_kind:     by_value
      - .offset:         60
        .size:           1
        .value_kind:     by_value
      - .address_space:  global
        .offset:         64
        .size:           8
        .value_kind:     global_buffer
    .group_segment_fixed_size: 0
    .kernarg_segment_align: 8
    .kernarg_segment_size: 72
    .language:       OpenCL C
    .language_version:
      - 2
      - 0
    .max_flat_workgroup_size: 256
    .name:           _ZN4vllm3moe10topkGatingILi1ELi1ELi4ELi4ELi64EifLNS0_11ScoringFuncE1EEEvPKT5_PKbPfiPT4_PiiiibPKf
    .private_segment_fixed_size: 0
    .sgpr_count:     22
    .sgpr_spill_count: 0
    .symbol:         _ZN4vllm3moe10topkGatingILi1ELi1ELi4ELi4ELi64EifLNS0_11ScoringFuncE1EEEvPKT5_PKbPfiPT4_PiiiibPKf.kd
    .uniform_work_group_size: 1
    .uses_dynamic_stack: false
    .vgpr_count:     12
    .vgpr_spill_count: 0
    .wavefront_size: 32
    .workgroup_processor_mode: 1
  - .args:
      - .address_space:  global
        .offset:         0
        .size:           8
        .value_kind:     global_buffer
      - .address_space:  global
        .offset:         8
        .size:           8
        .value_kind:     global_buffer
      - .address_space:  global
        .offset:         16
        .size:           8
        .value_kind:     global_buffer
      - .offset:         24
        .size:           4
        .value_kind:     by_value
      - .address_space:  global
        .offset:         32
        .size:           8
        .value_kind:     global_buffer
      - .address_space:  global
        .offset:         40
        .size:           8
        .value_kind:     global_buffer
      - .offset:         48
        .size:           4
        .value_kind:     by_value
      - .offset:         52
        .size:           4
        .value_kind:     by_value
      - .offset:         56
        .size:           4
        .value_kind:     by_value
      - .offset:         60
        .size:           1
        .value_kind:     by_value
      - .address_space:  global
        .offset:         64
        .size:           8
        .value_kind:     global_buffer
    .group_segment_fixed_size: 0
    .kernarg_segment_align: 8
    .kernarg_segment_size: 72
    .language:       OpenCL C
    .language_version:
      - 2
      - 0
    .max_flat_workgroup_size: 128
    .name:           _ZN4vllm3moe10topkGatingILi1ELi1ELi4ELi4ELi32EifLNS0_11ScoringFuncE1EEEvPKT5_PKbPfiPT4_PiiiibPKf
    .private_segment_fixed_size: 0
    .sgpr_count:     22
    .sgpr_spill_count: 0
    .symbol:         _ZN4vllm3moe10topkGatingILi1ELi1ELi4ELi4ELi32EifLNS0_11ScoringFuncE1EEEvPKT5_PKbPfiPT4_PiiiibPKf.kd
    .uniform_work_group_size: 1
    .uses_dynamic_stack: false
    .vgpr_count:     12
    .vgpr_spill_count: 0
    .wavefront_size: 32
    .workgroup_processor_mode: 1
  - .args:
      - .address_space:  global
        .offset:         0
        .size:           8
        .value_kind:     global_buffer
      - .address_space:  global
        .offset:         8
        .size:           8
        .value_kind:     global_buffer
      - .address_space:  global
        .offset:         16
        .size:           8
        .value_kind:     global_buffer
      - .offset:         24
        .size:           4
        .value_kind:     by_value
      - .address_space:  global
        .offset:         32
        .size:           8
        .value_kind:     global_buffer
      - .address_space:  global
        .offset:         40
        .size:           8
        .value_kind:     global_buffer
      - .offset:         48
        .size:           4
        .value_kind:     by_value
      - .offset:         52
        .size:           4
        .value_kind:     by_value
      - .offset:         56
        .size:           4
        .value_kind:     by_value
      - .offset:         60
        .size:           1
        .value_kind:     by_value
      - .address_space:  global
        .offset:         64
        .size:           8
        .value_kind:     global_buffer
    .group_segment_fixed_size: 0
    .kernarg_segment_align: 8
    .kernarg_segment_size: 72
    .language:       OpenCL C
    .language_version:
      - 2
      - 0
    .max_flat_workgroup_size: 256
    .name:           _ZN4vllm3moe10topkGatingILi2ELi2ELi4ELi8ELi64EifLNS0_11ScoringFuncE1EEEvPKT5_PKbPfiPT4_PiiiibPKf
    .private_segment_fixed_size: 0
    .sgpr_count:     18
    .sgpr_spill_count: 0
    .symbol:         _ZN4vllm3moe10topkGatingILi2ELi2ELi4ELi8ELi64EifLNS0_11ScoringFuncE1EEEvPKT5_PKbPfiPT4_PiiiibPKf.kd
    .uniform_work_group_size: 1
    .uses_dynamic_stack: false
    .vgpr_count:     18
    .vgpr_spill_count: 0
    .wavefront_size: 32
    .workgroup_processor_mode: 1
  - .args:
      - .address_space:  global
        .offset:         0
        .size:           8
        .value_kind:     global_buffer
      - .address_space:  global
        .offset:         8
        .size:           8
        .value_kind:     global_buffer
      - .address_space:  global
        .offset:         16
        .size:           8
        .value_kind:     global_buffer
      - .offset:         24
        .size:           4
        .value_kind:     by_value
      - .address_space:  global
        .offset:         32
        .size:           8
        .value_kind:     global_buffer
      - .address_space:  global
        .offset:         40
        .size:           8
        .value_kind:     global_buffer
      - .offset:         48
        .size:           4
        .value_kind:     by_value
      - .offset:         52
        .size:           4
        .value_kind:     by_value
      - .offset:         56
        .size:           4
        .value_kind:     by_value
      - .offset:         60
        .size:           1
        .value_kind:     by_value
      - .address_space:  global
        .offset:         64
        .size:           8
        .value_kind:     global_buffer
    .group_segment_fixed_size: 0
    .kernarg_segment_align: 8
    .kernarg_segment_size: 72
    .language:       OpenCL C
    .language_version:
      - 2
      - 0
    .max_flat_workgroup_size: 128
    .name:           _ZN4vllm3moe10topkGatingILi2ELi2ELi4ELi8ELi32EifLNS0_11ScoringFuncE1EEEvPKT5_PKbPfiPT4_PiiiibPKf
    .private_segment_fixed_size: 0
    .sgpr_count:     18
    .sgpr_spill_count: 0
    .symbol:         _ZN4vllm3moe10topkGatingILi2ELi2ELi4ELi8ELi32EifLNS0_11ScoringFuncE1EEEvPKT5_PKbPfiPT4_PiiiibPKf.kd
    .uniform_work_group_size: 1
    .uses_dynamic_stack: false
    .vgpr_count:     18
    .vgpr_spill_count: 0
    .wavefront_size: 32
    .workgroup_processor_mode: 1
  - .args:
      - .address_space:  global
        .offset:         0
        .size:           8
        .value_kind:     global_buffer
      - .address_space:  global
        .offset:         8
        .size:           8
        .value_kind:     global_buffer
      - .address_space:  global
        .offset:         16
        .size:           8
        .value_kind:     global_buffer
      - .offset:         24
        .size:           4
        .value_kind:     by_value
      - .address_space:  global
        .offset:         32
        .size:           8
        .value_kind:     global_buffer
      - .address_space:  global
        .offset:         40
        .size:           8
        .value_kind:     global_buffer
      - .offset:         48
        .size:           4
        .value_kind:     by_value
      - .offset:         52
        .size:           4
        .value_kind:     by_value
      - .offset:         56
        .size:           4
        .value_kind:     by_value
      - .offset:         60
        .size:           1
        .value_kind:     by_value
      - .address_space:  global
        .offset:         64
        .size:           8
        .value_kind:     global_buffer
    .group_segment_fixed_size: 0
    .kernarg_segment_align: 8
    .kernarg_segment_size: 72
    .language:       OpenCL C
    .language_version:
      - 2
      - 0
    .max_flat_workgroup_size: 256
    .name:           _ZN4vllm3moe10topkGatingILi4ELi4ELi4ELi16ELi64EifLNS0_11ScoringFuncE1EEEvPKT5_PKbPfiPT4_PiiiibPKf
    .private_segment_fixed_size: 0
    .sgpr_count:     18
    .sgpr_spill_count: 0
    .symbol:         _ZN4vllm3moe10topkGatingILi4ELi4ELi4ELi16ELi64EifLNS0_11ScoringFuncE1EEEvPKT5_PKbPfiPT4_PiiiibPKf.kd
    .uniform_work_group_size: 1
    .uses_dynamic_stack: false
    .vgpr_count:     25
    .vgpr_spill_count: 0
    .wavefront_size: 32
    .workgroup_processor_mode: 1
  - .args:
      - .address_space:  global
        .offset:         0
        .size:           8
        .value_kind:     global_buffer
      - .address_space:  global
        .offset:         8
        .size:           8
        .value_kind:     global_buffer
      - .address_space:  global
        .offset:         16
        .size:           8
        .value_kind:     global_buffer
      - .offset:         24
        .size:           4
        .value_kind:     by_value
      - .address_space:  global
        .offset:         32
        .size:           8
        .value_kind:     global_buffer
      - .address_space:  global
        .offset:         40
        .size:           8
        .value_kind:     global_buffer
      - .offset:         48
        .size:           4
        .value_kind:     by_value
      - .offset:         52
        .size:           4
        .value_kind:     by_value
      - .offset:         56
        .size:           4
        .value_kind:     by_value
      - .offset:         60
        .size:           1
        .value_kind:     by_value
      - .address_space:  global
        .offset:         64
        .size:           8
        .value_kind:     global_buffer
    .group_segment_fixed_size: 0
    .kernarg_segment_align: 8
    .kernarg_segment_size: 72
    .language:       OpenCL C
    .language_version:
      - 2
      - 0
    .max_flat_workgroup_size: 128
    .name:           _ZN4vllm3moe10topkGatingILi4ELi4ELi4ELi16ELi32EifLNS0_11ScoringFuncE1EEEvPKT5_PKbPfiPT4_PiiiibPKf
    .private_segment_fixed_size: 0
    .sgpr_count:     18
    .sgpr_spill_count: 0
    .symbol:         _ZN4vllm3moe10topkGatingILi4ELi4ELi4ELi16ELi32EifLNS0_11ScoringFuncE1EEEvPKT5_PKbPfiPT4_PiiiibPKf.kd
    .uniform_work_group_size: 1
    .uses_dynamic_stack: false
    .vgpr_count:     25
    .vgpr_spill_count: 0
    .wavefront_size: 32
    .workgroup_processor_mode: 1
  - .args:
      - .address_space:  global
        .offset:         0
        .size:           8
        .value_kind:     global_buffer
      - .address_space:  global
        .offset:         8
        .size:           8
        .value_kind:     global_buffer
      - .address_space:  global
        .offset:         16
        .size:           8
        .value_kind:     global_buffer
      - .offset:         24
        .size:           4
        .value_kind:     by_value
      - .address_space:  global
        .offset:         32
        .size:           8
        .value_kind:     global_buffer
      - .address_space:  global
        .offset:         40
        .size:           8
        .value_kind:     global_buffer
      - .offset:         48
        .size:           4
        .value_kind:     by_value
      - .offset:         52
        .size:           4
        .value_kind:     by_value
      - .offset:         56
        .size:           4
        .value_kind:     by_value
      - .offset:         60
        .size:           1
        .value_kind:     by_value
      - .address_space:  global
        .offset:         64
        .size:           8
        .value_kind:     global_buffer
    .group_segment_fixed_size: 0
    .kernarg_segment_align: 8
    .kernarg_segment_size: 72
    .language:       OpenCL C
    .language_version:
      - 2
      - 0
    .max_flat_workgroup_size: 256
    .name:           _ZN4vllm3moe10topkGatingILi4ELi8ELi4ELi16ELi64EifLNS0_11ScoringFuncE1EEEvPKT5_PKbPfiPT4_PiiiibPKf
    .private_segment_fixed_size: 0
    .sgpr_count:     20
    .sgpr_spill_count: 0
    .symbol:         _ZN4vllm3moe10topkGatingILi4ELi8ELi4ELi16ELi64EifLNS0_11ScoringFuncE1EEEvPKT5_PKbPfiPT4_PiiiibPKf.kd
    .uniform_work_group_size: 1
    .uses_dynamic_stack: false
    .vgpr_count:     26
    .vgpr_spill_count: 0
    .wavefront_size: 32
    .workgroup_processor_mode: 1
  - .args:
      - .address_space:  global
        .offset:         0
        .size:           8
        .value_kind:     global_buffer
      - .address_space:  global
        .offset:         8
        .size:           8
        .value_kind:     global_buffer
      - .address_space:  global
        .offset:         16
        .size:           8
        .value_kind:     global_buffer
      - .offset:         24
        .size:           4
        .value_kind:     by_value
      - .address_space:  global
        .offset:         32
        .size:           8
        .value_kind:     global_buffer
      - .address_space:  global
        .offset:         40
        .size:           8
        .value_kind:     global_buffer
      - .offset:         48
        .size:           4
        .value_kind:     by_value
      - .offset:         52
        .size:           4
        .value_kind:     by_value
      - .offset:         56
        .size:           4
        .value_kind:     by_value
      - .offset:         60
        .size:           1
        .value_kind:     by_value
      - .address_space:  global
        .offset:         64
        .size:           8
        .value_kind:     global_buffer
    .group_segment_fixed_size: 0
    .kernarg_segment_align: 8
    .kernarg_segment_size: 72
    .language:       OpenCL C
    .language_version:
      - 2
      - 0
    .max_flat_workgroup_size: 128
    .name:           _ZN4vllm3moe10topkGatingILi4ELi8ELi4ELi16ELi32EifLNS0_11ScoringFuncE1EEEvPKT5_PKbPfiPT4_PiiiibPKf
    .private_segment_fixed_size: 0
    .sgpr_count:     20
    .sgpr_spill_count: 0
    .symbol:         _ZN4vllm3moe10topkGatingILi4ELi8ELi4ELi16ELi32EifLNS0_11ScoringFuncE1EEEvPKT5_PKbPfiPT4_PiiiibPKf.kd
    .uniform_work_group_size: 1
    .uses_dynamic_stack: false
    .vgpr_count:     26
    .vgpr_spill_count: 0
    .wavefront_size: 32
    .workgroup_processor_mode: 1
  - .args:
      - .address_space:  global
        .offset:         0
        .size:           8
        .value_kind:     global_buffer
      - .address_space:  global
        .offset:         8
        .size:           8
        .value_kind:     global_buffer
      - .address_space:  global
        .offset:         16
        .size:           8
        .value_kind:     global_buffer
      - .offset:         24
        .size:           4
        .value_kind:     by_value
      - .address_space:  global
        .offset:         32
        .size:           8
        .value_kind:     global_buffer
      - .address_space:  global
        .offset:         40
        .size:           8
        .value_kind:     global_buffer
      - .offset:         48
        .size:           4
        .value_kind:     by_value
      - .offset:         52
        .size:           4
        .value_kind:     by_value
      - .offset:         56
        .size:           4
        .value_kind:     by_value
      - .offset:         60
        .size:           1
        .value_kind:     by_value
      - .address_space:  global
        .offset:         64
        .size:           8
        .value_kind:     global_buffer
    .group_segment_fixed_size: 0
    .kernarg_segment_align: 8
    .kernarg_segment_size: 72
    .language:       OpenCL C
    .language_version:
      - 2
      - 0
    .max_flat_workgroup_size: 256
    .name:           _ZN4vllm3moe10topkGatingILi4ELi16ELi4ELi16ELi64EifLNS0_11ScoringFuncE1EEEvPKT5_PKbPfiPT4_PiiiibPKf
    .private_segment_fixed_size: 0
    .sgpr_count:     20
    .sgpr_spill_count: 0
    .symbol:         _ZN4vllm3moe10topkGatingILi4ELi16ELi4ELi16ELi64EifLNS0_11ScoringFuncE1EEEvPKT5_PKbPfiPT4_PiiiibPKf.kd
    .uniform_work_group_size: 1
    .uses_dynamic_stack: false
    .vgpr_count:     26
    .vgpr_spill_count: 0
    .wavefront_size: 32
    .workgroup_processor_mode: 1
  - .args:
      - .address_space:  global
        .offset:         0
        .size:           8
        .value_kind:     global_buffer
      - .address_space:  global
        .offset:         8
        .size:           8
        .value_kind:     global_buffer
      - .address_space:  global
        .offset:         16
        .size:           8
        .value_kind:     global_buffer
      - .offset:         24
        .size:           4
        .value_kind:     by_value
      - .address_space:  global
        .offset:         32
        .size:           8
        .value_kind:     global_buffer
      - .address_space:  global
        .offset:         40
        .size:           8
        .value_kind:     global_buffer
      - .offset:         48
        .size:           4
        .value_kind:     by_value
      - .offset:         52
        .size:           4
        .value_kind:     by_value
      - .offset:         56
        .size:           4
        .value_kind:     by_value
      - .offset:         60
        .size:           1
        .value_kind:     by_value
      - .address_space:  global
        .offset:         64
        .size:           8
        .value_kind:     global_buffer
    .group_segment_fixed_size: 0
    .kernarg_segment_align: 8
    .kernarg_segment_size: 72
    .language:       OpenCL C
    .language_version:
      - 2
      - 0
    .max_flat_workgroup_size: 128
    .name:           _ZN4vllm3moe10topkGatingILi4ELi16ELi4ELi16ELi32EifLNS0_11ScoringFuncE1EEEvPKT5_PKbPfiPT4_PiiiibPKf
    .private_segment_fixed_size: 0
    .sgpr_count:     20
    .sgpr_spill_count: 0
    .symbol:         _ZN4vllm3moe10topkGatingILi4ELi16ELi4ELi16ELi32EifLNS0_11ScoringFuncE1EEEvPKT5_PKbPfiPT4_PiiiibPKf.kd
    .uniform_work_group_size: 1
    .uses_dynamic_stack: false
    .vgpr_count:     26
    .vgpr_spill_count: 0
    .wavefront_size: 32
    .workgroup_processor_mode: 1
  - .args:
      - .address_space:  global
        .offset:         0
        .size:           8
        .value_kind:     global_buffer
      - .address_space:  global
        .offset:         8
        .size:           8
        .value_kind:     global_buffer
      - .address_space:  global
        .offset:         16
        .size:           8
        .value_kind:     global_buffer
      - .offset:         24
        .size:           4
        .value_kind:     by_value
      - .address_space:  global
        .offset:         32
        .size:           8
        .value_kind:     global_buffer
      - .address_space:  global
        .offset:         40
        .size:           8
        .value_kind:     global_buffer
      - .offset:         48
        .size:           4
        .value_kind:     by_value
      - .offset:         52
        .size:           4
        .value_kind:     by_value
      - .offset:         56
        .size:           4
        .value_kind:     by_value
      - .offset:         60
        .size:           1
        .value_kind:     by_value
      - .address_space:  global
        .offset:         64
        .size:           8
        .value_kind:     global_buffer
    .group_segment_fixed_size: 0
    .kernarg_segment_align: 8
    .kernarg_segment_size: 72
    .language:       OpenCL C
    .language_version:
      - 2
      - 0
    .max_flat_workgroup_size: 256
    .name:           _ZN4vllm3moe10topkGatingILi4ELi32ELi4ELi16ELi64EifLNS0_11ScoringFuncE1EEEvPKT5_PKbPfiPT4_PiiiibPKf
    .private_segment_fixed_size: 0
    .sgpr_count:     20
    .sgpr_spill_count: 0
    .symbol:         _ZN4vllm3moe10topkGatingILi4ELi32ELi4ELi16ELi64EifLNS0_11ScoringFuncE1EEEvPKT5_PKbPfiPT4_PiiiibPKf.kd
    .uniform_work_group_size: 1
    .uses_dynamic_stack: false
    .vgpr_count:     27
    .vgpr_spill_count: 0
    .wavefront_size: 32
    .workgroup_processor_mode: 1
  - .args:
      - .address_space:  global
        .offset:         0
        .size:           8
        .value_kind:     global_buffer
      - .address_space:  global
        .offset:         8
        .size:           8
        .value_kind:     global_buffer
      - .address_space:  global
        .offset:         16
        .size:           8
        .value_kind:     global_buffer
      - .offset:         24
        .size:           4
        .value_kind:     by_value
      - .address_space:  global
        .offset:         32
        .size:           8
        .value_kind:     global_buffer
      - .address_space:  global
        .offset:         40
        .size:           8
        .value_kind:     global_buffer
      - .offset:         48
        .size:           4
        .value_kind:     by_value
      - .offset:         52
        .size:           4
        .value_kind:     by_value
      - .offset:         56
        .size:           4
        .value_kind:     by_value
      - .offset:         60
        .size:           1
        .value_kind:     by_value
      - .address_space:  global
        .offset:         64
        .size:           8
        .value_kind:     global_buffer
    .group_segment_fixed_size: 0
    .kernarg_segment_align: 8
    .kernarg_segment_size: 72
    .language:       OpenCL C
    .language_version:
      - 2
      - 0
    .max_flat_workgroup_size: 128
    .name:           _ZN4vllm3moe10topkGatingILi4ELi32ELi4ELi16ELi32EifLNS0_11ScoringFuncE1EEEvPKT5_PKbPfiPT4_PiiiibPKf
    .private_segment_fixed_size: 0
    .sgpr_count:     20
    .sgpr_spill_count: 0
    .symbol:         _ZN4vllm3moe10topkGatingILi4ELi32ELi4ELi16ELi32EifLNS0_11ScoringFuncE1EEEvPKT5_PKbPfiPT4_PiiiibPKf.kd
    .uniform_work_group_size: 1
    .uses_dynamic_stack: false
    .vgpr_count:     27
    .vgpr_spill_count: 0
    .wavefront_size: 32
    .workgroup_processor_mode: 1
  - .args:
      - .address_space:  global
        .offset:         0
        .size:           8
        .value_kind:     global_buffer
      - .address_space:  global
        .offset:         8
        .size:           8
        .value_kind:     global_buffer
      - .address_space:  global
        .offset:         16
        .size:           8
        .value_kind:     global_buffer
      - .offset:         24
        .size:           4
        .value_kind:     by_value
      - .address_space:  global
        .offset:         32
        .size:           8
        .value_kind:     global_buffer
      - .address_space:  global
        .offset:         40
        .size:           8
        .value_kind:     global_buffer
      - .offset:         48
        .size:           4
        .value_kind:     by_value
      - .offset:         52
        .size:           4
        .value_kind:     by_value
      - .offset:         56
        .size:           4
        .value_kind:     by_value
      - .offset:         60
        .size:           1
        .value_kind:     by_value
      - .address_space:  global
        .offset:         64
        .size:           8
        .value_kind:     global_buffer
    .group_segment_fixed_size: 0
    .kernarg_segment_align: 8
    .kernarg_segment_size: 72
    .language:       OpenCL C
    .language_version:
      - 2
      - 0
    .max_flat_workgroup_size: 256
    .name:           _ZN4vllm3moe10topkGatingILi4ELi64ELi4ELi16ELi64EifLNS0_11ScoringFuncE1EEEvPKT5_PKbPfiPT4_PiiiibPKf
    .private_segment_fixed_size: 0
    .sgpr_count:     20
    .sgpr_spill_count: 0
    .symbol:         _ZN4vllm3moe10topkGatingILi4ELi64ELi4ELi16ELi64EifLNS0_11ScoringFuncE1EEEvPKT5_PKbPfiPT4_PiiiibPKf.kd
    .uniform_work_group_size: 1
    .uses_dynamic_stack: false
    .vgpr_count:     28
    .vgpr_spill_count: 0
    .wavefront_size: 32
    .workgroup_processor_mode: 1
  - .args:
      - .address_space:  global
        .offset:         0
        .size:           8
        .value_kind:     global_buffer
      - .address_space:  global
        .offset:         8
        .size:           8
        .value_kind:     global_buffer
      - .address_space:  global
        .offset:         16
        .size:           8
        .value_kind:     global_buffer
      - .offset:         24
        .size:           4
        .value_kind:     by_value
      - .address_space:  global
        .offset:         32
        .size:           8
        .value_kind:     global_buffer
      - .address_space:  global
        .offset:         40
        .size:           8
        .value_kind:     global_buffer
      - .offset:         48
        .size:           4
        .value_kind:     by_value
      - .offset:         52
        .size:           4
        .value_kind:     by_value
      - .offset:         56
        .size:           4
        .value_kind:     by_value
      - .offset:         60
        .size:           1
        .value_kind:     by_value
      - .address_space:  global
        .offset:         64
        .size:           8
        .value_kind:     global_buffer
    .group_segment_fixed_size: 0
    .kernarg_segment_align: 8
    .kernarg_segment_size: 72
    .language:       OpenCL C
    .language_version:
      - 2
      - 0
    .max_flat_workgroup_size: 128
    .name:           _ZN4vllm3moe10topkGatingILi4ELi64ELi4ELi16ELi32EifLNS0_11ScoringFuncE1EEEvPKT5_PKbPfiPT4_PiiiibPKf
    .private_segment_fixed_size: 0
    .sgpr_count:     20
    .sgpr_spill_count: 0
    .symbol:         _ZN4vllm3moe10topkGatingILi4ELi64ELi4ELi16ELi32EifLNS0_11ScoringFuncE1EEEvPKT5_PKbPfiPT4_PiiiibPKf.kd
    .uniform_work_group_size: 1
    .uses_dynamic_stack: false
    .vgpr_count:     28
    .vgpr_spill_count: 0
    .wavefront_size: 32
    .workgroup_processor_mode: 1
  - .args:
      - .address_space:  global
        .offset:         0
        .size:           8
        .value_kind:     global_buffer
      - .address_space:  global
        .offset:         8
        .size:           8
        .value_kind:     global_buffer
      - .address_space:  global
        .offset:         16
        .size:           8
        .value_kind:     global_buffer
      - .offset:         24
        .size:           4
        .value_kind:     by_value
      - .address_space:  global
        .offset:         32
        .size:           8
        .value_kind:     global_buffer
      - .address_space:  global
        .offset:         40
        .size:           8
        .value_kind:     global_buffer
      - .offset:         48
        .size:           4
        .value_kind:     by_value
      - .offset:         52
        .size:           4
        .value_kind:     by_value
      - .offset:         56
        .size:           4
        .value_kind:     by_value
      - .offset:         60
        .size:           1
        .value_kind:     by_value
      - .address_space:  global
        .offset:         64
        .size:           8
        .value_kind:     global_buffer
    .group_segment_fixed_size: 0
    .kernarg_segment_align: 8
    .kernarg_segment_size: 72
    .language:       OpenCL C
    .language_version:
      - 2
      - 0
    .max_flat_workgroup_size: 256
    .name:           _ZN4vllm3moe10topkGatingILi4ELi128ELi4ELi16ELi64EifLNS0_11ScoringFuncE1EEEvPKT5_PKbPfiPT4_PiiiibPKf
    .private_segment_fixed_size: 0
    .sgpr_count:     20
    .sgpr_spill_count: 0
    .symbol:         _ZN4vllm3moe10topkGatingILi4ELi128ELi4ELi16ELi64EifLNS0_11ScoringFuncE1EEEvPKT5_PKbPfiPT4_PiiiibPKf.kd
    .uniform_work_group_size: 1
    .uses_dynamic_stack: false
    .vgpr_count:     29
    .vgpr_spill_count: 0
    .wavefront_size: 32
    .workgroup_processor_mode: 1
  - .args:
      - .address_space:  global
        .offset:         0
        .size:           8
        .value_kind:     global_buffer
      - .address_space:  global
        .offset:         8
        .size:           8
        .value_kind:     global_buffer
      - .address_space:  global
        .offset:         16
        .size:           8
        .value_kind:     global_buffer
      - .offset:         24
        .size:           4
        .value_kind:     by_value
      - .address_space:  global
        .offset:         32
        .size:           8
        .value_kind:     global_buffer
      - .address_space:  global
        .offset:         40
        .size:           8
        .value_kind:     global_buffer
      - .offset:         48
        .size:           4
        .value_kind:     by_value
      - .offset:         52
        .size:           4
        .value_kind:     by_value
      - .offset:         56
        .size:           4
        .value_kind:     by_value
      - .offset:         60
        .size:           1
        .value_kind:     by_value
      - .address_space:  global
        .offset:         64
        .size:           8
        .value_kind:     global_buffer
    .group_segment_fixed_size: 0
    .kernarg_segment_align: 8
    .kernarg_segment_size: 72
    .language:       OpenCL C
    .language_version:
      - 2
      - 0
    .max_flat_workgroup_size: 128
    .name:           _ZN4vllm3moe10topkGatingILi4ELi128ELi4ELi16ELi32EifLNS0_11ScoringFuncE1EEEvPKT5_PKbPfiPT4_PiiiibPKf
    .private_segment_fixed_size: 0
    .sgpr_count:     20
    .sgpr_spill_count: 0
    .symbol:         _ZN4vllm3moe10topkGatingILi4ELi128ELi4ELi16ELi32EifLNS0_11ScoringFuncE1EEEvPKT5_PKbPfiPT4_PiiiibPKf.kd
    .uniform_work_group_size: 1
    .uses_dynamic_stack: false
    .vgpr_count:     29
    .vgpr_spill_count: 0
    .wavefront_size: 32
    .workgroup_processor_mode: 1
  - .args:
      - .address_space:  global
        .offset:         0
        .size:           8
        .value_kind:     global_buffer
      - .address_space:  global
        .offset:         8
        .size:           8
        .value_kind:     global_buffer
      - .address_space:  global
        .offset:         16
        .size:           8
        .value_kind:     global_buffer
      - .offset:         24
        .size:           4
        .value_kind:     by_value
      - .address_space:  global
        .offset:         32
        .size:           8
        .value_kind:     global_buffer
      - .address_space:  global
        .offset:         40
        .size:           8
        .value_kind:     global_buffer
      - .offset:         48
        .size:           4
        .value_kind:     by_value
      - .offset:         52
        .size:           4
        .value_kind:     by_value
      - .offset:         56
        .size:           4
        .value_kind:     by_value
      - .offset:         60
        .size:           1
        .value_kind:     by_value
      - .address_space:  global
        .offset:         64
        .size:           8
        .value_kind:     global_buffer
    .group_segment_fixed_size: 0
    .kernarg_segment_align: 8
    .kernarg_segment_size: 72
    .language:       OpenCL C
    .language_version:
      - 2
      - 0
    .max_flat_workgroup_size: 256
    .name:           _ZN4vllm3moe10topkGatingILi4ELi256ELi4ELi16ELi64EifLNS0_11ScoringFuncE1EEEvPKT5_PKbPfiPT4_PiiiibPKf
    .private_segment_fixed_size: 0
    .sgpr_count:     20
    .sgpr_spill_count: 0
    .symbol:         _ZN4vllm3moe10topkGatingILi4ELi256ELi4ELi16ELi64EifLNS0_11ScoringFuncE1EEEvPKT5_PKbPfiPT4_PiiiibPKf.kd
    .uniform_work_group_size: 1
    .uses_dynamic_stack: false
    .vgpr_count:     30
    .vgpr_spill_count: 0
    .wavefront_size: 32
    .workgroup_processor_mode: 1
  - .args:
      - .address_space:  global
        .offset:         0
        .size:           8
        .value_kind:     global_buffer
      - .address_space:  global
        .offset:         8
        .size:           8
        .value_kind:     global_buffer
      - .address_space:  global
        .offset:         16
        .size:           8
        .value_kind:     global_buffer
      - .offset:         24
        .size:           4
        .value_kind:     by_value
      - .address_space:  global
        .offset:         32
        .size:           8
        .value_kind:     global_buffer
      - .address_space:  global
        .offset:         40
        .size:           8
        .value_kind:     global_buffer
      - .offset:         48
        .size:           4
        .value_kind:     by_value
      - .offset:         52
        .size:           4
        .value_kind:     by_value
      - .offset:         56
        .size:           4
        .value_kind:     by_value
      - .offset:         60
        .size:           1
        .value_kind:     by_value
      - .address_space:  global
        .offset:         64
        .size:           8
        .value_kind:     global_buffer
    .group_segment_fixed_size: 0
    .kernarg_segment_align: 8
    .kernarg_segment_size: 72
    .language:       OpenCL C
    .language_version:
      - 2
      - 0
    .max_flat_workgroup_size: 128
    .name:           _ZN4vllm3moe10topkGatingILi8ELi256ELi4ELi16ELi32EifLNS0_11ScoringFuncE1EEEvPKT5_PKbPfiPT4_PiiiibPKf
    .private_segment_fixed_size: 0
    .sgpr_count:     22
    .sgpr_spill_count: 0
    .symbol:         _ZN4vllm3moe10topkGatingILi8ELi256ELi4ELi16ELi32EifLNS0_11ScoringFuncE1EEEvPKT5_PKbPfiPT4_PiiiibPKf.kd
    .uniform_work_group_size: 1
    .uses_dynamic_stack: false
    .vgpr_count:     51
    .vgpr_spill_count: 0
    .wavefront_size: 32
    .workgroup_processor_mode: 1
  - .args:
      - .address_space:  global
        .offset:         0
        .size:           8
        .value_kind:     global_buffer
      - .address_space:  global
        .offset:         8
        .size:           8
        .value_kind:     global_buffer
      - .address_space:  global
        .offset:         16
        .size:           8
        .value_kind:     global_buffer
      - .offset:         24
        .size:           4
        .value_kind:     by_value
      - .address_space:  global
        .offset:         32
        .size:           8
        .value_kind:     global_buffer
      - .address_space:  global
        .offset:         40
        .size:           8
        .value_kind:     global_buffer
      - .offset:         48
        .size:           4
        .value_kind:     by_value
      - .offset:         52
        .size:           4
        .value_kind:     by_value
      - .offset:         56
        .size:           4
        .value_kind:     by_value
      - .offset:         60
        .size:           1
        .value_kind:     by_value
      - .address_space:  global
        .offset:         64
        .size:           8
        .value_kind:     global_buffer
    .group_segment_fixed_size: 0
    .kernarg_segment_align: 8
    .kernarg_segment_size: 72
    .language:       OpenCL C
    .language_version:
      - 2
      - 0
    .max_flat_workgroup_size: 256
    .name:           _ZN4vllm3moe10topkGatingILi8ELi512ELi4ELi16ELi64EifLNS0_11ScoringFuncE1EEEvPKT5_PKbPfiPT4_PiiiibPKf
    .private_segment_fixed_size: 0
    .sgpr_count:     22
    .sgpr_spill_count: 0
    .symbol:         _ZN4vllm3moe10topkGatingILi8ELi512ELi4ELi16ELi64EifLNS0_11ScoringFuncE1EEEvPKT5_PKbPfiPT4_PiiiibPKf.kd
    .uniform_work_group_size: 1
    .uses_dynamic_stack: false
    .vgpr_count:     51
    .vgpr_spill_count: 0
    .wavefront_size: 32
    .workgroup_processor_mode: 1
  - .args:
      - .address_space:  global
        .offset:         0
        .size:           8
        .value_kind:     global_buffer
      - .address_space:  global
        .offset:         8
        .size:           8
        .value_kind:     global_buffer
      - .address_space:  global
        .offset:         16
        .size:           8
        .value_kind:     global_buffer
      - .offset:         24
        .size:           4
        .value_kind:     by_value
      - .address_space:  global
        .offset:         32
        .size:           8
        .value_kind:     global_buffer
      - .address_space:  global
        .offset:         40
        .size:           8
        .value_kind:     global_buffer
      - .offset:         48
        .size:           4
        .value_kind:     by_value
      - .offset:         52
        .size:           4
        .value_kind:     by_value
      - .offset:         56
        .size:           4
        .value_kind:     by_value
      - .offset:         60
        .size:           1
        .value_kind:     by_value
      - .address_space:  global
        .offset:         64
        .size:           8
        .value_kind:     global_buffer
    .group_segment_fixed_size: 0
    .kernarg_segment_align: 8
    .kernarg_segment_size: 72
    .language:       OpenCL C
    .language_version:
      - 2
      - 0
    .max_flat_workgroup_size: 128
    .name:           _ZN4vllm3moe10topkGatingILi16ELi512ELi4ELi16ELi32EifLNS0_11ScoringFuncE1EEEvPKT5_PKbPfiPT4_PiiiibPKf
    .private_segment_fixed_size: 0
    .sgpr_count:     26
    .sgpr_spill_count: 0
    .symbol:         _ZN4vllm3moe10topkGatingILi16ELi512ELi4ELi16ELi32EifLNS0_11ScoringFuncE1EEEvPKT5_PKbPfiPT4_PiiiibPKf.kd
    .uniform_work_group_size: 1
    .uses_dynamic_stack: false
    .vgpr_count:     92
    .vgpr_spill_count: 0
    .wavefront_size: 32
    .workgroup_processor_mode: 1
  - .args:
      - .address_space:  global
        .offset:         0
        .size:           8
        .value_kind:     global_buffer
      - .address_space:  global
        .offset:         8
        .size:           8
        .value_kind:     global_buffer
      - .address_space:  global
        .offset:         16
        .size:           8
        .value_kind:     global_buffer
      - .offset:         24
        .size:           4
        .value_kind:     by_value
    .group_segment_fixed_size: 0
    .kernarg_segment_align: 8
    .kernarg_segment_size: 28
    .language:       OpenCL C
    .language_version:
      - 2
      - 0
    .max_flat_workgroup_size: 256
    .name:           _ZN4vllm3moe10moeSigmoidILi256EfEEvPKT0_PKbPfi
    .private_segment_fixed_size: 0
    .sgpr_count:     18
    .sgpr_spill_count: 0
    .symbol:         _ZN4vllm3moe10moeSigmoidILi256EfEEvPKT0_PKbPfi.kd
    .uniform_work_group_size: 1
    .uses_dynamic_stack: false
    .vgpr_count:     11
    .vgpr_spill_count: 0
    .wavefront_size: 32
    .workgroup_processor_mode: 1
  - .args:
      - .address_space:  global
        .offset:         0
        .size:           8
        .value_kind:     global_buffer
      - .address_space:  global
        .offset:         8
        .size:           8
        .value_kind:     global_buffer
      - .address_space:  global
        .offset:         16
        .size:           8
        .value_kind:     global_buffer
      - .offset:         24
        .size:           4
        .value_kind:     by_value
      - .address_space:  global
        .offset:         32
        .size:           8
        .value_kind:     global_buffer
      - .address_space:  global
        .offset:         40
        .size:           8
        .value_kind:     global_buffer
      - .offset:         48
        .size:           4
        .value_kind:     by_value
      - .offset:         52
        .size:           4
        .value_kind:     by_value
      - .offset:         56
        .size:           4
        .value_kind:     by_value
      - .offset:         60
        .size:           1
        .value_kind:     by_value
      - .address_space:  global
        .offset:         64
        .size:           8
        .value_kind:     global_buffer
    .group_segment_fixed_size: 0
    .kernarg_segment_align: 8
    .kernarg_segment_size: 72
    .language:       OpenCL C
    .language_version:
      - 2
      - 0
    .max_flat_workgroup_size: 256
    .name:           _ZN4vllm3moe10topkGatingILi1ELi1ELi4ELi4ELi64EjfLNS0_11ScoringFuncE1EEEvPKT5_PKbPfiPT4_PiiiibPKf
    .private_segment_fixed_size: 0
    .sgpr_count:     22
    .sgpr_spill_count: 0
    .symbol:         _ZN4vllm3moe10topkGatingILi1ELi1ELi4ELi4ELi64EjfLNS0_11ScoringFuncE1EEEvPKT5_PKbPfiPT4_PiiiibPKf.kd
    .uniform_work_group_size: 1
    .uses_dynamic_stack: false
    .vgpr_count:     12
    .vgpr_spill_count: 0
    .wavefront_size: 32
    .workgroup_processor_mode: 1
  - .args:
      - .address_space:  global
        .offset:         0
        .size:           8
        .value_kind:     global_buffer
      - .address_space:  global
        .offset:         8
        .size:           8
        .value_kind:     global_buffer
      - .address_space:  global
        .offset:         16
        .size:           8
        .value_kind:     global_buffer
      - .offset:         24
        .size:           4
        .value_kind:     by_value
      - .address_space:  global
        .offset:         32
        .size:           8
        .value_kind:     global_buffer
      - .address_space:  global
        .offset:         40
        .size:           8
        .value_kind:     global_buffer
      - .offset:         48
        .size:           4
        .value_kind:     by_value
      - .offset:         52
        .size:           4
        .value_kind:     by_value
      - .offset:         56
        .size:           4
        .value_kind:     by_value
      - .offset:         60
        .size:           1
        .value_kind:     by_value
      - .address_space:  global
        .offset:         64
        .size:           8
        .value_kind:     global_buffer
    .group_segment_fixed_size: 0
    .kernarg_segment_align: 8
    .kernarg_segment_size: 72
    .language:       OpenCL C
    .language_version:
      - 2
      - 0
    .max_flat_workgroup_size: 128
    .name:           _ZN4vllm3moe10topkGatingILi1ELi1ELi4ELi4ELi32EjfLNS0_11ScoringFuncE1EEEvPKT5_PKbPfiPT4_PiiiibPKf
    .private_segment_fixed_size: 0
    .sgpr_count:     22
    .sgpr_spill_count: 0
    .symbol:         _ZN4vllm3moe10topkGatingILi1ELi1ELi4ELi4ELi32EjfLNS0_11ScoringFuncE1EEEvPKT5_PKbPfiPT4_PiiiibPKf.kd
    .uniform_work_group_size: 1
    .uses_dynamic_stack: false
    .vgpr_count:     12
    .vgpr_spill_count: 0
    .wavefront_size: 32
    .workgroup_processor_mode: 1
  - .args:
      - .address_space:  global
        .offset:         0
        .size:           8
        .value_kind:     global_buffer
      - .address_space:  global
        .offset:         8
        .size:           8
        .value_kind:     global_buffer
      - .address_space:  global
        .offset:         16
        .size:           8
        .value_kind:     global_buffer
      - .offset:         24
        .size:           4
        .value_kind:     by_value
      - .address_space:  global
        .offset:         32
        .size:           8
        .value_kind:     global_buffer
      - .address_space:  global
        .offset:         40
        .size:           8
        .value_kind:     global_buffer
      - .offset:         48
        .size:           4
        .value_kind:     by_value
      - .offset:         52
        .size:           4
        .value_kind:     by_value
      - .offset:         56
        .size:           4
        .value_kind:     by_value
      - .offset:         60
        .size:           1
        .value_kind:     by_value
      - .address_space:  global
        .offset:         64
        .size:           8
        .value_kind:     global_buffer
    .group_segment_fixed_size: 0
    .kernarg_segment_align: 8
    .kernarg_segment_size: 72
    .language:       OpenCL C
    .language_version:
      - 2
      - 0
    .max_flat_workgroup_size: 256
    .name:           _ZN4vllm3moe10topkGatingILi2ELi2ELi4ELi8ELi64EjfLNS0_11ScoringFuncE1EEEvPKT5_PKbPfiPT4_PiiiibPKf
    .private_segment_fixed_size: 0
    .sgpr_count:     18
    .sgpr_spill_count: 0
    .symbol:         _ZN4vllm3moe10topkGatingILi2ELi2ELi4ELi8ELi64EjfLNS0_11ScoringFuncE1EEEvPKT5_PKbPfiPT4_PiiiibPKf.kd
    .uniform_work_group_size: 1
    .uses_dynamic_stack: false
    .vgpr_count:     18
    .vgpr_spill_count: 0
    .wavefront_size: 32
    .workgroup_processor_mode: 1
  - .args:
      - .address_space:  global
        .offset:         0
        .size:           8
        .value_kind:     global_buffer
      - .address_space:  global
        .offset:         8
        .size:           8
        .value_kind:     global_buffer
      - .address_space:  global
        .offset:         16
        .size:           8
        .value_kind:     global_buffer
      - .offset:         24
        .size:           4
        .value_kind:     by_value
      - .address_space:  global
        .offset:         32
        .size:           8
        .value_kind:     global_buffer
      - .address_space:  global
        .offset:         40
        .size:           8
        .value_kind:     global_buffer
      - .offset:         48
        .size:           4
        .value_kind:     by_value
      - .offset:         52
        .size:           4
        .value_kind:     by_value
      - .offset:         56
        .size:           4
        .value_kind:     by_value
      - .offset:         60
        .size:           1
        .value_kind:     by_value
      - .address_space:  global
        .offset:         64
        .size:           8
        .value_kind:     global_buffer
    .group_segment_fixed_size: 0
    .kernarg_segment_align: 8
    .kernarg_segment_size: 72
    .language:       OpenCL C
    .language_version:
      - 2
      - 0
    .max_flat_workgroup_size: 128
    .name:           _ZN4vllm3moe10topkGatingILi2ELi2ELi4ELi8ELi32EjfLNS0_11ScoringFuncE1EEEvPKT5_PKbPfiPT4_PiiiibPKf
    .private_segment_fixed_size: 0
    .sgpr_count:     18
    .sgpr_spill_count: 0
    .symbol:         _ZN4vllm3moe10topkGatingILi2ELi2ELi4ELi8ELi32EjfLNS0_11ScoringFuncE1EEEvPKT5_PKbPfiPT4_PiiiibPKf.kd
    .uniform_work_group_size: 1
    .uses_dynamic_stack: false
    .vgpr_count:     18
    .vgpr_spill_count: 0
    .wavefront_size: 32
    .workgroup_processor_mode: 1
  - .args:
      - .address_space:  global
        .offset:         0
        .size:           8
        .value_kind:     global_buffer
      - .address_space:  global
        .offset:         8
        .size:           8
        .value_kind:     global_buffer
      - .address_space:  global
        .offset:         16
        .size:           8
        .value_kind:     global_buffer
      - .offset:         24
        .size:           4
        .value_kind:     by_value
      - .address_space:  global
        .offset:         32
        .size:           8
        .value_kind:     global_buffer
      - .address_space:  global
        .offset:         40
        .size:           8
        .value_kind:     global_buffer
      - .offset:         48
        .size:           4
        .value_kind:     by_value
      - .offset:         52
        .size:           4
        .value_kind:     by_value
      - .offset:         56
        .size:           4
        .value_kind:     by_value
      - .offset:         60
        .size:           1
        .value_kind:     by_value
      - .address_space:  global
        .offset:         64
        .size:           8
        .value_kind:     global_buffer
    .group_segment_fixed_size: 0
    .kernarg_segment_align: 8
    .kernarg_segment_size: 72
    .language:       OpenCL C
    .language_version:
      - 2
      - 0
    .max_flat_workgroup_size: 256
    .name:           _ZN4vllm3moe10topkGatingILi4ELi4ELi4ELi16ELi64EjfLNS0_11ScoringFuncE1EEEvPKT5_PKbPfiPT4_PiiiibPKf
    .private_segment_fixed_size: 0
    .sgpr_count:     18
    .sgpr_spill_count: 0
    .symbol:         _ZN4vllm3moe10topkGatingILi4ELi4ELi4ELi16ELi64EjfLNS0_11ScoringFuncE1EEEvPKT5_PKbPfiPT4_PiiiibPKf.kd
    .uniform_work_group_size: 1
    .uses_dynamic_stack: false
    .vgpr_count:     25
    .vgpr_spill_count: 0
    .wavefront_size: 32
    .workgroup_processor_mode: 1
  - .args:
      - .address_space:  global
        .offset:         0
        .size:           8
        .value_kind:     global_buffer
      - .address_space:  global
        .offset:         8
        .size:           8
        .value_kind:     global_buffer
      - .address_space:  global
        .offset:         16
        .size:           8
        .value_kind:     global_buffer
      - .offset:         24
        .size:           4
        .value_kind:     by_value
      - .address_space:  global
        .offset:         32
        .size:           8
        .value_kind:     global_buffer
      - .address_space:  global
        .offset:         40
        .size:           8
        .value_kind:     global_buffer
      - .offset:         48
        .size:           4
        .value_kind:     by_value
      - .offset:         52
        .size:           4
        .value_kind:     by_value
      - .offset:         56
        .size:           4
        .value_kind:     by_value
      - .offset:         60
        .size:           1
        .value_kind:     by_value
      - .address_space:  global
        .offset:         64
        .size:           8
        .value_kind:     global_buffer
    .group_segment_fixed_size: 0
    .kernarg_segment_align: 8
    .kernarg_segment_size: 72
    .language:       OpenCL C
    .language_version:
      - 2
      - 0
    .max_flat_workgroup_size: 128
    .name:           _ZN4vllm3moe10topkGatingILi4ELi4ELi4ELi16ELi32EjfLNS0_11ScoringFuncE1EEEvPKT5_PKbPfiPT4_PiiiibPKf
    .private_segment_fixed_size: 0
    .sgpr_count:     18
    .sgpr_spill_count: 0
    .symbol:         _ZN4vllm3moe10topkGatingILi4ELi4ELi4ELi16ELi32EjfLNS0_11ScoringFuncE1EEEvPKT5_PKbPfiPT4_PiiiibPKf.kd
    .uniform_work_group_size: 1
    .uses_dynamic_stack: false
    .vgpr_count:     25
    .vgpr_spill_count: 0
    .wavefront_size: 32
    .workgroup_processor_mode: 1
  - .args:
      - .address_space:  global
        .offset:         0
        .size:           8
        .value_kind:     global_buffer
      - .address_space:  global
        .offset:         8
        .size:           8
        .value_kind:     global_buffer
      - .address_space:  global
        .offset:         16
        .size:           8
        .value_kind:     global_buffer
      - .offset:         24
        .size:           4
        .value_kind:     by_value
      - .address_space:  global
        .offset:         32
        .size:           8
        .value_kind:     global_buffer
      - .address_space:  global
        .offset:         40
        .size:           8
        .value_kind:     global_buffer
      - .offset:         48
        .size:           4
        .value_kind:     by_value
      - .offset:         52
        .size:           4
        .value_kind:     by_value
      - .offset:         56
        .size:           4
        .value_kind:     by_value
      - .offset:         60
        .size:           1
        .value_kind:     by_value
      - .address_space:  global
        .offset:         64
        .size:           8
        .value_kind:     global_buffer
    .group_segment_fixed_size: 0
    .kernarg_segment_align: 8
    .kernarg_segment_size: 72
    .language:       OpenCL C
    .language_version:
      - 2
      - 0
    .max_flat_workgroup_size: 256
    .name:           _ZN4vllm3moe10topkGatingILi4ELi8ELi4ELi16ELi64EjfLNS0_11ScoringFuncE1EEEvPKT5_PKbPfiPT4_PiiiibPKf
    .private_segment_fixed_size: 0
    .sgpr_count:     20
    .sgpr_spill_count: 0
    .symbol:         _ZN4vllm3moe10topkGatingILi4ELi8ELi4ELi16ELi64EjfLNS0_11ScoringFuncE1EEEvPKT5_PKbPfiPT4_PiiiibPKf.kd
    .uniform_work_group_size: 1
    .uses_dynamic_stack: false
    .vgpr_count:     26
    .vgpr_spill_count: 0
    .wavefront_size: 32
    .workgroup_processor_mode: 1
  - .args:
      - .address_space:  global
        .offset:         0
        .size:           8
        .value_kind:     global_buffer
      - .address_space:  global
        .offset:         8
        .size:           8
        .value_kind:     global_buffer
      - .address_space:  global
        .offset:         16
        .size:           8
        .value_kind:     global_buffer
      - .offset:         24
        .size:           4
        .value_kind:     by_value
      - .address_space:  global
        .offset:         32
        .size:           8
        .value_kind:     global_buffer
      - .address_space:  global
        .offset:         40
        .size:           8
        .value_kind:     global_buffer
      - .offset:         48
        .size:           4
        .value_kind:     by_value
      - .offset:         52
        .size:           4
        .value_kind:     by_value
      - .offset:         56
        .size:           4
        .value_kind:     by_value
      - .offset:         60
        .size:           1
        .value_kind:     by_value
      - .address_space:  global
        .offset:         64
        .size:           8
        .value_kind:     global_buffer
    .group_segment_fixed_size: 0
    .kernarg_segment_align: 8
    .kernarg_segment_size: 72
    .language:       OpenCL C
    .language_version:
      - 2
      - 0
    .max_flat_workgroup_size: 128
    .name:           _ZN4vllm3moe10topkGatingILi4ELi8ELi4ELi16ELi32EjfLNS0_11ScoringFuncE1EEEvPKT5_PKbPfiPT4_PiiiibPKf
    .private_segment_fixed_size: 0
    .sgpr_count:     20
    .sgpr_spill_count: 0
    .symbol:         _ZN4vllm3moe10topkGatingILi4ELi8ELi4ELi16ELi32EjfLNS0_11ScoringFuncE1EEEvPKT5_PKbPfiPT4_PiiiibPKf.kd
    .uniform_work_group_size: 1
    .uses_dynamic_stack: false
    .vgpr_count:     26
    .vgpr_spill_count: 0
    .wavefront_size: 32
    .workgroup_processor_mode: 1
  - .args:
      - .address_space:  global
        .offset:         0
        .size:           8
        .value_kind:     global_buffer
      - .address_space:  global
        .offset:         8
        .size:           8
        .value_kind:     global_buffer
      - .address_space:  global
        .offset:         16
        .size:           8
        .value_kind:     global_buffer
      - .offset:         24
        .size:           4
        .value_kind:     by_value
      - .address_space:  global
        .offset:         32
        .size:           8
        .value_kind:     global_buffer
      - .address_space:  global
        .offset:         40
        .size:           8
        .value_kind:     global_buffer
      - .offset:         48
        .size:           4
        .value_kind:     by_value
      - .offset:         52
        .size:           4
        .value_kind:     by_value
      - .offset:         56
        .size:           4
        .value_kind:     by_value
      - .offset:         60
        .size:           1
        .value_kind:     by_value
      - .address_space:  global
        .offset:         64
        .size:           8
        .value_kind:     global_buffer
    .group_segment_fixed_size: 0
    .kernarg_segment_align: 8
    .kernarg_segment_size: 72
    .language:       OpenCL C
    .language_version:
      - 2
      - 0
    .max_flat_workgroup_size: 256
    .name:           _ZN4vllm3moe10topkGatingILi4ELi16ELi4ELi16ELi64EjfLNS0_11ScoringFuncE1EEEvPKT5_PKbPfiPT4_PiiiibPKf
    .private_segment_fixed_size: 0
    .sgpr_count:     20
    .sgpr_spill_count: 0
    .symbol:         _ZN4vllm3moe10topkGatingILi4ELi16ELi4ELi16ELi64EjfLNS0_11ScoringFuncE1EEEvPKT5_PKbPfiPT4_PiiiibPKf.kd
    .uniform_work_group_size: 1
    .uses_dynamic_stack: false
    .vgpr_count:     26
    .vgpr_spill_count: 0
    .wavefront_size: 32
    .workgroup_processor_mode: 1
  - .args:
      - .address_space:  global
        .offset:         0
        .size:           8
        .value_kind:     global_buffer
      - .address_space:  global
        .offset:         8
        .size:           8
        .value_kind:     global_buffer
      - .address_space:  global
        .offset:         16
        .size:           8
        .value_kind:     global_buffer
      - .offset:         24
        .size:           4
        .value_kind:     by_value
      - .address_space:  global
        .offset:         32
        .size:           8
        .value_kind:     global_buffer
      - .address_space:  global
        .offset:         40
        .size:           8
        .value_kind:     global_buffer
      - .offset:         48
        .size:           4
        .value_kind:     by_value
      - .offset:         52
        .size:           4
        .value_kind:     by_value
      - .offset:         56
        .size:           4
        .value_kind:     by_value
      - .offset:         60
        .size:           1
        .value_kind:     by_value
      - .address_space:  global
        .offset:         64
        .size:           8
        .value_kind:     global_buffer
    .group_segment_fixed_size: 0
    .kernarg_segment_align: 8
    .kernarg_segment_size: 72
    .language:       OpenCL C
    .language_version:
      - 2
      - 0
    .max_flat_workgroup_size: 128
    .name:           _ZN4vllm3moe10topkGatingILi4ELi16ELi4ELi16ELi32EjfLNS0_11ScoringFuncE1EEEvPKT5_PKbPfiPT4_PiiiibPKf
    .private_segment_fixed_size: 0
    .sgpr_count:     20
    .sgpr_spill_count: 0
    .symbol:         _ZN4vllm3moe10topkGatingILi4ELi16ELi4ELi16ELi32EjfLNS0_11ScoringFuncE1EEEvPKT5_PKbPfiPT4_PiiiibPKf.kd
    .uniform_work_group_size: 1
    .uses_dynamic_stack: false
    .vgpr_count:     26
    .vgpr_spill_count: 0
    .wavefront_size: 32
    .workgroup_processor_mode: 1
  - .args:
      - .address_space:  global
        .offset:         0
        .size:           8
        .value_kind:     global_buffer
      - .address_space:  global
        .offset:         8
        .size:           8
        .value_kind:     global_buffer
      - .address_space:  global
        .offset:         16
        .size:           8
        .value_kind:     global_buffer
      - .offset:         24
        .size:           4
        .value_kind:     by_value
      - .address_space:  global
        .offset:         32
        .size:           8
        .value_kind:     global_buffer
      - .address_space:  global
        .offset:         40
        .size:           8
        .value_kind:     global_buffer
      - .offset:         48
        .size:           4
        .value_kind:     by_value
      - .offset:         52
        .size:           4
        .value_kind:     by_value
      - .offset:         56
        .size:           4
        .value_kind:     by_value
      - .offset:         60
        .size:           1
        .value_kind:     by_value
      - .address_space:  global
        .offset:         64
        .size:           8
        .value_kind:     global_buffer
    .group_segment_fixed_size: 0
    .kernarg_segment_align: 8
    .kernarg_segment_size: 72
    .language:       OpenCL C
    .language_version:
      - 2
      - 0
    .max_flat_workgroup_size: 256
    .name:           _ZN4vllm3moe10topkGatingILi4ELi32ELi4ELi16ELi64EjfLNS0_11ScoringFuncE1EEEvPKT5_PKbPfiPT4_PiiiibPKf
    .private_segment_fixed_size: 0
    .sgpr_count:     20
    .sgpr_spill_count: 0
    .symbol:         _ZN4vllm3moe10topkGatingILi4ELi32ELi4ELi16ELi64EjfLNS0_11ScoringFuncE1EEEvPKT5_PKbPfiPT4_PiiiibPKf.kd
    .uniform_work_group_size: 1
    .uses_dynamic_stack: false
    .vgpr_count:     27
    .vgpr_spill_count: 0
    .wavefront_size: 32
    .workgroup_processor_mode: 1
  - .args:
      - .address_space:  global
        .offset:         0
        .size:           8
        .value_kind:     global_buffer
      - .address_space:  global
        .offset:         8
        .size:           8
        .value_kind:     global_buffer
      - .address_space:  global
        .offset:         16
        .size:           8
        .value_kind:     global_buffer
      - .offset:         24
        .size:           4
        .value_kind:     by_value
      - .address_space:  global
        .offset:         32
        .size:           8
        .value_kind:     global_buffer
      - .address_space:  global
        .offset:         40
        .size:           8
        .value_kind:     global_buffer
      - .offset:         48
        .size:           4
        .value_kind:     by_value
      - .offset:         52
        .size:           4
        .value_kind:     by_value
      - .offset:         56
        .size:           4
        .value_kind:     by_value
      - .offset:         60
        .size:           1
        .value_kind:     by_value
      - .address_space:  global
        .offset:         64
        .size:           8
        .value_kind:     global_buffer
    .group_segment_fixed_size: 0
    .kernarg_segment_align: 8
    .kernarg_segment_size: 72
    .language:       OpenCL C
    .language_version:
      - 2
      - 0
    .max_flat_workgroup_size: 128
    .name:           _ZN4vllm3moe10topkGatingILi4ELi32ELi4ELi16ELi32EjfLNS0_11ScoringFuncE1EEEvPKT5_PKbPfiPT4_PiiiibPKf
    .private_segment_fixed_size: 0
    .sgpr_count:     20
    .sgpr_spill_count: 0
    .symbol:         _ZN4vllm3moe10topkGatingILi4ELi32ELi4ELi16ELi32EjfLNS0_11ScoringFuncE1EEEvPKT5_PKbPfiPT4_PiiiibPKf.kd
    .uniform_work_group_size: 1
    .uses_dynamic_stack: false
    .vgpr_count:     27
    .vgpr_spill_count: 0
    .wavefront_size: 32
    .workgroup_processor_mode: 1
  - .args:
      - .address_space:  global
        .offset:         0
        .size:           8
        .value_kind:     global_buffer
      - .address_space:  global
        .offset:         8
        .size:           8
        .value_kind:     global_buffer
      - .address_space:  global
        .offset:         16
        .size:           8
        .value_kind:     global_buffer
      - .offset:         24
        .size:           4
        .value_kind:     by_value
      - .address_space:  global
        .offset:         32
        .size:           8
        .value_kind:     global_buffer
      - .address_space:  global
        .offset:         40
        .size:           8
        .value_kind:     global_buffer
      - .offset:         48
        .size:           4
        .value_kind:     by_value
      - .offset:         52
        .size:           4
        .value_kind:     by_value
      - .offset:         56
        .size:           4
        .value_kind:     by_value
      - .offset:         60
        .size:           1
        .value_kind:     by_value
      - .address_space:  global
        .offset:         64
        .size:           8
        .value_kind:     global_buffer
    .group_segment_fixed_size: 0
    .kernarg_segment_align: 8
    .kernarg_segment_size: 72
    .language:       OpenCL C
    .language_version:
      - 2
      - 0
    .max_flat_workgroup_size: 256
    .name:           _ZN4vllm3moe10topkGatingILi4ELi64ELi4ELi16ELi64EjfLNS0_11ScoringFuncE1EEEvPKT5_PKbPfiPT4_PiiiibPKf
    .private_segment_fixed_size: 0
    .sgpr_count:     20
    .sgpr_spill_count: 0
    .symbol:         _ZN4vllm3moe10topkGatingILi4ELi64ELi4ELi16ELi64EjfLNS0_11ScoringFuncE1EEEvPKT5_PKbPfiPT4_PiiiibPKf.kd
    .uniform_work_group_size: 1
    .uses_dynamic_stack: false
    .vgpr_count:     28
    .vgpr_spill_count: 0
    .wavefront_size: 32
    .workgroup_processor_mode: 1
  - .args:
      - .address_space:  global
        .offset:         0
        .size:           8
        .value_kind:     global_buffer
      - .address_space:  global
        .offset:         8
        .size:           8
        .value_kind:     global_buffer
      - .address_space:  global
        .offset:         16
        .size:           8
        .value_kind:     global_buffer
      - .offset:         24
        .size:           4
        .value_kind:     by_value
      - .address_space:  global
        .offset:         32
        .size:           8
        .value_kind:     global_buffer
      - .address_space:  global
        .offset:         40
        .size:           8
        .value_kind:     global_buffer
      - .offset:         48
        .size:           4
        .value_kind:     by_value
      - .offset:         52
        .size:           4
        .value_kind:     by_value
      - .offset:         56
        .size:           4
        .value_kind:     by_value
      - .offset:         60
        .size:           1
        .value_kind:     by_value
      - .address_space:  global
        .offset:         64
        .size:           8
        .value_kind:     global_buffer
    .group_segment_fixed_size: 0
    .kernarg_segment_align: 8
    .kernarg_segment_size: 72
    .language:       OpenCL C
    .language_version:
      - 2
      - 0
    .max_flat_workgroup_size: 128
    .name:           _ZN4vllm3moe10topkGatingILi4ELi64ELi4ELi16ELi32EjfLNS0_11ScoringFuncE1EEEvPKT5_PKbPfiPT4_PiiiibPKf
    .private_segment_fixed_size: 0
    .sgpr_count:     20
    .sgpr_spill_count: 0
    .symbol:         _ZN4vllm3moe10topkGatingILi4ELi64ELi4ELi16ELi32EjfLNS0_11ScoringFuncE1EEEvPKT5_PKbPfiPT4_PiiiibPKf.kd
    .uniform_work_group_size: 1
    .uses_dynamic_stack: false
    .vgpr_count:     28
    .vgpr_spill_count: 0
    .wavefront_size: 32
    .workgroup_processor_mode: 1
  - .args:
      - .address_space:  global
        .offset:         0
        .size:           8
        .value_kind:     global_buffer
      - .address_space:  global
        .offset:         8
        .size:           8
        .value_kind:     global_buffer
      - .address_space:  global
        .offset:         16
        .size:           8
        .value_kind:     global_buffer
      - .offset:         24
        .size:           4
        .value_kind:     by_value
      - .address_space:  global
        .offset:         32
        .size:           8
        .value_kind:     global_buffer
      - .address_space:  global
        .offset:         40
        .size:           8
        .value_kind:     global_buffer
      - .offset:         48
        .size:           4
        .value_kind:     by_value
      - .offset:         52
        .size:           4
        .value_kind:     by_value
      - .offset:         56
        .size:           4
        .value_kind:     by_value
      - .offset:         60
        .size:           1
        .value_kind:     by_value
      - .address_space:  global
        .offset:         64
        .size:           8
        .value_kind:     global_buffer
    .group_segment_fixed_size: 0
    .kernarg_segment_align: 8
    .kernarg_segment_size: 72
    .language:       OpenCL C
    .language_version:
      - 2
      - 0
    .max_flat_workgroup_size: 256
    .name:           _ZN4vllm3moe10topkGatingILi4ELi128ELi4ELi16ELi64EjfLNS0_11ScoringFuncE1EEEvPKT5_PKbPfiPT4_PiiiibPKf
    .private_segment_fixed_size: 0
    .sgpr_count:     20
    .sgpr_spill_count: 0
    .symbol:         _ZN4vllm3moe10topkGatingILi4ELi128ELi4ELi16ELi64EjfLNS0_11ScoringFuncE1EEEvPKT5_PKbPfiPT4_PiiiibPKf.kd
    .uniform_work_group_size: 1
    .uses_dynamic_stack: false
    .vgpr_count:     29
    .vgpr_spill_count: 0
    .wavefront_size: 32
    .workgroup_processor_mode: 1
  - .args:
      - .address_space:  global
        .offset:         0
        .size:           8
        .value_kind:     global_buffer
      - .address_space:  global
        .offset:         8
        .size:           8
        .value_kind:     global_buffer
      - .address_space:  global
        .offset:         16
        .size:           8
        .value_kind:     global_buffer
      - .offset:         24
        .size:           4
        .value_kind:     by_value
      - .address_space:  global
        .offset:         32
        .size:           8
        .value_kind:     global_buffer
      - .address_space:  global
        .offset:         40
        .size:           8
        .value_kind:     global_buffer
      - .offset:         48
        .size:           4
        .value_kind:     by_value
      - .offset:         52
        .size:           4
        .value_kind:     by_value
      - .offset:         56
        .size:           4
        .value_kind:     by_value
      - .offset:         60
        .size:           1
        .value_kind:     by_value
      - .address_space:  global
        .offset:         64
        .size:           8
        .value_kind:     global_buffer
    .group_segment_fixed_size: 0
    .kernarg_segment_align: 8
    .kernarg_segment_size: 72
    .language:       OpenCL C
    .language_version:
      - 2
      - 0
    .max_flat_workgroup_size: 128
    .name:           _ZN4vllm3moe10topkGatingILi4ELi128ELi4ELi16ELi32EjfLNS0_11ScoringFuncE1EEEvPKT5_PKbPfiPT4_PiiiibPKf
    .private_segment_fixed_size: 0
    .sgpr_count:     20
    .sgpr_spill_count: 0
    .symbol:         _ZN4vllm3moe10topkGatingILi4ELi128ELi4ELi16ELi32EjfLNS0_11ScoringFuncE1EEEvPKT5_PKbPfiPT4_PiiiibPKf.kd
    .uniform_work_group_size: 1
    .uses_dynamic_stack: false
    .vgpr_count:     29
    .vgpr_spill_count: 0
    .wavefront_size: 32
    .workgroup_processor_mode: 1
  - .args:
      - .address_space:  global
        .offset:         0
        .size:           8
        .value_kind:     global_buffer
      - .address_space:  global
        .offset:         8
        .size:           8
        .value_kind:     global_buffer
      - .address_space:  global
        .offset:         16
        .size:           8
        .value_kind:     global_buffer
      - .offset:         24
        .size:           4
        .value_kind:     by_value
      - .address_space:  global
        .offset:         32
        .size:           8
        .value_kind:     global_buffer
      - .address_space:  global
        .offset:         40
        .size:           8
        .value_kind:     global_buffer
      - .offset:         48
        .size:           4
        .value_kind:     by_value
      - .offset:         52
        .size:           4
        .value_kind:     by_value
      - .offset:         56
        .size:           4
        .value_kind:     by_value
      - .offset:         60
        .size:           1
        .value_kind:     by_value
      - .address_space:  global
        .offset:         64
        .size:           8
        .value_kind:     global_buffer
    .group_segment_fixed_size: 0
    .kernarg_segment_align: 8
    .kernarg_segment_size: 72
    .language:       OpenCL C
    .language_version:
      - 2
      - 0
    .max_flat_workgroup_size: 256
    .name:           _ZN4vllm3moe10topkGatingILi4ELi256ELi4ELi16ELi64EjfLNS0_11ScoringFuncE1EEEvPKT5_PKbPfiPT4_PiiiibPKf
    .private_segment_fixed_size: 0
    .sgpr_count:     20
    .sgpr_spill_count: 0
    .symbol:         _ZN4vllm3moe10topkGatingILi4ELi256ELi4ELi16ELi64EjfLNS0_11ScoringFuncE1EEEvPKT5_PKbPfiPT4_PiiiibPKf.kd
    .uniform_work_group_size: 1
    .uses_dynamic_stack: false
    .vgpr_count:     30
    .vgpr_spill_count: 0
    .wavefront_size: 32
    .workgroup_processor_mode: 1
  - .args:
      - .address_space:  global
        .offset:         0
        .size:           8
        .value_kind:     global_buffer
      - .address_space:  global
        .offset:         8
        .size:           8
        .value_kind:     global_buffer
      - .address_space:  global
        .offset:         16
        .size:           8
        .value_kind:     global_buffer
      - .offset:         24
        .size:           4
        .value_kind:     by_value
      - .address_space:  global
        .offset:         32
        .size:           8
        .value_kind:     global_buffer
      - .address_space:  global
        .offset:         40
        .size:           8
        .value_kind:     global_buffer
      - .offset:         48
        .size:           4
        .value_kind:     by_value
      - .offset:         52
        .size:           4
        .value_kind:     by_value
      - .offset:         56
        .size:           4
        .value_kind:     by_value
      - .offset:         60
        .size:           1
        .value_kind:     by_value
      - .address_space:  global
        .offset:         64
        .size:           8
        .value_kind:     global_buffer
    .group_segment_fixed_size: 0
    .kernarg_segment_align: 8
    .kernarg_segment_size: 72
    .language:       OpenCL C
    .language_version:
      - 2
      - 0
    .max_flat_workgroup_size: 128
    .name:           _ZN4vllm3moe10topkGatingILi8ELi256ELi4ELi16ELi32EjfLNS0_11ScoringFuncE1EEEvPKT5_PKbPfiPT4_PiiiibPKf
    .private_segment_fixed_size: 0
    .sgpr_count:     22
    .sgpr_spill_count: 0
    .symbol:         _ZN4vllm3moe10topkGatingILi8ELi256ELi4ELi16ELi32EjfLNS0_11ScoringFuncE1EEEvPKT5_PKbPfiPT4_PiiiibPKf.kd
    .uniform_work_group_size: 1
    .uses_dynamic_stack: false
    .vgpr_count:     51
    .vgpr_spill_count: 0
    .wavefront_size: 32
    .workgroup_processor_mode: 1
  - .args:
      - .address_space:  global
        .offset:         0
        .size:           8
        .value_kind:     global_buffer
      - .address_space:  global
        .offset:         8
        .size:           8
        .value_kind:     global_buffer
      - .address_space:  global
        .offset:         16
        .size:           8
        .value_kind:     global_buffer
      - .offset:         24
        .size:           4
        .value_kind:     by_value
      - .address_space:  global
        .offset:         32
        .size:           8
        .value_kind:     global_buffer
      - .address_space:  global
        .offset:         40
        .size:           8
        .value_kind:     global_buffer
      - .offset:         48
        .size:           4
        .value_kind:     by_value
      - .offset:         52
        .size:           4
        .value_kind:     by_value
      - .offset:         56
        .size:           4
        .value_kind:     by_value
      - .offset:         60
        .size:           1
        .value_kind:     by_value
      - .address_space:  global
        .offset:         64
        .size:           8
        .value_kind:     global_buffer
    .group_segment_fixed_size: 0
    .kernarg_segment_align: 8
    .kernarg_segment_size: 72
    .language:       OpenCL C
    .language_version:
      - 2
      - 0
    .max_flat_workgroup_size: 256
    .name:           _ZN4vllm3moe10topkGatingILi8ELi512ELi4ELi16ELi64EjfLNS0_11ScoringFuncE1EEEvPKT5_PKbPfiPT4_PiiiibPKf
    .private_segment_fixed_size: 0
    .sgpr_count:     22
    .sgpr_spill_count: 0
    .symbol:         _ZN4vllm3moe10topkGatingILi8ELi512ELi4ELi16ELi64EjfLNS0_11ScoringFuncE1EEEvPKT5_PKbPfiPT4_PiiiibPKf.kd
    .uniform_work_group_size: 1
    .uses_dynamic_stack: false
    .vgpr_count:     51
    .vgpr_spill_count: 0
    .wavefront_size: 32
    .workgroup_processor_mode: 1
  - .args:
      - .address_space:  global
        .offset:         0
        .size:           8
        .value_kind:     global_buffer
      - .address_space:  global
        .offset:         8
        .size:           8
        .value_kind:     global_buffer
      - .address_space:  global
        .offset:         16
        .size:           8
        .value_kind:     global_buffer
      - .offset:         24
        .size:           4
        .value_kind:     by_value
      - .address_space:  global
        .offset:         32
        .size:           8
        .value_kind:     global_buffer
      - .address_space:  global
        .offset:         40
        .size:           8
        .value_kind:     global_buffer
      - .offset:         48
        .size:           4
        .value_kind:     by_value
      - .offset:         52
        .size:           4
        .value_kind:     by_value
      - .offset:         56
        .size:           4
        .value_kind:     by_value
      - .offset:         60
        .size:           1
        .value_kind:     by_value
      - .address_space:  global
        .offset:         64
        .size:           8
        .value_kind:     global_buffer
    .group_segment_fixed_size: 0
    .kernarg_segment_align: 8
    .kernarg_segment_size: 72
    .language:       OpenCL C
    .language_version:
      - 2
      - 0
    .max_flat_workgroup_size: 128
    .name:           _ZN4vllm3moe10topkGatingILi16ELi512ELi4ELi16ELi32EjfLNS0_11ScoringFuncE1EEEvPKT5_PKbPfiPT4_PiiiibPKf
    .private_segment_fixed_size: 0
    .sgpr_count:     26
    .sgpr_spill_count: 0
    .symbol:         _ZN4vllm3moe10topkGatingILi16ELi512ELi4ELi16ELi32EjfLNS0_11ScoringFuncE1EEEvPKT5_PKbPfiPT4_PiiiibPKf.kd
    .uniform_work_group_size: 1
    .uses_dynamic_stack: false
    .vgpr_count:     92
    .vgpr_spill_count: 0
    .wavefront_size: 32
    .workgroup_processor_mode: 1
  - .args:
      - .address_space:  global
        .offset:         0
        .size:           8
        .value_kind:     global_buffer
      - .address_space:  global
        .offset:         8
        .size:           8
        .value_kind:     global_buffer
      - .address_space:  global
        .offset:         16
        .size:           8
        .value_kind:     global_buffer
      - .offset:         24
        .size:           4
        .value_kind:     by_value
      - .address_space:  global
        .offset:         32
        .size:           8
        .value_kind:     global_buffer
      - .address_space:  global
        .offset:         40
        .size:           8
        .value_kind:     global_buffer
      - .offset:         48
        .size:           4
        .value_kind:     by_value
      - .offset:         52
        .size:           4
        .value_kind:     by_value
      - .offset:         56
        .size:           4
        .value_kind:     by_value
      - .offset:         60
        .size:           1
        .value_kind:     by_value
      - .address_space:  global
        .offset:         64
        .size:           8
        .value_kind:     global_buffer
    .group_segment_fixed_size: 0
    .kernarg_segment_align: 8
    .kernarg_segment_size: 72
    .language:       OpenCL C
    .language_version:
      - 2
      - 0
    .max_flat_workgroup_size: 256
    .name:           _ZN4vllm3moe10topkGatingILi1ELi1ELi4ELi4ELi64ElfLNS0_11ScoringFuncE1EEEvPKT5_PKbPfiPT4_PiiiibPKf
    .private_segment_fixed_size: 0
    .sgpr_count:     18
    .sgpr_spill_count: 0
    .symbol:         _ZN4vllm3moe10topkGatingILi1ELi1ELi4ELi4ELi64ElfLNS0_11ScoringFuncE1EEEvPKT5_PKbPfiPT4_PiiiibPKf.kd
    .uniform_work_group_size: 1
    .uses_dynamic_stack: false
    .vgpr_count:     15
    .vgpr_spill_count: 0
    .wavefront_size: 32
    .workgroup_processor_mode: 1
  - .args:
      - .address_space:  global
        .offset:         0
        .size:           8
        .value_kind:     global_buffer
      - .address_space:  global
        .offset:         8
        .size:           8
        .value_kind:     global_buffer
      - .address_space:  global
        .offset:         16
        .size:           8
        .value_kind:     global_buffer
      - .offset:         24
        .size:           4
        .value_kind:     by_value
      - .address_space:  global
        .offset:         32
        .size:           8
        .value_kind:     global_buffer
      - .address_space:  global
        .offset:         40
        .size:           8
        .value_kind:     global_buffer
      - .offset:         48
        .size:           4
        .value_kind:     by_value
      - .offset:         52
        .size:           4
        .value_kind:     by_value
      - .offset:         56
        .size:           4
        .value_kind:     by_value
      - .offset:         60
        .size:           1
        .value_kind:     by_value
      - .address_space:  global
        .offset:         64
        .size:           8
        .value_kind:     global_buffer
    .group_segment_fixed_size: 0
    .kernarg_segment_align: 8
    .kernarg_segment_size: 72
    .language:       OpenCL C
    .language_version:
      - 2
      - 0
    .max_flat_workgroup_size: 128
    .name:           _ZN4vllm3moe10topkGatingILi1ELi1ELi4ELi4ELi32ElfLNS0_11ScoringFuncE1EEEvPKT5_PKbPfiPT4_PiiiibPKf
    .private_segment_fixed_size: 0
    .sgpr_count:     18
    .sgpr_spill_count: 0
    .symbol:         _ZN4vllm3moe10topkGatingILi1ELi1ELi4ELi4ELi32ElfLNS0_11ScoringFuncE1EEEvPKT5_PKbPfiPT4_PiiiibPKf.kd
    .uniform_work_group_size: 1
    .uses_dynamic_stack: false
    .vgpr_count:     15
    .vgpr_spill_count: 0
    .wavefront_size: 32
    .workgroup_processor_mode: 1
  - .args:
      - .address_space:  global
        .offset:         0
        .size:           8
        .value_kind:     global_buffer
      - .address_space:  global
        .offset:         8
        .size:           8
        .value_kind:     global_buffer
      - .address_space:  global
        .offset:         16
        .size:           8
        .value_kind:     global_buffer
      - .offset:         24
        .size:           4
        .value_kind:     by_value
      - .address_space:  global
        .offset:         32
        .size:           8
        .value_kind:     global_buffer
      - .address_space:  global
        .offset:         40
        .size:           8
        .value_kind:     global_buffer
      - .offset:         48
        .size:           4
        .value_kind:     by_value
      - .offset:         52
        .size:           4
        .value_kind:     by_value
      - .offset:         56
        .size:           4
        .value_kind:     by_value
      - .offset:         60
        .size:           1
        .value_kind:     by_value
      - .address_space:  global
        .offset:         64
        .size:           8
        .value_kind:     global_buffer
    .group_segment_fixed_size: 0
    .kernarg_segment_align: 8
    .kernarg_segment_size: 72
    .language:       OpenCL C
    .language_version:
      - 2
      - 0
    .max_flat_workgroup_size: 256
    .name:           _ZN4vllm3moe10topkGatingILi2ELi2ELi4ELi8ELi64ElfLNS0_11ScoringFuncE1EEEvPKT5_PKbPfiPT4_PiiiibPKf
    .private_segment_fixed_size: 0
    .sgpr_count:     18
    .sgpr_spill_count: 0
    .symbol:         _ZN4vllm3moe10topkGatingILi2ELi2ELi4ELi8ELi64ElfLNS0_11ScoringFuncE1EEEvPKT5_PKbPfiPT4_PiiiibPKf.kd
    .uniform_work_group_size: 1
    .uses_dynamic_stack: false
    .vgpr_count:     19
    .vgpr_spill_count: 0
    .wavefront_size: 32
    .workgroup_processor_mode: 1
  - .args:
      - .address_space:  global
        .offset:         0
        .size:           8
        .value_kind:     global_buffer
      - .address_space:  global
        .offset:         8
        .size:           8
        .value_kind:     global_buffer
      - .address_space:  global
        .offset:         16
        .size:           8
        .value_kind:     global_buffer
      - .offset:         24
        .size:           4
        .value_kind:     by_value
      - .address_space:  global
        .offset:         32
        .size:           8
        .value_kind:     global_buffer
      - .address_space:  global
        .offset:         40
        .size:           8
        .value_kind:     global_buffer
      - .offset:         48
        .size:           4
        .value_kind:     by_value
      - .offset:         52
        .size:           4
        .value_kind:     by_value
      - .offset:         56
        .size:           4
        .value_kind:     by_value
      - .offset:         60
        .size:           1
        .value_kind:     by_value
      - .address_space:  global
        .offset:         64
        .size:           8
        .value_kind:     global_buffer
    .group_segment_fixed_size: 0
    .kernarg_segment_align: 8
    .kernarg_segment_size: 72
    .language:       OpenCL C
    .language_version:
      - 2
      - 0
    .max_flat_workgroup_size: 128
    .name:           _ZN4vllm3moe10topkGatingILi2ELi2ELi4ELi8ELi32ElfLNS0_11ScoringFuncE1EEEvPKT5_PKbPfiPT4_PiiiibPKf
    .private_segment_fixed_size: 0
    .sgpr_count:     18
    .sgpr_spill_count: 0
    .symbol:         _ZN4vllm3moe10topkGatingILi2ELi2ELi4ELi8ELi32ElfLNS0_11ScoringFuncE1EEEvPKT5_PKbPfiPT4_PiiiibPKf.kd
    .uniform_work_group_size: 1
    .uses_dynamic_stack: false
    .vgpr_count:     19
    .vgpr_spill_count: 0
    .wavefront_size: 32
    .workgroup_processor_mode: 1
  - .args:
      - .address_space:  global
        .offset:         0
        .size:           8
        .value_kind:     global_buffer
      - .address_space:  global
        .offset:         8
        .size:           8
        .value_kind:     global_buffer
      - .address_space:  global
        .offset:         16
        .size:           8
        .value_kind:     global_buffer
      - .offset:         24
        .size:           4
        .value_kind:     by_value
      - .address_space:  global
        .offset:         32
        .size:           8
        .value_kind:     global_buffer
      - .address_space:  global
        .offset:         40
        .size:           8
        .value_kind:     global_buffer
      - .offset:         48
        .size:           4
        .value_kind:     by_value
      - .offset:         52
        .size:           4
        .value_kind:     by_value
      - .offset:         56
        .size:           4
        .value_kind:     by_value
      - .offset:         60
        .size:           1
        .value_kind:     by_value
      - .address_space:  global
        .offset:         64
        .size:           8
        .value_kind:     global_buffer
    .group_segment_fixed_size: 0
    .kernarg_segment_align: 8
    .kernarg_segment_size: 72
    .language:       OpenCL C
    .language_version:
      - 2
      - 0
    .max_flat_workgroup_size: 256
    .name:           _ZN4vllm3moe10topkGatingILi4ELi4ELi4ELi16ELi64ElfLNS0_11ScoringFuncE1EEEvPKT5_PKbPfiPT4_PiiiibPKf
    .private_segment_fixed_size: 0
    .sgpr_count:     18
    .sgpr_spill_count: 0
    .symbol:         _ZN4vllm3moe10topkGatingILi4ELi4ELi4ELi16ELi64ElfLNS0_11ScoringFuncE1EEEvPKT5_PKbPfiPT4_PiiiibPKf.kd
    .uniform_work_group_size: 1
    .uses_dynamic_stack: false
    .vgpr_count:     25
    .vgpr_spill_count: 0
    .wavefront_size: 32
    .workgroup_processor_mode: 1
  - .args:
      - .address_space:  global
        .offset:         0
        .size:           8
        .value_kind:     global_buffer
      - .address_space:  global
        .offset:         8
        .size:           8
        .value_kind:     global_buffer
      - .address_space:  global
        .offset:         16
        .size:           8
        .value_kind:     global_buffer
      - .offset:         24
        .size:           4
        .value_kind:     by_value
      - .address_space:  global
        .offset:         32
        .size:           8
        .value_kind:     global_buffer
      - .address_space:  global
        .offset:         40
        .size:           8
        .value_kind:     global_buffer
      - .offset:         48
        .size:           4
        .value_kind:     by_value
      - .offset:         52
        .size:           4
        .value_kind:     by_value
      - .offset:         56
        .size:           4
        .value_kind:     by_value
      - .offset:         60
        .size:           1
        .value_kind:     by_value
      - .address_space:  global
        .offset:         64
        .size:           8
        .value_kind:     global_buffer
    .group_segment_fixed_size: 0
    .kernarg_segment_align: 8
    .kernarg_segment_size: 72
    .language:       OpenCL C
    .language_version:
      - 2
      - 0
    .max_flat_workgroup_size: 128
    .name:           _ZN4vllm3moe10topkGatingILi4ELi4ELi4ELi16ELi32ElfLNS0_11ScoringFuncE1EEEvPKT5_PKbPfiPT4_PiiiibPKf
    .private_segment_fixed_size: 0
    .sgpr_count:     18
    .sgpr_spill_count: 0
    .symbol:         _ZN4vllm3moe10topkGatingILi4ELi4ELi4ELi16ELi32ElfLNS0_11ScoringFuncE1EEEvPKT5_PKbPfiPT4_PiiiibPKf.kd
    .uniform_work_group_size: 1
    .uses_dynamic_stack: false
    .vgpr_count:     25
    .vgpr_spill_count: 0
    .wavefront_size: 32
    .workgroup_processor_mode: 1
  - .args:
      - .address_space:  global
        .offset:         0
        .size:           8
        .value_kind:     global_buffer
      - .address_space:  global
        .offset:         8
        .size:           8
        .value_kind:     global_buffer
      - .address_space:  global
        .offset:         16
        .size:           8
        .value_kind:     global_buffer
      - .offset:         24
        .size:           4
        .value_kind:     by_value
      - .address_space:  global
        .offset:         32
        .size:           8
        .value_kind:     global_buffer
      - .address_space:  global
        .offset:         40
        .size:           8
        .value_kind:     global_buffer
      - .offset:         48
        .size:           4
        .value_kind:     by_value
      - .offset:         52
        .size:           4
        .value_kind:     by_value
      - .offset:         56
        .size:           4
        .value_kind:     by_value
      - .offset:         60
        .size:           1
        .value_kind:     by_value
      - .address_space:  global
        .offset:         64
        .size:           8
        .value_kind:     global_buffer
    .group_segment_fixed_size: 0
    .kernarg_segment_align: 8
    .kernarg_segment_size: 72
    .language:       OpenCL C
    .language_version:
      - 2
      - 0
    .max_flat_workgroup_size: 256
    .name:           _ZN4vllm3moe10topkGatingILi4ELi8ELi4ELi16ELi64ElfLNS0_11ScoringFuncE1EEEvPKT5_PKbPfiPT4_PiiiibPKf
    .private_segment_fixed_size: 0
    .sgpr_count:     20
    .sgpr_spill_count: 0
    .symbol:         _ZN4vllm3moe10topkGatingILi4ELi8ELi4ELi16ELi64ElfLNS0_11ScoringFuncE1EEEvPKT5_PKbPfiPT4_PiiiibPKf.kd
    .uniform_work_group_size: 1
    .uses_dynamic_stack: false
    .vgpr_count:     26
    .vgpr_spill_count: 0
    .wavefront_size: 32
    .workgroup_processor_mode: 1
  - .args:
      - .address_space:  global
        .offset:         0
        .size:           8
        .value_kind:     global_buffer
      - .address_space:  global
        .offset:         8
        .size:           8
        .value_kind:     global_buffer
      - .address_space:  global
        .offset:         16
        .size:           8
        .value_kind:     global_buffer
      - .offset:         24
        .size:           4
        .value_kind:     by_value
      - .address_space:  global
        .offset:         32
        .size:           8
        .value_kind:     global_buffer
      - .address_space:  global
        .offset:         40
        .size:           8
        .value_kind:     global_buffer
      - .offset:         48
        .size:           4
        .value_kind:     by_value
      - .offset:         52
        .size:           4
        .value_kind:     by_value
      - .offset:         56
        .size:           4
        .value_kind:     by_value
      - .offset:         60
        .size:           1
        .value_kind:     by_value
      - .address_space:  global
        .offset:         64
        .size:           8
        .value_kind:     global_buffer
    .group_segment_fixed_size: 0
    .kernarg_segment_align: 8
    .kernarg_segment_size: 72
    .language:       OpenCL C
    .language_version:
      - 2
      - 0
    .max_flat_workgroup_size: 128
    .name:           _ZN4vllm3moe10topkGatingILi4ELi8ELi4ELi16ELi32ElfLNS0_11ScoringFuncE1EEEvPKT5_PKbPfiPT4_PiiiibPKf
    .private_segment_fixed_size: 0
    .sgpr_count:     20
    .sgpr_spill_count: 0
    .symbol:         _ZN4vllm3moe10topkGatingILi4ELi8ELi4ELi16ELi32ElfLNS0_11ScoringFuncE1EEEvPKT5_PKbPfiPT4_PiiiibPKf.kd
    .uniform_work_group_size: 1
    .uses_dynamic_stack: false
    .vgpr_count:     26
    .vgpr_spill_count: 0
    .wavefront_size: 32
    .workgroup_processor_mode: 1
  - .args:
      - .address_space:  global
        .offset:         0
        .size:           8
        .value_kind:     global_buffer
      - .address_space:  global
        .offset:         8
        .size:           8
        .value_kind:     global_buffer
      - .address_space:  global
        .offset:         16
        .size:           8
        .value_kind:     global_buffer
      - .offset:         24
        .size:           4
        .value_kind:     by_value
      - .address_space:  global
        .offset:         32
        .size:           8
        .value_kind:     global_buffer
      - .address_space:  global
        .offset:         40
        .size:           8
        .value_kind:     global_buffer
      - .offset:         48
        .size:           4
        .value_kind:     by_value
      - .offset:         52
        .size:           4
        .value_kind:     by_value
      - .offset:         56
        .size:           4
        .value_kind:     by_value
      - .offset:         60
        .size:           1
        .value_kind:     by_value
      - .address_space:  global
        .offset:         64
        .size:           8
        .value_kind:     global_buffer
    .group_segment_fixed_size: 0
    .kernarg_segment_align: 8
    .kernarg_segment_size: 72
    .language:       OpenCL C
    .language_version:
      - 2
      - 0
    .max_flat_workgroup_size: 256
    .name:           _ZN4vllm3moe10topkGatingILi4ELi16ELi4ELi16ELi64ElfLNS0_11ScoringFuncE1EEEvPKT5_PKbPfiPT4_PiiiibPKf
    .private_segment_fixed_size: 0
    .sgpr_count:     20
    .sgpr_spill_count: 0
    .symbol:         _ZN4vllm3moe10topkGatingILi4ELi16ELi4ELi16ELi64ElfLNS0_11ScoringFuncE1EEEvPKT5_PKbPfiPT4_PiiiibPKf.kd
    .uniform_work_group_size: 1
    .uses_dynamic_stack: false
    .vgpr_count:     27
    .vgpr_spill_count: 0
    .wavefront_size: 32
    .workgroup_processor_mode: 1
  - .args:
      - .address_space:  global
        .offset:         0
        .size:           8
        .value_kind:     global_buffer
      - .address_space:  global
        .offset:         8
        .size:           8
        .value_kind:     global_buffer
      - .address_space:  global
        .offset:         16
        .size:           8
        .value_kind:     global_buffer
      - .offset:         24
        .size:           4
        .value_kind:     by_value
      - .address_space:  global
        .offset:         32
        .size:           8
        .value_kind:     global_buffer
      - .address_space:  global
        .offset:         40
        .size:           8
        .value_kind:     global_buffer
      - .offset:         48
        .size:           4
        .value_kind:     by_value
      - .offset:         52
        .size:           4
        .value_kind:     by_value
      - .offset:         56
        .size:           4
        .value_kind:     by_value
      - .offset:         60
        .size:           1
        .value_kind:     by_value
      - .address_space:  global
        .offset:         64
        .size:           8
        .value_kind:     global_buffer
    .group_segment_fixed_size: 0
    .kernarg_segment_align: 8
    .kernarg_segment_size: 72
    .language:       OpenCL C
    .language_version:
      - 2
      - 0
    .max_flat_workgroup_size: 128
    .name:           _ZN4vllm3moe10topkGatingILi4ELi16ELi4ELi16ELi32ElfLNS0_11ScoringFuncE1EEEvPKT5_PKbPfiPT4_PiiiibPKf
    .private_segment_fixed_size: 0
    .sgpr_count:     20
    .sgpr_spill_count: 0
    .symbol:         _ZN4vllm3moe10topkGatingILi4ELi16ELi4ELi16ELi32ElfLNS0_11ScoringFuncE1EEEvPKT5_PKbPfiPT4_PiiiibPKf.kd
    .uniform_work_group_size: 1
    .uses_dynamic_stack: false
    .vgpr_count:     27
    .vgpr_spill_count: 0
    .wavefront_size: 32
    .workgroup_processor_mode: 1
  - .args:
      - .address_space:  global
        .offset:         0
        .size:           8
        .value_kind:     global_buffer
      - .address_space:  global
        .offset:         8
        .size:           8
        .value_kind:     global_buffer
      - .address_space:  global
        .offset:         16
        .size:           8
        .value_kind:     global_buffer
      - .offset:         24
        .size:           4
        .value_kind:     by_value
      - .address_space:  global
        .offset:         32
        .size:           8
        .value_kind:     global_buffer
      - .address_space:  global
        .offset:         40
        .size:           8
        .value_kind:     global_buffer
      - .offset:         48
        .size:           4
        .value_kind:     by_value
      - .offset:         52
        .size:           4
        .value_kind:     by_value
      - .offset:         56
        .size:           4
        .value_kind:     by_value
      - .offset:         60
        .size:           1
        .value_kind:     by_value
      - .address_space:  global
        .offset:         64
        .size:           8
        .value_kind:     global_buffer
    .group_segment_fixed_size: 0
    .kernarg_segment_align: 8
    .kernarg_segment_size: 72
    .language:       OpenCL C
    .language_version:
      - 2
      - 0
    .max_flat_workgroup_size: 256
    .name:           _ZN4vllm3moe10topkGatingILi4ELi32ELi4ELi16ELi64ElfLNS0_11ScoringFuncE1EEEvPKT5_PKbPfiPT4_PiiiibPKf
    .private_segment_fixed_size: 0
    .sgpr_count:     20
    .sgpr_spill_count: 0
    .symbol:         _ZN4vllm3moe10topkGatingILi4ELi32ELi4ELi16ELi64ElfLNS0_11ScoringFuncE1EEEvPKT5_PKbPfiPT4_PiiiibPKf.kd
    .uniform_work_group_size: 1
    .uses_dynamic_stack: false
    .vgpr_count:     28
    .vgpr_spill_count: 0
    .wavefront_size: 32
    .workgroup_processor_mode: 1
  - .args:
      - .address_space:  global
        .offset:         0
        .size:           8
        .value_kind:     global_buffer
      - .address_space:  global
        .offset:         8
        .size:           8
        .value_kind:     global_buffer
      - .address_space:  global
        .offset:         16
        .size:           8
        .value_kind:     global_buffer
      - .offset:         24
        .size:           4
        .value_kind:     by_value
      - .address_space:  global
        .offset:         32
        .size:           8
        .value_kind:     global_buffer
      - .address_space:  global
        .offset:         40
        .size:           8
        .value_kind:     global_buffer
      - .offset:         48
        .size:           4
        .value_kind:     by_value
      - .offset:         52
        .size:           4
        .value_kind:     by_value
      - .offset:         56
        .size:           4
        .value_kind:     by_value
      - .offset:         60
        .size:           1
        .value_kind:     by_value
      - .address_space:  global
        .offset:         64
        .size:           8
        .value_kind:     global_buffer
    .group_segment_fixed_size: 0
    .kernarg_segment_align: 8
    .kernarg_segment_size: 72
    .language:       OpenCL C
    .language_version:
      - 2
      - 0
    .max_flat_workgroup_size: 128
    .name:           _ZN4vllm3moe10topkGatingILi4ELi32ELi4ELi16ELi32ElfLNS0_11ScoringFuncE1EEEvPKT5_PKbPfiPT4_PiiiibPKf
    .private_segment_fixed_size: 0
    .sgpr_count:     20
    .sgpr_spill_count: 0
    .symbol:         _ZN4vllm3moe10topkGatingILi4ELi32ELi4ELi16ELi32ElfLNS0_11ScoringFuncE1EEEvPKT5_PKbPfiPT4_PiiiibPKf.kd
    .uniform_work_group_size: 1
    .uses_dynamic_stack: false
    .vgpr_count:     28
    .vgpr_spill_count: 0
    .wavefront_size: 32
    .workgroup_processor_mode: 1
  - .args:
      - .address_space:  global
        .offset:         0
        .size:           8
        .value_kind:     global_buffer
      - .address_space:  global
        .offset:         8
        .size:           8
        .value_kind:     global_buffer
      - .address_space:  global
        .offset:         16
        .size:           8
        .value_kind:     global_buffer
      - .offset:         24
        .size:           4
        .value_kind:     by_value
      - .address_space:  global
        .offset:         32
        .size:           8
        .value_kind:     global_buffer
      - .address_space:  global
        .offset:         40
        .size:           8
        .value_kind:     global_buffer
      - .offset:         48
        .size:           4
        .value_kind:     by_value
      - .offset:         52
        .size:           4
        .value_kind:     by_value
      - .offset:         56
        .size:           4
        .value_kind:     by_value
      - .offset:         60
        .size:           1
        .value_kind:     by_value
      - .address_space:  global
        .offset:         64
        .size:           8
        .value_kind:     global_buffer
    .group_segment_fixed_size: 0
    .kernarg_segment_align: 8
    .kernarg_segment_size: 72
    .language:       OpenCL C
    .language_version:
      - 2
      - 0
    .max_flat_workgroup_size: 256
    .name:           _ZN4vllm3moe10topkGatingILi4ELi64ELi4ELi16ELi64ElfLNS0_11ScoringFuncE1EEEvPKT5_PKbPfiPT4_PiiiibPKf
    .private_segment_fixed_size: 0
    .sgpr_count:     20
    .sgpr_spill_count: 0
    .symbol:         _ZN4vllm3moe10topkGatingILi4ELi64ELi4ELi16ELi64ElfLNS0_11ScoringFuncE1EEEvPKT5_PKbPfiPT4_PiiiibPKf.kd
    .uniform_work_group_size: 1
    .uses_dynamic_stack: false
    .vgpr_count:     29
    .vgpr_spill_count: 0
    .wavefront_size: 32
    .workgroup_processor_mode: 1
  - .args:
      - .address_space:  global
        .offset:         0
        .size:           8
        .value_kind:     global_buffer
      - .address_space:  global
        .offset:         8
        .size:           8
        .value_kind:     global_buffer
      - .address_space:  global
        .offset:         16
        .size:           8
        .value_kind:     global_buffer
      - .offset:         24
        .size:           4
        .value_kind:     by_value
      - .address_space:  global
        .offset:         32
        .size:           8
        .value_kind:     global_buffer
      - .address_space:  global
        .offset:         40
        .size:           8
        .value_kind:     global_buffer
      - .offset:         48
        .size:           4
        .value_kind:     by_value
      - .offset:         52
        .size:           4
        .value_kind:     by_value
      - .offset:         56
        .size:           4
        .value_kind:     by_value
      - .offset:         60
        .size:           1
        .value_kind:     by_value
      - .address_space:  global
        .offset:         64
        .size:           8
        .value_kind:     global_buffer
    .group_segment_fixed_size: 0
    .kernarg_segment_align: 8
    .kernarg_segment_size: 72
    .language:       OpenCL C
    .language_version:
      - 2
      - 0
    .max_flat_workgroup_size: 128
    .name:           _ZN4vllm3moe10topkGatingILi4ELi64ELi4ELi16ELi32ElfLNS0_11ScoringFuncE1EEEvPKT5_PKbPfiPT4_PiiiibPKf
    .private_segment_fixed_size: 0
    .sgpr_count:     20
    .sgpr_spill_count: 0
    .symbol:         _ZN4vllm3moe10topkGatingILi4ELi64ELi4ELi16ELi32ElfLNS0_11ScoringFuncE1EEEvPKT5_PKbPfiPT4_PiiiibPKf.kd
    .uniform_work_group_size: 1
    .uses_dynamic_stack: false
    .vgpr_count:     29
    .vgpr_spill_count: 0
    .wavefront_size: 32
    .workgroup_processor_mode: 1
  - .args:
      - .address_space:  global
        .offset:         0
        .size:           8
        .value_kind:     global_buffer
      - .address_space:  global
        .offset:         8
        .size:           8
        .value_kind:     global_buffer
      - .address_space:  global
        .offset:         16
        .size:           8
        .value_kind:     global_buffer
      - .offset:         24
        .size:           4
        .value_kind:     by_value
      - .address_space:  global
        .offset:         32
        .size:           8
        .value_kind:     global_buffer
      - .address_space:  global
        .offset:         40
        .size:           8
        .value_kind:     global_buffer
      - .offset:         48
        .size:           4
        .value_kind:     by_value
      - .offset:         52
        .size:           4
        .value_kind:     by_value
      - .offset:         56
        .size:           4
        .value_kind:     by_value
      - .offset:         60
        .size:           1
        .value_kind:     by_value
      - .address_space:  global
        .offset:         64
        .size:           8
        .value_kind:     global_buffer
    .group_segment_fixed_size: 0
    .kernarg_segment_align: 8
    .kernarg_segment_size: 72
    .language:       OpenCL C
    .language_version:
      - 2
      - 0
    .max_flat_workgroup_size: 256
    .name:           _ZN4vllm3moe10topkGatingILi4ELi128ELi4ELi16ELi64ElfLNS0_11ScoringFuncE1EEEvPKT5_PKbPfiPT4_PiiiibPKf
    .private_segment_fixed_size: 0
    .sgpr_count:     20
    .sgpr_spill_count: 0
    .symbol:         _ZN4vllm3moe10topkGatingILi4ELi128ELi4ELi16ELi64ElfLNS0_11ScoringFuncE1EEEvPKT5_PKbPfiPT4_PiiiibPKf.kd
    .uniform_work_group_size: 1
    .uses_dynamic_stack: false
    .vgpr_count:     30
    .vgpr_spill_count: 0
    .wavefront_size: 32
    .workgroup_processor_mode: 1
  - .args:
      - .address_space:  global
        .offset:         0
        .size:           8
        .value_kind:     global_buffer
      - .address_space:  global
        .offset:         8
        .size:           8
        .value_kind:     global_buffer
      - .address_space:  global
        .offset:         16
        .size:           8
        .value_kind:     global_buffer
      - .offset:         24
        .size:           4
        .value_kind:     by_value
      - .address_space:  global
        .offset:         32
        .size:           8
        .value_kind:     global_buffer
      - .address_space:  global
        .offset:         40
        .size:           8
        .value_kind:     global_buffer
      - .offset:         48
        .size:           4
        .value_kind:     by_value
      - .offset:         52
        .size:           4
        .value_kind:     by_value
      - .offset:         56
        .size:           4
        .value_kind:     by_value
      - .offset:         60
        .size:           1
        .value_kind:     by_value
      - .address_space:  global
        .offset:         64
        .size:           8
        .value_kind:     global_buffer
    .group_segment_fixed_size: 0
    .kernarg_segment_align: 8
    .kernarg_segment_size: 72
    .language:       OpenCL C
    .language_version:
      - 2
      - 0
    .max_flat_workgroup_size: 128
    .name:           _ZN4vllm3moe10topkGatingILi4ELi128ELi4ELi16ELi32ElfLNS0_11ScoringFuncE1EEEvPKT5_PKbPfiPT4_PiiiibPKf
    .private_segment_fixed_size: 0
    .sgpr_count:     20
    .sgpr_spill_count: 0
    .symbol:         _ZN4vllm3moe10topkGatingILi4ELi128ELi4ELi16ELi32ElfLNS0_11ScoringFuncE1EEEvPKT5_PKbPfiPT4_PiiiibPKf.kd
    .uniform_work_group_size: 1
    .uses_dynamic_stack: false
    .vgpr_count:     30
    .vgpr_spill_count: 0
    .wavefront_size: 32
    .workgroup_processor_mode: 1
  - .args:
      - .address_space:  global
        .offset:         0
        .size:           8
        .value_kind:     global_buffer
      - .address_space:  global
        .offset:         8
        .size:           8
        .value_kind:     global_buffer
      - .address_space:  global
        .offset:         16
        .size:           8
        .value_kind:     global_buffer
      - .offset:         24
        .size:           4
        .value_kind:     by_value
      - .address_space:  global
        .offset:         32
        .size:           8
        .value_kind:     global_buffer
      - .address_space:  global
        .offset:         40
        .size:           8
        .value_kind:     global_buffer
      - .offset:         48
        .size:           4
        .value_kind:     by_value
      - .offset:         52
        .size:           4
        .value_kind:     by_value
      - .offset:         56
        .size:           4
        .value_kind:     by_value
      - .offset:         60
        .size:           1
        .value_kind:     by_value
      - .address_space:  global
        .offset:         64
        .size:           8
        .value_kind:     global_buffer
    .group_segment_fixed_size: 0
    .kernarg_segment_align: 8
    .kernarg_segment_size: 72
    .language:       OpenCL C
    .language_version:
      - 2
      - 0
    .max_flat_workgroup_size: 256
    .name:           _ZN4vllm3moe10topkGatingILi4ELi256ELi4ELi16ELi64ElfLNS0_11ScoringFuncE1EEEvPKT5_PKbPfiPT4_PiiiibPKf
    .private_segment_fixed_size: 0
    .sgpr_count:     20
    .sgpr_spill_count: 0
    .symbol:         _ZN4vllm3moe10topkGatingILi4ELi256ELi4ELi16ELi64ElfLNS0_11ScoringFuncE1EEEvPKT5_PKbPfiPT4_PiiiibPKf.kd
    .uniform_work_group_size: 1
    .uses_dynamic_stack: false
    .vgpr_count:     31
    .vgpr_spill_count: 0
    .wavefront_size: 32
    .workgroup_processor_mode: 1
  - .args:
      - .address_space:  global
        .offset:         0
        .size:           8
        .value_kind:     global_buffer
      - .address_space:  global
        .offset:         8
        .size:           8
        .value_kind:     global_buffer
      - .address_space:  global
        .offset:         16
        .size:           8
        .value_kind:     global_buffer
      - .offset:         24
        .size:           4
        .value_kind:     by_value
      - .address_space:  global
        .offset:         32
        .size:           8
        .value_kind:     global_buffer
      - .address_space:  global
        .offset:         40
        .size:           8
        .value_kind:     global_buffer
      - .offset:         48
        .size:           4
        .value_kind:     by_value
      - .offset:         52
        .size:           4
        .value_kind:     by_value
      - .offset:         56
        .size:           4
        .value_kind:     by_value
      - .offset:         60
        .size:           1
        .value_kind:     by_value
      - .address_space:  global
        .offset:         64
        .size:           8
        .value_kind:     global_buffer
    .group_segment_fixed_size: 0
    .kernarg_segment_align: 8
    .kernarg_segment_size: 72
    .language:       OpenCL C
    .language_version:
      - 2
      - 0
    .max_flat_workgroup_size: 128
    .name:           _ZN4vllm3moe10topkGatingILi8ELi256ELi4ELi16ELi32ElfLNS0_11ScoringFuncE1EEEvPKT5_PKbPfiPT4_PiiiibPKf
    .private_segment_fixed_size: 0
    .sgpr_count:     22
    .sgpr_spill_count: 0
    .symbol:         _ZN4vllm3moe10topkGatingILi8ELi256ELi4ELi16ELi32ElfLNS0_11ScoringFuncE1EEEvPKT5_PKbPfiPT4_PiiiibPKf.kd
    .uniform_work_group_size: 1
    .uses_dynamic_stack: false
    .vgpr_count:     51
    .vgpr_spill_count: 0
    .wavefront_size: 32
    .workgroup_processor_mode: 1
  - .args:
      - .address_space:  global
        .offset:         0
        .size:           8
        .value_kind:     global_buffer
      - .address_space:  global
        .offset:         8
        .size:           8
        .value_kind:     global_buffer
      - .address_space:  global
        .offset:         16
        .size:           8
        .value_kind:     global_buffer
      - .offset:         24
        .size:           4
        .value_kind:     by_value
      - .address_space:  global
        .offset:         32
        .size:           8
        .value_kind:     global_buffer
      - .address_space:  global
        .offset:         40
        .size:           8
        .value_kind:     global_buffer
      - .offset:         48
        .size:           4
        .value_kind:     by_value
      - .offset:         52
        .size:           4
        .value_kind:     by_value
      - .offset:         56
        .size:           4
        .value_kind:     by_value
      - .offset:         60
        .size:           1
        .value_kind:     by_value
      - .address_space:  global
        .offset:         64
        .size:           8
        .value_kind:     global_buffer
    .group_segment_fixed_size: 0
    .kernarg_segment_align: 8
    .kernarg_segment_size: 72
    .language:       OpenCL C
    .language_version:
      - 2
      - 0
    .max_flat_workgroup_size: 256
    .name:           _ZN4vllm3moe10topkGatingILi8ELi512ELi4ELi16ELi64ElfLNS0_11ScoringFuncE1EEEvPKT5_PKbPfiPT4_PiiiibPKf
    .private_segment_fixed_size: 0
    .sgpr_count:     22
    .sgpr_spill_count: 0
    .symbol:         _ZN4vllm3moe10topkGatingILi8ELi512ELi4ELi16ELi64ElfLNS0_11ScoringFuncE1EEEvPKT5_PKbPfiPT4_PiiiibPKf.kd
    .uniform_work_group_size: 1
    .uses_dynamic_stack: false
    .vgpr_count:     51
    .vgpr_spill_count: 0
    .wavefront_size: 32
    .workgroup_processor_mode: 1
  - .args:
      - .address_space:  global
        .offset:         0
        .size:           8
        .value_kind:     global_buffer
      - .address_space:  global
        .offset:         8
        .size:           8
        .value_kind:     global_buffer
      - .address_space:  global
        .offset:         16
        .size:           8
        .value_kind:     global_buffer
      - .offset:         24
        .size:           4
        .value_kind:     by_value
      - .address_space:  global
        .offset:         32
        .size:           8
        .value_kind:     global_buffer
      - .address_space:  global
        .offset:         40
        .size:           8
        .value_kind:     global_buffer
      - .offset:         48
        .size:           4
        .value_kind:     by_value
      - .offset:         52
        .size:           4
        .value_kind:     by_value
      - .offset:         56
        .size:           4
        .value_kind:     by_value
      - .offset:         60
        .size:           1
        .value_kind:     by_value
      - .address_space:  global
        .offset:         64
        .size:           8
        .value_kind:     global_buffer
    .group_segment_fixed_size: 0
    .kernarg_segment_align: 8
    .kernarg_segment_size: 72
    .language:       OpenCL C
    .language_version:
      - 2
      - 0
    .max_flat_workgroup_size: 128
    .name:           _ZN4vllm3moe10topkGatingILi16ELi512ELi4ELi16ELi32ElfLNS0_11ScoringFuncE1EEEvPKT5_PKbPfiPT4_PiiiibPKf
    .private_segment_fixed_size: 0
    .sgpr_count:     26
    .sgpr_spill_count: 0
    .symbol:         _ZN4vllm3moe10topkGatingILi16ELi512ELi4ELi16ELi32ElfLNS0_11ScoringFuncE1EEEvPKT5_PKbPfiPT4_PiiiibPKf.kd
    .uniform_work_group_size: 1
    .uses_dynamic_stack: false
    .vgpr_count:     92
    .vgpr_spill_count: 0
    .wavefront_size: 32
    .workgroup_processor_mode: 1
  - .args:
      - .address_space:  global
        .offset:         0
        .size:           8
        .value_kind:     global_buffer
      - .address_space:  global
        .offset:         8
        .size:           8
        .value_kind:     global_buffer
      - .address_space:  global
        .offset:         16
        .size:           8
        .value_kind:     global_buffer
      - .offset:         24
        .size:           4
        .value_kind:     by_value
      - .address_space:  global
        .offset:         32
        .size:           8
        .value_kind:     global_buffer
      - .address_space:  global
        .offset:         40
        .size:           8
        .value_kind:     global_buffer
      - .offset:         48
        .size:           4
        .value_kind:     by_value
      - .offset:         52
        .size:           4
        .value_kind:     by_value
      - .offset:         56
        .size:           4
        .value_kind:     by_value
      - .offset:         60
        .size:           1
        .value_kind:     by_value
      - .address_space:  global
        .offset:         64
        .size:           8
        .value_kind:     global_buffer
    .group_segment_fixed_size: 0
    .kernarg_segment_align: 8
    .kernarg_segment_size: 72
    .language:       OpenCL C
    .language_version:
      - 2
      - 0
    .max_flat_workgroup_size: 256
    .name:           _ZN4vllm3moe10topkGatingILi1ELi1ELi4ELi2ELi64Ei6__halfLNS0_11ScoringFuncE1EEEvPKT5_PKbPfiPT4_PiiiibPKf
    .private_segment_fixed_size: 0
    .sgpr_count:     22
    .sgpr_spill_count: 0
    .symbol:         _ZN4vllm3moe10topkGatingILi1ELi1ELi4ELi2ELi64Ei6__halfLNS0_11ScoringFuncE1EEEvPKT5_PKbPfiPT4_PiiiibPKf.kd
    .uniform_work_group_size: 1
    .uses_dynamic_stack: false
    .vgpr_count:     12
    .vgpr_spill_count: 0
    .wavefront_size: 32
    .workgroup_processor_mode: 1
  - .args:
      - .address_space:  global
        .offset:         0
        .size:           8
        .value_kind:     global_buffer
      - .address_space:  global
        .offset:         8
        .size:           8
        .value_kind:     global_buffer
      - .address_space:  global
        .offset:         16
        .size:           8
        .value_kind:     global_buffer
      - .offset:         24
        .size:           4
        .value_kind:     by_value
      - .address_space:  global
        .offset:         32
        .size:           8
        .value_kind:     global_buffer
      - .address_space:  global
        .offset:         40
        .size:           8
        .value_kind:     global_buffer
      - .offset:         48
        .size:           4
        .value_kind:     by_value
      - .offset:         52
        .size:           4
        .value_kind:     by_value
      - .offset:         56
        .size:           4
        .value_kind:     by_value
      - .offset:         60
        .size:           1
        .value_kind:     by_value
      - .address_space:  global
        .offset:         64
        .size:           8
        .value_kind:     global_buffer
    .group_segment_fixed_size: 0
    .kernarg_segment_align: 8
    .kernarg_segment_size: 72
    .language:       OpenCL C
    .language_version:
      - 2
      - 0
    .max_flat_workgroup_size: 128
    .name:           _ZN4vllm3moe10topkGatingILi1ELi1ELi4ELi2ELi32Ei6__halfLNS0_11ScoringFuncE1EEEvPKT5_PKbPfiPT4_PiiiibPKf
    .private_segment_fixed_size: 0
    .sgpr_count:     22
    .sgpr_spill_count: 0
    .symbol:         _ZN4vllm3moe10topkGatingILi1ELi1ELi4ELi2ELi32Ei6__halfLNS0_11ScoringFuncE1EEEvPKT5_PKbPfiPT4_PiiiibPKf.kd
    .uniform_work_group_size: 1
    .uses_dynamic_stack: false
    .vgpr_count:     12
    .vgpr_spill_count: 0
    .wavefront_size: 32
    .workgroup_processor_mode: 1
  - .args:
      - .address_space:  global
        .offset:         0
        .size:           8
        .value_kind:     global_buffer
      - .address_space:  global
        .offset:         8
        .size:           8
        .value_kind:     global_buffer
      - .address_space:  global
        .offset:         16
        .size:           8
        .value_kind:     global_buffer
      - .offset:         24
        .size:           4
        .value_kind:     by_value
      - .address_space:  global
        .offset:         32
        .size:           8
        .value_kind:     global_buffer
      - .address_space:  global
        .offset:         40
        .size:           8
        .value_kind:     global_buffer
      - .offset:         48
        .size:           4
        .value_kind:     by_value
      - .offset:         52
        .size:           4
        .value_kind:     by_value
      - .offset:         56
        .size:           4
        .value_kind:     by_value
      - .offset:         60
        .size:           1
        .value_kind:     by_value
      - .address_space:  global
        .offset:         64
        .size:           8
        .value_kind:     global_buffer
    .group_segment_fixed_size: 0
    .kernarg_segment_align: 8
    .kernarg_segment_size: 72
    .language:       OpenCL C
    .language_version:
      - 2
      - 0
    .max_flat_workgroup_size: 256
    .name:           _ZN4vllm3moe10topkGatingILi2ELi2ELi4ELi4ELi64Ei6__halfLNS0_11ScoringFuncE1EEEvPKT5_PKbPfiPT4_PiiiibPKf
    .private_segment_fixed_size: 0
    .sgpr_count:     18
    .sgpr_spill_count: 0
    .symbol:         _ZN4vllm3moe10topkGatingILi2ELi2ELi4ELi4ELi64Ei6__halfLNS0_11ScoringFuncE1EEEvPKT5_PKbPfiPT4_PiiiibPKf.kd
    .uniform_work_group_size: 1
    .uses_dynamic_stack: false
    .vgpr_count:     18
    .vgpr_spill_count: 0
    .wavefront_size: 32
    .workgroup_processor_mode: 1
  - .args:
      - .address_space:  global
        .offset:         0
        .size:           8
        .value_kind:     global_buffer
      - .address_space:  global
        .offset:         8
        .size:           8
        .value_kind:     global_buffer
      - .address_space:  global
        .offset:         16
        .size:           8
        .value_kind:     global_buffer
      - .offset:         24
        .size:           4
        .value_kind:     by_value
      - .address_space:  global
        .offset:         32
        .size:           8
        .value_kind:     global_buffer
      - .address_space:  global
        .offset:         40
        .size:           8
        .value_kind:     global_buffer
      - .offset:         48
        .size:           4
        .value_kind:     by_value
      - .offset:         52
        .size:           4
        .value_kind:     by_value
      - .offset:         56
        .size:           4
        .value_kind:     by_value
      - .offset:         60
        .size:           1
        .value_kind:     by_value
      - .address_space:  global
        .offset:         64
        .size:           8
        .value_kind:     global_buffer
    .group_segment_fixed_size: 0
    .kernarg_segment_align: 8
    .kernarg_segment_size: 72
    .language:       OpenCL C
    .language_version:
      - 2
      - 0
    .max_flat_workgroup_size: 128
    .name:           _ZN4vllm3moe10topkGatingILi2ELi2ELi4ELi4ELi32Ei6__halfLNS0_11ScoringFuncE1EEEvPKT5_PKbPfiPT4_PiiiibPKf
    .private_segment_fixed_size: 0
    .sgpr_count:     18
    .sgpr_spill_count: 0
    .symbol:         _ZN4vllm3moe10topkGatingILi2ELi2ELi4ELi4ELi32Ei6__halfLNS0_11ScoringFuncE1EEEvPKT5_PKbPfiPT4_PiiiibPKf.kd
    .uniform_work_group_size: 1
    .uses_dynamic_stack: false
    .vgpr_count:     18
    .vgpr_spill_count: 0
    .wavefront_size: 32
    .workgroup_processor_mode: 1
  - .args:
      - .address_space:  global
        .offset:         0
        .size:           8
        .value_kind:     global_buffer
      - .address_space:  global
        .offset:         8
        .size:           8
        .value_kind:     global_buffer
      - .address_space:  global
        .offset:         16
        .size:           8
        .value_kind:     global_buffer
      - .offset:         24
        .size:           4
        .value_kind:     by_value
      - .address_space:  global
        .offset:         32
        .size:           8
        .value_kind:     global_buffer
      - .address_space:  global
        .offset:         40
        .size:           8
        .value_kind:     global_buffer
      - .offset:         48
        .size:           4
        .value_kind:     by_value
      - .offset:         52
        .size:           4
        .value_kind:     by_value
      - .offset:         56
        .size:           4
        .value_kind:     by_value
      - .offset:         60
        .size:           1
        .value_kind:     by_value
      - .address_space:  global
        .offset:         64
        .size:           8
        .value_kind:     global_buffer
    .group_segment_fixed_size: 0
    .kernarg_segment_align: 8
    .kernarg_segment_size: 72
    .language:       OpenCL C
    .language_version:
      - 2
      - 0
    .max_flat_workgroup_size: 256
    .name:           _ZN4vllm3moe10topkGatingILi4ELi4ELi4ELi8ELi64Ei6__halfLNS0_11ScoringFuncE1EEEvPKT5_PKbPfiPT4_PiiiibPKf
    .private_segment_fixed_size: 0
    .sgpr_count:     18
    .sgpr_spill_count: 0
    .symbol:         _ZN4vllm3moe10topkGatingILi4ELi4ELi4ELi8ELi64Ei6__halfLNS0_11ScoringFuncE1EEEvPKT5_PKbPfiPT4_PiiiibPKf.kd
    .uniform_work_group_size: 1
    .uses_dynamic_stack: false
    .vgpr_count:     24
    .vgpr_spill_count: 0
    .wavefront_size: 32
    .workgroup_processor_mode: 1
  - .args:
      - .address_space:  global
        .offset:         0
        .size:           8
        .value_kind:     global_buffer
      - .address_space:  global
        .offset:         8
        .size:           8
        .value_kind:     global_buffer
      - .address_space:  global
        .offset:         16
        .size:           8
        .value_kind:     global_buffer
      - .offset:         24
        .size:           4
        .value_kind:     by_value
      - .address_space:  global
        .offset:         32
        .size:           8
        .value_kind:     global_buffer
      - .address_space:  global
        .offset:         40
        .size:           8
        .value_kind:     global_buffer
      - .offset:         48
        .size:           4
        .value_kind:     by_value
      - .offset:         52
        .size:           4
        .value_kind:     by_value
      - .offset:         56
        .size:           4
        .value_kind:     by_value
      - .offset:         60
        .size:           1
        .value_kind:     by_value
      - .address_space:  global
        .offset:         64
        .size:           8
        .value_kind:     global_buffer
    .group_segment_fixed_size: 0
    .kernarg_segment_align: 8
    .kernarg_segment_size: 72
    .language:       OpenCL C
    .language_version:
      - 2
      - 0
    .max_flat_workgroup_size: 128
    .name:           _ZN4vllm3moe10topkGatingILi4ELi4ELi4ELi8ELi32Ei6__halfLNS0_11ScoringFuncE1EEEvPKT5_PKbPfiPT4_PiiiibPKf
    .private_segment_fixed_size: 0
    .sgpr_count:     18
    .sgpr_spill_count: 0
    .symbol:         _ZN4vllm3moe10topkGatingILi4ELi4ELi4ELi8ELi32Ei6__halfLNS0_11ScoringFuncE1EEEvPKT5_PKbPfiPT4_PiiiibPKf.kd
    .uniform_work_group_size: 1
    .uses_dynamic_stack: false
    .vgpr_count:     24
    .vgpr_spill_count: 0
    .wavefront_size: 32
    .workgroup_processor_mode: 1
  - .args:
      - .address_space:  global
        .offset:         0
        .size:           8
        .value_kind:     global_buffer
      - .address_space:  global
        .offset:         8
        .size:           8
        .value_kind:     global_buffer
      - .address_space:  global
        .offset:         16
        .size:           8
        .value_kind:     global_buffer
      - .offset:         24
        .size:           4
        .value_kind:     by_value
      - .address_space:  global
        .offset:         32
        .size:           8
        .value_kind:     global_buffer
      - .address_space:  global
        .offset:         40
        .size:           8
        .value_kind:     global_buffer
      - .offset:         48
        .size:           4
        .value_kind:     by_value
      - .offset:         52
        .size:           4
        .value_kind:     by_value
      - .offset:         56
        .size:           4
        .value_kind:     by_value
      - .offset:         60
        .size:           1
        .value_kind:     by_value
      - .address_space:  global
        .offset:         64
        .size:           8
        .value_kind:     global_buffer
    .group_segment_fixed_size: 0
    .kernarg_segment_align: 8
    .kernarg_segment_size: 72
    .language:       OpenCL C
    .language_version:
      - 2
      - 0
    .max_flat_workgroup_size: 256
    .name:           _ZN4vllm3moe10topkGatingILi8ELi8ELi4ELi16ELi64Ei6__halfLNS0_11ScoringFuncE1EEEvPKT5_PKbPfiPT4_PiiiibPKf
    .private_segment_fixed_size: 0
    .sgpr_count:     19
    .sgpr_spill_count: 0
    .symbol:         _ZN4vllm3moe10topkGatingILi8ELi8ELi4ELi16ELi64Ei6__halfLNS0_11ScoringFuncE1EEEvPKT5_PKbPfiPT4_PiiiibPKf.kd
    .uniform_work_group_size: 1
    .uses_dynamic_stack: false
    .vgpr_count:     45
    .vgpr_spill_count: 0
    .wavefront_size: 32
    .workgroup_processor_mode: 1
  - .args:
      - .address_space:  global
        .offset:         0
        .size:           8
        .value_kind:     global_buffer
      - .address_space:  global
        .offset:         8
        .size:           8
        .value_kind:     global_buffer
      - .address_space:  global
        .offset:         16
        .size:           8
        .value_kind:     global_buffer
      - .offset:         24
        .size:           4
        .value_kind:     by_value
      - .address_space:  global
        .offset:         32
        .size:           8
        .value_kind:     global_buffer
      - .address_space:  global
        .offset:         40
        .size:           8
        .value_kind:     global_buffer
      - .offset:         48
        .size:           4
        .value_kind:     by_value
      - .offset:         52
        .size:           4
        .value_kind:     by_value
      - .offset:         56
        .size:           4
        .value_kind:     by_value
      - .offset:         60
        .size:           1
        .value_kind:     by_value
      - .address_space:  global
        .offset:         64
        .size:           8
        .value_kind:     global_buffer
    .group_segment_fixed_size: 0
    .kernarg_segment_align: 8
    .kernarg_segment_size: 72
    .language:       OpenCL C
    .language_version:
      - 2
      - 0
    .max_flat_workgroup_size: 128
    .name:           _ZN4vllm3moe10topkGatingILi8ELi8ELi4ELi16ELi32Ei6__halfLNS0_11ScoringFuncE1EEEvPKT5_PKbPfiPT4_PiiiibPKf
    .private_segment_fixed_size: 0
    .sgpr_count:     19
    .sgpr_spill_count: 0
    .symbol:         _ZN4vllm3moe10topkGatingILi8ELi8ELi4ELi16ELi32Ei6__halfLNS0_11ScoringFuncE1EEEvPKT5_PKbPfiPT4_PiiiibPKf.kd
    .uniform_work_group_size: 1
    .uses_dynamic_stack: false
    .vgpr_count:     45
    .vgpr_spill_count: 0
    .wavefront_size: 32
    .workgroup_processor_mode: 1
  - .args:
      - .address_space:  global
        .offset:         0
        .size:           8
        .value_kind:     global_buffer
      - .address_space:  global
        .offset:         8
        .size:           8
        .value_kind:     global_buffer
      - .address_space:  global
        .offset:         16
        .size:           8
        .value_kind:     global_buffer
      - .offset:         24
        .size:           4
        .value_kind:     by_value
      - .address_space:  global
        .offset:         32
        .size:           8
        .value_kind:     global_buffer
      - .address_space:  global
        .offset:         40
        .size:           8
        .value_kind:     global_buffer
      - .offset:         48
        .size:           4
        .value_kind:     by_value
      - .offset:         52
        .size:           4
        .value_kind:     by_value
      - .offset:         56
        .size:           4
        .value_kind:     by_value
      - .offset:         60
        .size:           1
        .value_kind:     by_value
      - .address_space:  global
        .offset:         64
        .size:           8
        .value_kind:     global_buffer
    .group_segment_fixed_size: 0
    .kernarg_segment_align: 8
    .kernarg_segment_size: 72
    .language:       OpenCL C
    .language_version:
      - 2
      - 0
    .max_flat_workgroup_size: 256
    .name:           _ZN4vllm3moe10topkGatingILi8ELi16ELi4ELi16ELi64Ei6__halfLNS0_11ScoringFuncE1EEEvPKT5_PKbPfiPT4_PiiiibPKf
    .private_segment_fixed_size: 0
    .sgpr_count:     22
    .sgpr_spill_count: 0
    .symbol:         _ZN4vllm3moe10topkGatingILi8ELi16ELi4ELi16ELi64Ei6__halfLNS0_11ScoringFuncE1EEEvPKT5_PKbPfiPT4_PiiiibPKf.kd
    .uniform_work_group_size: 1
    .uses_dynamic_stack: false
    .vgpr_count:     47
    .vgpr_spill_count: 0
    .wavefront_size: 32
    .workgroup_processor_mode: 1
  - .args:
      - .address_space:  global
        .offset:         0
        .size:           8
        .value_kind:     global_buffer
      - .address_space:  global
        .offset:         8
        .size:           8
        .value_kind:     global_buffer
      - .address_space:  global
        .offset:         16
        .size:           8
        .value_kind:     global_buffer
      - .offset:         24
        .size:           4
        .value_kind:     by_value
      - .address_space:  global
        .offset:         32
        .size:           8
        .value_kind:     global_buffer
      - .address_space:  global
        .offset:         40
        .size:           8
        .value_kind:     global_buffer
      - .offset:         48
        .size:           4
        .value_kind:     by_value
      - .offset:         52
        .size:           4
        .value_kind:     by_value
      - .offset:         56
        .size:           4
        .value_kind:     by_value
      - .offset:         60
        .size:           1
        .value_kind:     by_value
      - .address_space:  global
        .offset:         64
        .size:           8
        .value_kind:     global_buffer
    .group_segment_fixed_size: 0
    .kernarg_segment_align: 8
    .kernarg_segment_size: 72
    .language:       OpenCL C
    .language_version:
      - 2
      - 0
    .max_flat_workgroup_size: 128
    .name:           _ZN4vllm3moe10topkGatingILi8ELi16ELi4ELi16ELi32Ei6__halfLNS0_11ScoringFuncE1EEEvPKT5_PKbPfiPT4_PiiiibPKf
    .private_segment_fixed_size: 0
    .sgpr_count:     22
    .sgpr_spill_count: 0
    .symbol:         _ZN4vllm3moe10topkGatingILi8ELi16ELi4ELi16ELi32Ei6__halfLNS0_11ScoringFuncE1EEEvPKT5_PKbPfiPT4_PiiiibPKf.kd
    .uniform_work_group_size: 1
    .uses_dynamic_stack: false
    .vgpr_count:     47
    .vgpr_spill_count: 0
    .wavefront_size: 32
    .workgroup_processor_mode: 1
  - .args:
      - .address_space:  global
        .offset:         0
        .size:           8
        .value_kind:     global_buffer
      - .address_space:  global
        .offset:         8
        .size:           8
        .value_kind:     global_buffer
      - .address_space:  global
        .offset:         16
        .size:           8
        .value_kind:     global_buffer
      - .offset:         24
        .size:           4
        .value_kind:     by_value
      - .address_space:  global
        .offset:         32
        .size:           8
        .value_kind:     global_buffer
      - .address_space:  global
        .offset:         40
        .size:           8
        .value_kind:     global_buffer
      - .offset:         48
        .size:           4
        .value_kind:     by_value
      - .offset:         52
        .size:           4
        .value_kind:     by_value
      - .offset:         56
        .size:           4
        .value_kind:     by_value
      - .offset:         60
        .size:           1
        .value_kind:     by_value
      - .address_space:  global
        .offset:         64
        .size:           8
        .value_kind:     global_buffer
    .group_segment_fixed_size: 0
    .kernarg_segment_align: 8
    .kernarg_segment_size: 72
    .language:       OpenCL C
    .language_version:
      - 2
      - 0
    .max_flat_workgroup_size: 256
    .name:           _ZN4vllm3moe10topkGatingILi8ELi32ELi4ELi16ELi64Ei6__halfLNS0_11ScoringFuncE1EEEvPKT5_PKbPfiPT4_PiiiibPKf
    .private_segment_fixed_size: 0
    .sgpr_count:     22
    .sgpr_spill_count: 0
    .symbol:         _ZN4vllm3moe10topkGatingILi8ELi32ELi4ELi16ELi64Ei6__halfLNS0_11ScoringFuncE1EEEvPKT5_PKbPfiPT4_PiiiibPKf.kd
    .uniform_work_group_size: 1
    .uses_dynamic_stack: false
    .vgpr_count:     47
    .vgpr_spill_count: 0
    .wavefront_size: 32
    .workgroup_processor_mode: 1
  - .args:
      - .address_space:  global
        .offset:         0
        .size:           8
        .value_kind:     global_buffer
      - .address_space:  global
        .offset:         8
        .size:           8
        .value_kind:     global_buffer
      - .address_space:  global
        .offset:         16
        .size:           8
        .value_kind:     global_buffer
      - .offset:         24
        .size:           4
        .value_kind:     by_value
      - .address_space:  global
        .offset:         32
        .size:           8
        .value_kind:     global_buffer
      - .address_space:  global
        .offset:         40
        .size:           8
        .value_kind:     global_buffer
      - .offset:         48
        .size:           4
        .value_kind:     by_value
      - .offset:         52
        .size:           4
        .value_kind:     by_value
      - .offset:         56
        .size:           4
        .value_kind:     by_value
      - .offset:         60
        .size:           1
        .value_kind:     by_value
      - .address_space:  global
        .offset:         64
        .size:           8
        .value_kind:     global_buffer
    .group_segment_fixed_size: 0
    .kernarg_segment_align: 8
    .kernarg_segment_size: 72
    .language:       OpenCL C
    .language_version:
      - 2
      - 0
    .max_flat_workgroup_size: 128
    .name:           _ZN4vllm3moe10topkGatingILi8ELi32ELi4ELi16ELi32Ei6__halfLNS0_11ScoringFuncE1EEEvPKT5_PKbPfiPT4_PiiiibPKf
    .private_segment_fixed_size: 0
    .sgpr_count:     22
    .sgpr_spill_count: 0
    .symbol:         _ZN4vllm3moe10topkGatingILi8ELi32ELi4ELi16ELi32Ei6__halfLNS0_11ScoringFuncE1EEEvPKT5_PKbPfiPT4_PiiiibPKf.kd
    .uniform_work_group_size: 1
    .uses_dynamic_stack: false
    .vgpr_count:     47
    .vgpr_spill_count: 0
    .wavefront_size: 32
    .workgroup_processor_mode: 1
  - .args:
      - .address_space:  global
        .offset:         0
        .size:           8
        .value_kind:     global_buffer
      - .address_space:  global
        .offset:         8
        .size:           8
        .value_kind:     global_buffer
      - .address_space:  global
        .offset:         16
        .size:           8
        .value_kind:     global_buffer
      - .offset:         24
        .size:           4
        .value_kind:     by_value
      - .address_space:  global
        .offset:         32
        .size:           8
        .value_kind:     global_buffer
      - .address_space:  global
        .offset:         40
        .size:           8
        .value_kind:     global_buffer
      - .offset:         48
        .size:           4
        .value_kind:     by_value
      - .offset:         52
        .size:           4
        .value_kind:     by_value
      - .offset:         56
        .size:           4
        .value_kind:     by_value
      - .offset:         60
        .size:           1
        .value_kind:     by_value
      - .address_space:  global
        .offset:         64
        .size:           8
        .value_kind:     global_buffer
    .group_segment_fixed_size: 0
    .kernarg_segment_align: 8
    .kernarg_segment_size: 72
    .language:       OpenCL C
    .language_version:
      - 2
      - 0
    .max_flat_workgroup_size: 256
    .name:           _ZN4vllm3moe10topkGatingILi8ELi64ELi4ELi16ELi64Ei6__halfLNS0_11ScoringFuncE1EEEvPKT5_PKbPfiPT4_PiiiibPKf
    .private_segment_fixed_size: 0
    .sgpr_count:     22
    .sgpr_spill_count: 0
    .symbol:         _ZN4vllm3moe10topkGatingILi8ELi64ELi4ELi16ELi64Ei6__halfLNS0_11ScoringFuncE1EEEvPKT5_PKbPfiPT4_PiiiibPKf.kd
    .uniform_work_group_size: 1
    .uses_dynamic_stack: false
    .vgpr_count:     47
    .vgpr_spill_count: 0
    .wavefront_size: 32
    .workgroup_processor_mode: 1
  - .args:
      - .address_space:  global
        .offset:         0
        .size:           8
        .value_kind:     global_buffer
      - .address_space:  global
        .offset:         8
        .size:           8
        .value_kind:     global_buffer
      - .address_space:  global
        .offset:         16
        .size:           8
        .value_kind:     global_buffer
      - .offset:         24
        .size:           4
        .value_kind:     by_value
      - .address_space:  global
        .offset:         32
        .size:           8
        .value_kind:     global_buffer
      - .address_space:  global
        .offset:         40
        .size:           8
        .value_kind:     global_buffer
      - .offset:         48
        .size:           4
        .value_kind:     by_value
      - .offset:         52
        .size:           4
        .value_kind:     by_value
      - .offset:         56
        .size:           4
        .value_kind:     by_value
      - .offset:         60
        .size:           1
        .value_kind:     by_value
      - .address_space:  global
        .offset:         64
        .size:           8
        .value_kind:     global_buffer
    .group_segment_fixed_size: 0
    .kernarg_segment_align: 8
    .kernarg_segment_size: 72
    .language:       OpenCL C
    .language_version:
      - 2
      - 0
    .max_flat_workgroup_size: 128
    .name:           _ZN4vllm3moe10topkGatingILi8ELi64ELi4ELi16ELi32Ei6__halfLNS0_11ScoringFuncE1EEEvPKT5_PKbPfiPT4_PiiiibPKf
    .private_segment_fixed_size: 0
    .sgpr_count:     22
    .sgpr_spill_count: 0
    .symbol:         _ZN4vllm3moe10topkGatingILi8ELi64ELi4ELi16ELi32Ei6__halfLNS0_11ScoringFuncE1EEEvPKT5_PKbPfiPT4_PiiiibPKf.kd
    .uniform_work_group_size: 1
    .uses_dynamic_stack: false
    .vgpr_count:     47
    .vgpr_spill_count: 0
    .wavefront_size: 32
    .workgroup_processor_mode: 1
  - .args:
      - .address_space:  global
        .offset:         0
        .size:           8
        .value_kind:     global_buffer
      - .address_space:  global
        .offset:         8
        .size:           8
        .value_kind:     global_buffer
      - .address_space:  global
        .offset:         16
        .size:           8
        .value_kind:     global_buffer
      - .offset:         24
        .size:           4
        .value_kind:     by_value
      - .address_space:  global
        .offset:         32
        .size:           8
        .value_kind:     global_buffer
      - .address_space:  global
        .offset:         40
        .size:           8
        .value_kind:     global_buffer
      - .offset:         48
        .size:           4
        .value_kind:     by_value
      - .offset:         52
        .size:           4
        .value_kind:     by_value
      - .offset:         56
        .size:           4
        .value_kind:     by_value
      - .offset:         60
        .size:           1
        .value_kind:     by_value
      - .address_space:  global
        .offset:         64
        .size:           8
        .value_kind:     global_buffer
    .group_segment_fixed_size: 0
    .kernarg_segment_align: 8
    .kernarg_segment_size: 72
    .language:       OpenCL C
    .language_version:
      - 2
      - 0
    .max_flat_workgroup_size: 256
    .name:           _ZN4vllm3moe10topkGatingILi8ELi128ELi4ELi16ELi64Ei6__halfLNS0_11ScoringFuncE1EEEvPKT5_PKbPfiPT4_PiiiibPKf
    .private_segment_fixed_size: 0
    .sgpr_count:     22
    .sgpr_spill_count: 0
    .symbol:         _ZN4vllm3moe10topkGatingILi8ELi128ELi4ELi16ELi64Ei6__halfLNS0_11ScoringFuncE1EEEvPKT5_PKbPfiPT4_PiiiibPKf.kd
    .uniform_work_group_size: 1
    .uses_dynamic_stack: false
    .vgpr_count:     47
    .vgpr_spill_count: 0
    .wavefront_size: 32
    .workgroup_processor_mode: 1
  - .args:
      - .address_space:  global
        .offset:         0
        .size:           8
        .value_kind:     global_buffer
      - .address_space:  global
        .offset:         8
        .size:           8
        .value_kind:     global_buffer
      - .address_space:  global
        .offset:         16
        .size:           8
        .value_kind:     global_buffer
      - .offset:         24
        .size:           4
        .value_kind:     by_value
      - .address_space:  global
        .offset:         32
        .size:           8
        .value_kind:     global_buffer
      - .address_space:  global
        .offset:         40
        .size:           8
        .value_kind:     global_buffer
      - .offset:         48
        .size:           4
        .value_kind:     by_value
      - .offset:         52
        .size:           4
        .value_kind:     by_value
      - .offset:         56
        .size:           4
        .value_kind:     by_value
      - .offset:         60
        .size:           1
        .value_kind:     by_value
      - .address_space:  global
        .offset:         64
        .size:           8
        .value_kind:     global_buffer
    .group_segment_fixed_size: 0
    .kernarg_segment_align: 8
    .kernarg_segment_size: 72
    .language:       OpenCL C
    .language_version:
      - 2
      - 0
    .max_flat_workgroup_size: 128
    .name:           _ZN4vllm3moe10topkGatingILi8ELi128ELi4ELi16ELi32Ei6__halfLNS0_11ScoringFuncE1EEEvPKT5_PKbPfiPT4_PiiiibPKf
    .private_segment_fixed_size: 0
    .sgpr_count:     22
    .sgpr_spill_count: 0
    .symbol:         _ZN4vllm3moe10topkGatingILi8ELi128ELi4ELi16ELi32Ei6__halfLNS0_11ScoringFuncE1EEEvPKT5_PKbPfiPT4_PiiiibPKf.kd
    .uniform_work_group_size: 1
    .uses_dynamic_stack: false
    .vgpr_count:     47
    .vgpr_spill_count: 0
    .wavefront_size: 32
    .workgroup_processor_mode: 1
  - .args:
      - .address_space:  global
        .offset:         0
        .size:           8
        .value_kind:     global_buffer
      - .address_space:  global
        .offset:         8
        .size:           8
        .value_kind:     global_buffer
      - .address_space:  global
        .offset:         16
        .size:           8
        .value_kind:     global_buffer
      - .offset:         24
        .size:           4
        .value_kind:     by_value
      - .address_space:  global
        .offset:         32
        .size:           8
        .value_kind:     global_buffer
      - .address_space:  global
        .offset:         40
        .size:           8
        .value_kind:     global_buffer
      - .offset:         48
        .size:           4
        .value_kind:     by_value
      - .offset:         52
        .size:           4
        .value_kind:     by_value
      - .offset:         56
        .size:           4
        .value_kind:     by_value
      - .offset:         60
        .size:           1
        .value_kind:     by_value
      - .address_space:  global
        .offset:         64
        .size:           8
        .value_kind:     global_buffer
    .group_segment_fixed_size: 0
    .kernarg_segment_align: 8
    .kernarg_segment_size: 72
    .language:       OpenCL C
    .language_version:
      - 2
      - 0
    .max_flat_workgroup_size: 256
    .name:           _ZN4vllm3moe10topkGatingILi8ELi256ELi4ELi16ELi64Ei6__halfLNS0_11ScoringFuncE1EEEvPKT5_PKbPfiPT4_PiiiibPKf
    .private_segment_fixed_size: 0
    .sgpr_count:     22
    .sgpr_spill_count: 0
    .symbol:         _ZN4vllm3moe10topkGatingILi8ELi256ELi4ELi16ELi64Ei6__halfLNS0_11ScoringFuncE1EEEvPKT5_PKbPfiPT4_PiiiibPKf.kd
    .uniform_work_group_size: 1
    .uses_dynamic_stack: false
    .vgpr_count:     47
    .vgpr_spill_count: 0
    .wavefront_size: 32
    .workgroup_processor_mode: 1
  - .args:
      - .address_space:  global
        .offset:         0
        .size:           8
        .value_kind:     global_buffer
      - .address_space:  global
        .offset:         8
        .size:           8
        .value_kind:     global_buffer
      - .address_space:  global
        .offset:         16
        .size:           8
        .value_kind:     global_buffer
      - .offset:         24
        .size:           4
        .value_kind:     by_value
      - .address_space:  global
        .offset:         32
        .size:           8
        .value_kind:     global_buffer
      - .address_space:  global
        .offset:         40
        .size:           8
        .value_kind:     global_buffer
      - .offset:         48
        .size:           4
        .value_kind:     by_value
      - .offset:         52
        .size:           4
        .value_kind:     by_value
      - .offset:         56
        .size:           4
        .value_kind:     by_value
      - .offset:         60
        .size:           1
        .value_kind:     by_value
      - .address_space:  global
        .offset:         64
        .size:           8
        .value_kind:     global_buffer
    .group_segment_fixed_size: 0
    .kernarg_segment_align: 8
    .kernarg_segment_size: 72
    .language:       OpenCL C
    .language_version:
      - 2
      - 0
    .max_flat_workgroup_size: 128
    .name:           _ZN4vllm3moe10topkGatingILi8ELi256ELi4ELi16ELi32Ei6__halfLNS0_11ScoringFuncE1EEEvPKT5_PKbPfiPT4_PiiiibPKf
    .private_segment_fixed_size: 0
    .sgpr_count:     22
    .sgpr_spill_count: 0
    .symbol:         _ZN4vllm3moe10topkGatingILi8ELi256ELi4ELi16ELi32Ei6__halfLNS0_11ScoringFuncE1EEEvPKT5_PKbPfiPT4_PiiiibPKf.kd
    .uniform_work_group_size: 1
    .uses_dynamic_stack: false
    .vgpr_count:     47
    .vgpr_spill_count: 0
    .wavefront_size: 32
    .workgroup_processor_mode: 1
  - .args:
      - .address_space:  global
        .offset:         0
        .size:           8
        .value_kind:     global_buffer
      - .address_space:  global
        .offset:         8
        .size:           8
        .value_kind:     global_buffer
      - .address_space:  global
        .offset:         16
        .size:           8
        .value_kind:     global_buffer
      - .offset:         24
        .size:           4
        .value_kind:     by_value
      - .address_space:  global
        .offset:         32
        .size:           8
        .value_kind:     global_buffer
      - .address_space:  global
        .offset:         40
        .size:           8
        .value_kind:     global_buffer
      - .offset:         48
        .size:           4
        .value_kind:     by_value
      - .offset:         52
        .size:           4
        .value_kind:     by_value
      - .offset:         56
        .size:           4
        .value_kind:     by_value
      - .offset:         60
        .size:           1
        .value_kind:     by_value
      - .address_space:  global
        .offset:         64
        .size:           8
        .value_kind:     global_buffer
    .group_segment_fixed_size: 0
    .kernarg_segment_align: 8
    .kernarg_segment_size: 72
    .language:       OpenCL C
    .language_version:
      - 2
      - 0
    .max_flat_workgroup_size: 256
    .name:           _ZN4vllm3moe10topkGatingILi8ELi512ELi4ELi16ELi64Ei6__halfLNS0_11ScoringFuncE1EEEvPKT5_PKbPfiPT4_PiiiibPKf
    .private_segment_fixed_size: 0
    .sgpr_count:     22
    .sgpr_spill_count: 0
    .symbol:         _ZN4vllm3moe10topkGatingILi8ELi512ELi4ELi16ELi64Ei6__halfLNS0_11ScoringFuncE1EEEvPKT5_PKbPfiPT4_PiiiibPKf.kd
    .uniform_work_group_size: 1
    .uses_dynamic_stack: false
    .vgpr_count:     47
    .vgpr_spill_count: 0
    .wavefront_size: 32
    .workgroup_processor_mode: 1
  - .args:
      - .address_space:  global
        .offset:         0
        .size:           8
        .value_kind:     global_buffer
      - .address_space:  global
        .offset:         8
        .size:           8
        .value_kind:     global_buffer
      - .address_space:  global
        .offset:         16
        .size:           8
        .value_kind:     global_buffer
      - .offset:         24
        .size:           4
        .value_kind:     by_value
      - .address_space:  global
        .offset:         32
        .size:           8
        .value_kind:     global_buffer
      - .address_space:  global
        .offset:         40
        .size:           8
        .value_kind:     global_buffer
      - .offset:         48
        .size:           4
        .value_kind:     by_value
      - .offset:         52
        .size:           4
        .value_kind:     by_value
      - .offset:         56
        .size:           4
        .value_kind:     by_value
      - .offset:         60
        .size:           1
        .value_kind:     by_value
      - .address_space:  global
        .offset:         64
        .size:           8
        .value_kind:     global_buffer
    .group_segment_fixed_size: 0
    .kernarg_segment_align: 8
    .kernarg_segment_size: 72
    .language:       OpenCL C
    .language_version:
      - 2
      - 0
    .max_flat_workgroup_size: 128
    .name:           _ZN4vllm3moe10topkGatingILi16ELi512ELi4ELi16ELi32Ei6__halfLNS0_11ScoringFuncE1EEEvPKT5_PKbPfiPT4_PiiiibPKf
    .private_segment_fixed_size: 0
    .sgpr_count:     26
    .sgpr_spill_count: 0
    .symbol:         _ZN4vllm3moe10topkGatingILi16ELi512ELi4ELi16ELi32Ei6__halfLNS0_11ScoringFuncE1EEEvPKT5_PKbPfiPT4_PiiiibPKf.kd
    .uniform_work_group_size: 1
    .uses_dynamic_stack: false
    .vgpr_count:     91
    .vgpr_spill_count: 0
    .wavefront_size: 32
    .workgroup_processor_mode: 1
  - .args:
      - .address_space:  global
        .offset:         0
        .size:           8
        .value_kind:     global_buffer
      - .address_space:  global
        .offset:         8
        .size:           8
        .value_kind:     global_buffer
      - .address_space:  global
        .offset:         16
        .size:           8
        .value_kind:     global_buffer
      - .offset:         24
        .size:           4
        .value_kind:     by_value
    .group_segment_fixed_size: 0
    .kernarg_segment_align: 8
    .kernarg_segment_size: 28
    .language:       OpenCL C
    .language_version:
      - 2
      - 0
    .max_flat_workgroup_size: 256
    .name:           _ZN4vllm3moe10moeSigmoidILi256E6__halfEEvPKT0_PKbPfi
    .private_segment_fixed_size: 0
    .sgpr_count:     18
    .sgpr_spill_count: 0
    .symbol:         _ZN4vllm3moe10moeSigmoidILi256E6__halfEEvPKT0_PKbPfi.kd
    .uniform_work_group_size: 1
    .uses_dynamic_stack: false
    .vgpr_count:     11
    .vgpr_spill_count: 0
    .wavefront_size: 32
    .workgroup_processor_mode: 1
  - .args:
      - .address_space:  global
        .offset:         0
        .size:           8
        .value_kind:     global_buffer
      - .address_space:  global
        .offset:         8
        .size:           8
        .value_kind:     global_buffer
      - .address_space:  global
        .offset:         16
        .size:           8
        .value_kind:     global_buffer
      - .offset:         24
        .size:           4
        .value_kind:     by_value
      - .address_space:  global
        .offset:         32
        .size:           8
        .value_kind:     global_buffer
      - .address_space:  global
        .offset:         40
        .size:           8
        .value_kind:     global_buffer
      - .offset:         48
        .size:           4
        .value_kind:     by_value
      - .offset:         52
        .size:           4
        .value_kind:     by_value
      - .offset:         56
        .size:           4
        .value_kind:     by_value
      - .offset:         60
        .size:           1
        .value_kind:     by_value
      - .address_space:  global
        .offset:         64
        .size:           8
        .value_kind:     global_buffer
    .group_segment_fixed_size: 0
    .kernarg_segment_align: 8
    .kernarg_segment_size: 72
    .language:       OpenCL C
    .language_version:
      - 2
      - 0
    .max_flat_workgroup_size: 256
    .name:           _ZN4vllm3moe10topkGatingILi1ELi1ELi4ELi2ELi64Ej6__halfLNS0_11ScoringFuncE1EEEvPKT5_PKbPfiPT4_PiiiibPKf
    .private_segment_fixed_size: 0
    .sgpr_count:     22
    .sgpr_spill_count: 0
    .symbol:         _ZN4vllm3moe10topkGatingILi1ELi1ELi4ELi2ELi64Ej6__halfLNS0_11ScoringFuncE1EEEvPKT5_PKbPfiPT4_PiiiibPKf.kd
    .uniform_work_group_size: 1
    .uses_dynamic_stack: false
    .vgpr_count:     12
    .vgpr_spill_count: 0
    .wavefront_size: 32
    .workgroup_processor_mode: 1
  - .args:
      - .address_space:  global
        .offset:         0
        .size:           8
        .value_kind:     global_buffer
      - .address_space:  global
        .offset:         8
        .size:           8
        .value_kind:     global_buffer
      - .address_space:  global
        .offset:         16
        .size:           8
        .value_kind:     global_buffer
      - .offset:         24
        .size:           4
        .value_kind:     by_value
      - .address_space:  global
        .offset:         32
        .size:           8
        .value_kind:     global_buffer
      - .address_space:  global
        .offset:         40
        .size:           8
        .value_kind:     global_buffer
      - .offset:         48
        .size:           4
        .value_kind:     by_value
      - .offset:         52
        .size:           4
        .value_kind:     by_value
      - .offset:         56
        .size:           4
        .value_kind:     by_value
      - .offset:         60
        .size:           1
        .value_kind:     by_value
      - .address_space:  global
        .offset:         64
        .size:           8
        .value_kind:     global_buffer
    .group_segment_fixed_size: 0
    .kernarg_segment_align: 8
    .kernarg_segment_size: 72
    .language:       OpenCL C
    .language_version:
      - 2
      - 0
    .max_flat_workgroup_size: 128
    .name:           _ZN4vllm3moe10topkGatingILi1ELi1ELi4ELi2ELi32Ej6__halfLNS0_11ScoringFuncE1EEEvPKT5_PKbPfiPT4_PiiiibPKf
    .private_segment_fixed_size: 0
    .sgpr_count:     22
    .sgpr_spill_count: 0
    .symbol:         _ZN4vllm3moe10topkGatingILi1ELi1ELi4ELi2ELi32Ej6__halfLNS0_11ScoringFuncE1EEEvPKT5_PKbPfiPT4_PiiiibPKf.kd
    .uniform_work_group_size: 1
    .uses_dynamic_stack: false
    .vgpr_count:     12
    .vgpr_spill_count: 0
    .wavefront_size: 32
    .workgroup_processor_mode: 1
  - .args:
      - .address_space:  global
        .offset:         0
        .size:           8
        .value_kind:     global_buffer
      - .address_space:  global
        .offset:         8
        .size:           8
        .value_kind:     global_buffer
      - .address_space:  global
        .offset:         16
        .size:           8
        .value_kind:     global_buffer
      - .offset:         24
        .size:           4
        .value_kind:     by_value
      - .address_space:  global
        .offset:         32
        .size:           8
        .value_kind:     global_buffer
      - .address_space:  global
        .offset:         40
        .size:           8
        .value_kind:     global_buffer
      - .offset:         48
        .size:           4
        .value_kind:     by_value
      - .offset:         52
        .size:           4
        .value_kind:     by_value
      - .offset:         56
        .size:           4
        .value_kind:     by_value
      - .offset:         60
        .size:           1
        .value_kind:     by_value
      - .address_space:  global
        .offset:         64
        .size:           8
        .value_kind:     global_buffer
    .group_segment_fixed_size: 0
    .kernarg_segment_align: 8
    .kernarg_segment_size: 72
    .language:       OpenCL C
    .language_version:
      - 2
      - 0
    .max_flat_workgroup_size: 256
    .name:           _ZN4vllm3moe10topkGatingILi2ELi2ELi4ELi4ELi64Ej6__halfLNS0_11ScoringFuncE1EEEvPKT5_PKbPfiPT4_PiiiibPKf
    .private_segment_fixed_size: 0
    .sgpr_count:     18
    .sgpr_spill_count: 0
    .symbol:         _ZN4vllm3moe10topkGatingILi2ELi2ELi4ELi4ELi64Ej6__halfLNS0_11ScoringFuncE1EEEvPKT5_PKbPfiPT4_PiiiibPKf.kd
    .uniform_work_group_size: 1
    .uses_dynamic_stack: false
    .vgpr_count:     18
    .vgpr_spill_count: 0
    .wavefront_size: 32
    .workgroup_processor_mode: 1
  - .args:
      - .address_space:  global
        .offset:         0
        .size:           8
        .value_kind:     global_buffer
      - .address_space:  global
        .offset:         8
        .size:           8
        .value_kind:     global_buffer
      - .address_space:  global
        .offset:         16
        .size:           8
        .value_kind:     global_buffer
      - .offset:         24
        .size:           4
        .value_kind:     by_value
      - .address_space:  global
        .offset:         32
        .size:           8
        .value_kind:     global_buffer
      - .address_space:  global
        .offset:         40
        .size:           8
        .value_kind:     global_buffer
      - .offset:         48
        .size:           4
        .value_kind:     by_value
      - .offset:         52
        .size:           4
        .value_kind:     by_value
      - .offset:         56
        .size:           4
        .value_kind:     by_value
      - .offset:         60
        .size:           1
        .value_kind:     by_value
      - .address_space:  global
        .offset:         64
        .size:           8
        .value_kind:     global_buffer
    .group_segment_fixed_size: 0
    .kernarg_segment_align: 8
    .kernarg_segment_size: 72
    .language:       OpenCL C
    .language_version:
      - 2
      - 0
    .max_flat_workgroup_size: 128
    .name:           _ZN4vllm3moe10topkGatingILi2ELi2ELi4ELi4ELi32Ej6__halfLNS0_11ScoringFuncE1EEEvPKT5_PKbPfiPT4_PiiiibPKf
    .private_segment_fixed_size: 0
    .sgpr_count:     18
    .sgpr_spill_count: 0
    .symbol:         _ZN4vllm3moe10topkGatingILi2ELi2ELi4ELi4ELi32Ej6__halfLNS0_11ScoringFuncE1EEEvPKT5_PKbPfiPT4_PiiiibPKf.kd
    .uniform_work_group_size: 1
    .uses_dynamic_stack: false
    .vgpr_count:     18
    .vgpr_spill_count: 0
    .wavefront_size: 32
    .workgroup_processor_mode: 1
  - .args:
      - .address_space:  global
        .offset:         0
        .size:           8
        .value_kind:     global_buffer
      - .address_space:  global
        .offset:         8
        .size:           8
        .value_kind:     global_buffer
      - .address_space:  global
        .offset:         16
        .size:           8
        .value_kind:     global_buffer
      - .offset:         24
        .size:           4
        .value_kind:     by_value
      - .address_space:  global
        .offset:         32
        .size:           8
        .value_kind:     global_buffer
      - .address_space:  global
        .offset:         40
        .size:           8
        .value_kind:     global_buffer
      - .offset:         48
        .size:           4
        .value_kind:     by_value
      - .offset:         52
        .size:           4
        .value_kind:     by_value
      - .offset:         56
        .size:           4
        .value_kind:     by_value
      - .offset:         60
        .size:           1
        .value_kind:     by_value
      - .address_space:  global
        .offset:         64
        .size:           8
        .value_kind:     global_buffer
    .group_segment_fixed_size: 0
    .kernarg_segment_align: 8
    .kernarg_segment_size: 72
    .language:       OpenCL C
    .language_version:
      - 2
      - 0
    .max_flat_workgroup_size: 256
    .name:           _ZN4vllm3moe10topkGatingILi4ELi4ELi4ELi8ELi64Ej6__halfLNS0_11ScoringFuncE1EEEvPKT5_PKbPfiPT4_PiiiibPKf
    .private_segment_fixed_size: 0
    .sgpr_count:     18
    .sgpr_spill_count: 0
    .symbol:         _ZN4vllm3moe10topkGatingILi4ELi4ELi4ELi8ELi64Ej6__halfLNS0_11ScoringFuncE1EEEvPKT5_PKbPfiPT4_PiiiibPKf.kd
    .uniform_work_group_size: 1
    .uses_dynamic_stack: false
    .vgpr_count:     24
    .vgpr_spill_count: 0
    .wavefront_size: 32
    .workgroup_processor_mode: 1
  - .args:
      - .address_space:  global
        .offset:         0
        .size:           8
        .value_kind:     global_buffer
      - .address_space:  global
        .offset:         8
        .size:           8
        .value_kind:     global_buffer
      - .address_space:  global
        .offset:         16
        .size:           8
        .value_kind:     global_buffer
      - .offset:         24
        .size:           4
        .value_kind:     by_value
      - .address_space:  global
        .offset:         32
        .size:           8
        .value_kind:     global_buffer
      - .address_space:  global
        .offset:         40
        .size:           8
        .value_kind:     global_buffer
      - .offset:         48
        .size:           4
        .value_kind:     by_value
      - .offset:         52
        .size:           4
        .value_kind:     by_value
      - .offset:         56
        .size:           4
        .value_kind:     by_value
      - .offset:         60
        .size:           1
        .value_kind:     by_value
      - .address_space:  global
        .offset:         64
        .size:           8
        .value_kind:     global_buffer
    .group_segment_fixed_size: 0
    .kernarg_segment_align: 8
    .kernarg_segment_size: 72
    .language:       OpenCL C
    .language_version:
      - 2
      - 0
    .max_flat_workgroup_size: 128
    .name:           _ZN4vllm3moe10topkGatingILi4ELi4ELi4ELi8ELi32Ej6__halfLNS0_11ScoringFuncE1EEEvPKT5_PKbPfiPT4_PiiiibPKf
    .private_segment_fixed_size: 0
    .sgpr_count:     18
    .sgpr_spill_count: 0
    .symbol:         _ZN4vllm3moe10topkGatingILi4ELi4ELi4ELi8ELi32Ej6__halfLNS0_11ScoringFuncE1EEEvPKT5_PKbPfiPT4_PiiiibPKf.kd
    .uniform_work_group_size: 1
    .uses_dynamic_stack: false
    .vgpr_count:     24
    .vgpr_spill_count: 0
    .wavefront_size: 32
    .workgroup_processor_mode: 1
  - .args:
      - .address_space:  global
        .offset:         0
        .size:           8
        .value_kind:     global_buffer
      - .address_space:  global
        .offset:         8
        .size:           8
        .value_kind:     global_buffer
      - .address_space:  global
        .offset:         16
        .size:           8
        .value_kind:     global_buffer
      - .offset:         24
        .size:           4
        .value_kind:     by_value
      - .address_space:  global
        .offset:         32
        .size:           8
        .value_kind:     global_buffer
      - .address_space:  global
        .offset:         40
        .size:           8
        .value_kind:     global_buffer
      - .offset:         48
        .size:           4
        .value_kind:     by_value
      - .offset:         52
        .size:           4
        .value_kind:     by_value
      - .offset:         56
        .size:           4
        .value_kind:     by_value
      - .offset:         60
        .size:           1
        .value_kind:     by_value
      - .address_space:  global
        .offset:         64
        .size:           8
        .value_kind:     global_buffer
    .group_segment_fixed_size: 0
    .kernarg_segment_align: 8
    .kernarg_segment_size: 72
    .language:       OpenCL C
    .language_version:
      - 2
      - 0
    .max_flat_workgroup_size: 256
    .name:           _ZN4vllm3moe10topkGatingILi8ELi8ELi4ELi16ELi64Ej6__halfLNS0_11ScoringFuncE1EEEvPKT5_PKbPfiPT4_PiiiibPKf
    .private_segment_fixed_size: 0
    .sgpr_count:     19
    .sgpr_spill_count: 0
    .symbol:         _ZN4vllm3moe10topkGatingILi8ELi8ELi4ELi16ELi64Ej6__halfLNS0_11ScoringFuncE1EEEvPKT5_PKbPfiPT4_PiiiibPKf.kd
    .uniform_work_group_size: 1
    .uses_dynamic_stack: false
    .vgpr_count:     45
    .vgpr_spill_count: 0
    .wavefront_size: 32
    .workgroup_processor_mode: 1
  - .args:
      - .address_space:  global
        .offset:         0
        .size:           8
        .value_kind:     global_buffer
      - .address_space:  global
        .offset:         8
        .size:           8
        .value_kind:     global_buffer
      - .address_space:  global
        .offset:         16
        .size:           8
        .value_kind:     global_buffer
      - .offset:         24
        .size:           4
        .value_kind:     by_value
      - .address_space:  global
        .offset:         32
        .size:           8
        .value_kind:     global_buffer
      - .address_space:  global
        .offset:         40
        .size:           8
        .value_kind:     global_buffer
      - .offset:         48
        .size:           4
        .value_kind:     by_value
      - .offset:         52
        .size:           4
        .value_kind:     by_value
      - .offset:         56
        .size:           4
        .value_kind:     by_value
      - .offset:         60
        .size:           1
        .value_kind:     by_value
      - .address_space:  global
        .offset:         64
        .size:           8
        .value_kind:     global_buffer
    .group_segment_fixed_size: 0
    .kernarg_segment_align: 8
    .kernarg_segment_size: 72
    .language:       OpenCL C
    .language_version:
      - 2
      - 0
    .max_flat_workgroup_size: 128
    .name:           _ZN4vllm3moe10topkGatingILi8ELi8ELi4ELi16ELi32Ej6__halfLNS0_11ScoringFuncE1EEEvPKT5_PKbPfiPT4_PiiiibPKf
    .private_segment_fixed_size: 0
    .sgpr_count:     19
    .sgpr_spill_count: 0
    .symbol:         _ZN4vllm3moe10topkGatingILi8ELi8ELi4ELi16ELi32Ej6__halfLNS0_11ScoringFuncE1EEEvPKT5_PKbPfiPT4_PiiiibPKf.kd
    .uniform_work_group_size: 1
    .uses_dynamic_stack: false
    .vgpr_count:     45
    .vgpr_spill_count: 0
    .wavefront_size: 32
    .workgroup_processor_mode: 1
  - .args:
      - .address_space:  global
        .offset:         0
        .size:           8
        .value_kind:     global_buffer
      - .address_space:  global
        .offset:         8
        .size:           8
        .value_kind:     global_buffer
      - .address_space:  global
        .offset:         16
        .size:           8
        .value_kind:     global_buffer
      - .offset:         24
        .size:           4
        .value_kind:     by_value
      - .address_space:  global
        .offset:         32
        .size:           8
        .value_kind:     global_buffer
      - .address_space:  global
        .offset:         40
        .size:           8
        .value_kind:     global_buffer
      - .offset:         48
        .size:           4
        .value_kind:     by_value
      - .offset:         52
        .size:           4
        .value_kind:     by_value
      - .offset:         56
        .size:           4
        .value_kind:     by_value
      - .offset:         60
        .size:           1
        .value_kind:     by_value
      - .address_space:  global
        .offset:         64
        .size:           8
        .value_kind:     global_buffer
    .group_segment_fixed_size: 0
    .kernarg_segment_align: 8
    .kernarg_segment_size: 72
    .language:       OpenCL C
    .language_version:
      - 2
      - 0
    .max_flat_workgroup_size: 256
    .name:           _ZN4vllm3moe10topkGatingILi8ELi16ELi4ELi16ELi64Ej6__halfLNS0_11ScoringFuncE1EEEvPKT5_PKbPfiPT4_PiiiibPKf
    .private_segment_fixed_size: 0
    .sgpr_count:     22
    .sgpr_spill_count: 0
    .symbol:         _ZN4vllm3moe10topkGatingILi8ELi16ELi4ELi16ELi64Ej6__halfLNS0_11ScoringFuncE1EEEvPKT5_PKbPfiPT4_PiiiibPKf.kd
    .uniform_work_group_size: 1
    .uses_dynamic_stack: false
    .vgpr_count:     47
    .vgpr_spill_count: 0
    .wavefront_size: 32
    .workgroup_processor_mode: 1
  - .args:
      - .address_space:  global
        .offset:         0
        .size:           8
        .value_kind:     global_buffer
      - .address_space:  global
        .offset:         8
        .size:           8
        .value_kind:     global_buffer
      - .address_space:  global
        .offset:         16
        .size:           8
        .value_kind:     global_buffer
      - .offset:         24
        .size:           4
        .value_kind:     by_value
      - .address_space:  global
        .offset:         32
        .size:           8
        .value_kind:     global_buffer
      - .address_space:  global
        .offset:         40
        .size:           8
        .value_kind:     global_buffer
      - .offset:         48
        .size:           4
        .value_kind:     by_value
      - .offset:         52
        .size:           4
        .value_kind:     by_value
      - .offset:         56
        .size:           4
        .value_kind:     by_value
      - .offset:         60
        .size:           1
        .value_kind:     by_value
      - .address_space:  global
        .offset:         64
        .size:           8
        .value_kind:     global_buffer
    .group_segment_fixed_size: 0
    .kernarg_segment_align: 8
    .kernarg_segment_size: 72
    .language:       OpenCL C
    .language_version:
      - 2
      - 0
    .max_flat_workgroup_size: 128
    .name:           _ZN4vllm3moe10topkGatingILi8ELi16ELi4ELi16ELi32Ej6__halfLNS0_11ScoringFuncE1EEEvPKT5_PKbPfiPT4_PiiiibPKf
    .private_segment_fixed_size: 0
    .sgpr_count:     22
    .sgpr_spill_count: 0
    .symbol:         _ZN4vllm3moe10topkGatingILi8ELi16ELi4ELi16ELi32Ej6__halfLNS0_11ScoringFuncE1EEEvPKT5_PKbPfiPT4_PiiiibPKf.kd
    .uniform_work_group_size: 1
    .uses_dynamic_stack: false
    .vgpr_count:     47
    .vgpr_spill_count: 0
    .wavefront_size: 32
    .workgroup_processor_mode: 1
  - .args:
      - .address_space:  global
        .offset:         0
        .size:           8
        .value_kind:     global_buffer
      - .address_space:  global
        .offset:         8
        .size:           8
        .value_kind:     global_buffer
      - .address_space:  global
        .offset:         16
        .size:           8
        .value_kind:     global_buffer
      - .offset:         24
        .size:           4
        .value_kind:     by_value
      - .address_space:  global
        .offset:         32
        .size:           8
        .value_kind:     global_buffer
      - .address_space:  global
        .offset:         40
        .size:           8
        .value_kind:     global_buffer
      - .offset:         48
        .size:           4
        .value_kind:     by_value
      - .offset:         52
        .size:           4
        .value_kind:     by_value
      - .offset:         56
        .size:           4
        .value_kind:     by_value
      - .offset:         60
        .size:           1
        .value_kind:     by_value
      - .address_space:  global
        .offset:         64
        .size:           8
        .value_kind:     global_buffer
    .group_segment_fixed_size: 0
    .kernarg_segment_align: 8
    .kernarg_segment_size: 72
    .language:       OpenCL C
    .language_version:
      - 2
      - 0
    .max_flat_workgroup_size: 256
    .name:           _ZN4vllm3moe10topkGatingILi8ELi32ELi4ELi16ELi64Ej6__halfLNS0_11ScoringFuncE1EEEvPKT5_PKbPfiPT4_PiiiibPKf
    .private_segment_fixed_size: 0
    .sgpr_count:     22
    .sgpr_spill_count: 0
    .symbol:         _ZN4vllm3moe10topkGatingILi8ELi32ELi4ELi16ELi64Ej6__halfLNS0_11ScoringFuncE1EEEvPKT5_PKbPfiPT4_PiiiibPKf.kd
    .uniform_work_group_size: 1
    .uses_dynamic_stack: false
    .vgpr_count:     47
    .vgpr_spill_count: 0
    .wavefront_size: 32
    .workgroup_processor_mode: 1
  - .args:
      - .address_space:  global
        .offset:         0
        .size:           8
        .value_kind:     global_buffer
      - .address_space:  global
        .offset:         8
        .size:           8
        .value_kind:     global_buffer
      - .address_space:  global
        .offset:         16
        .size:           8
        .value_kind:     global_buffer
      - .offset:         24
        .size:           4
        .value_kind:     by_value
      - .address_space:  global
        .offset:         32
        .size:           8
        .value_kind:     global_buffer
      - .address_space:  global
        .offset:         40
        .size:           8
        .value_kind:     global_buffer
      - .offset:         48
        .size:           4
        .value_kind:     by_value
      - .offset:         52
        .size:           4
        .value_kind:     by_value
      - .offset:         56
        .size:           4
        .value_kind:     by_value
      - .offset:         60
        .size:           1
        .value_kind:     by_value
      - .address_space:  global
        .offset:         64
        .size:           8
        .value_kind:     global_buffer
    .group_segment_fixed_size: 0
    .kernarg_segment_align: 8
    .kernarg_segment_size: 72
    .language:       OpenCL C
    .language_version:
      - 2
      - 0
    .max_flat_workgroup_size: 128
    .name:           _ZN4vllm3moe10topkGatingILi8ELi32ELi4ELi16ELi32Ej6__halfLNS0_11ScoringFuncE1EEEvPKT5_PKbPfiPT4_PiiiibPKf
    .private_segment_fixed_size: 0
    .sgpr_count:     22
    .sgpr_spill_count: 0
    .symbol:         _ZN4vllm3moe10topkGatingILi8ELi32ELi4ELi16ELi32Ej6__halfLNS0_11ScoringFuncE1EEEvPKT5_PKbPfiPT4_PiiiibPKf.kd
    .uniform_work_group_size: 1
    .uses_dynamic_stack: false
    .vgpr_count:     47
    .vgpr_spill_count: 0
    .wavefront_size: 32
    .workgroup_processor_mode: 1
  - .args:
      - .address_space:  global
        .offset:         0
        .size:           8
        .value_kind:     global_buffer
      - .address_space:  global
        .offset:         8
        .size:           8
        .value_kind:     global_buffer
      - .address_space:  global
        .offset:         16
        .size:           8
        .value_kind:     global_buffer
      - .offset:         24
        .size:           4
        .value_kind:     by_value
      - .address_space:  global
        .offset:         32
        .size:           8
        .value_kind:     global_buffer
      - .address_space:  global
        .offset:         40
        .size:           8
        .value_kind:     global_buffer
      - .offset:         48
        .size:           4
        .value_kind:     by_value
      - .offset:         52
        .size:           4
        .value_kind:     by_value
      - .offset:         56
        .size:           4
        .value_kind:     by_value
      - .offset:         60
        .size:           1
        .value_kind:     by_value
      - .address_space:  global
        .offset:         64
        .size:           8
        .value_kind:     global_buffer
    .group_segment_fixed_size: 0
    .kernarg_segment_align: 8
    .kernarg_segment_size: 72
    .language:       OpenCL C
    .language_version:
      - 2
      - 0
    .max_flat_workgroup_size: 256
    .name:           _ZN4vllm3moe10topkGatingILi8ELi64ELi4ELi16ELi64Ej6__halfLNS0_11ScoringFuncE1EEEvPKT5_PKbPfiPT4_PiiiibPKf
    .private_segment_fixed_size: 0
    .sgpr_count:     22
    .sgpr_spill_count: 0
    .symbol:         _ZN4vllm3moe10topkGatingILi8ELi64ELi4ELi16ELi64Ej6__halfLNS0_11ScoringFuncE1EEEvPKT5_PKbPfiPT4_PiiiibPKf.kd
    .uniform_work_group_size: 1
    .uses_dynamic_stack: false
    .vgpr_count:     47
    .vgpr_spill_count: 0
    .wavefront_size: 32
    .workgroup_processor_mode: 1
  - .args:
      - .address_space:  global
        .offset:         0
        .size:           8
        .value_kind:     global_buffer
      - .address_space:  global
        .offset:         8
        .size:           8
        .value_kind:     global_buffer
      - .address_space:  global
        .offset:         16
        .size:           8
        .value_kind:     global_buffer
      - .offset:         24
        .size:           4
        .value_kind:     by_value
      - .address_space:  global
        .offset:         32
        .size:           8
        .value_kind:     global_buffer
      - .address_space:  global
        .offset:         40
        .size:           8
        .value_kind:     global_buffer
      - .offset:         48
        .size:           4
        .value_kind:     by_value
      - .offset:         52
        .size:           4
        .value_kind:     by_value
      - .offset:         56
        .size:           4
        .value_kind:     by_value
      - .offset:         60
        .size:           1
        .value_kind:     by_value
      - .address_space:  global
        .offset:         64
        .size:           8
        .value_kind:     global_buffer
    .group_segment_fixed_size: 0
    .kernarg_segment_align: 8
    .kernarg_segment_size: 72
    .language:       OpenCL C
    .language_version:
      - 2
      - 0
    .max_flat_workgroup_size: 128
    .name:           _ZN4vllm3moe10topkGatingILi8ELi64ELi4ELi16ELi32Ej6__halfLNS0_11ScoringFuncE1EEEvPKT5_PKbPfiPT4_PiiiibPKf
    .private_segment_fixed_size: 0
    .sgpr_count:     22
    .sgpr_spill_count: 0
    .symbol:         _ZN4vllm3moe10topkGatingILi8ELi64ELi4ELi16ELi32Ej6__halfLNS0_11ScoringFuncE1EEEvPKT5_PKbPfiPT4_PiiiibPKf.kd
    .uniform_work_group_size: 1
    .uses_dynamic_stack: false
    .vgpr_count:     47
    .vgpr_spill_count: 0
    .wavefront_size: 32
    .workgroup_processor_mode: 1
  - .args:
      - .address_space:  global
        .offset:         0
        .size:           8
        .value_kind:     global_buffer
      - .address_space:  global
        .offset:         8
        .size:           8
        .value_kind:     global_buffer
      - .address_space:  global
        .offset:         16
        .size:           8
        .value_kind:     global_buffer
      - .offset:         24
        .size:           4
        .value_kind:     by_value
      - .address_space:  global
        .offset:         32
        .size:           8
        .value_kind:     global_buffer
      - .address_space:  global
        .offset:         40
        .size:           8
        .value_kind:     global_buffer
      - .offset:         48
        .size:           4
        .value_kind:     by_value
      - .offset:         52
        .size:           4
        .value_kind:     by_value
      - .offset:         56
        .size:           4
        .value_kind:     by_value
      - .offset:         60
        .size:           1
        .value_kind:     by_value
      - .address_space:  global
        .offset:         64
        .size:           8
        .value_kind:     global_buffer
    .group_segment_fixed_size: 0
    .kernarg_segment_align: 8
    .kernarg_segment_size: 72
    .language:       OpenCL C
    .language_version:
      - 2
      - 0
    .max_flat_workgroup_size: 256
    .name:           _ZN4vllm3moe10topkGatingILi8ELi128ELi4ELi16ELi64Ej6__halfLNS0_11ScoringFuncE1EEEvPKT5_PKbPfiPT4_PiiiibPKf
    .private_segment_fixed_size: 0
    .sgpr_count:     22
    .sgpr_spill_count: 0
    .symbol:         _ZN4vllm3moe10topkGatingILi8ELi128ELi4ELi16ELi64Ej6__halfLNS0_11ScoringFuncE1EEEvPKT5_PKbPfiPT4_PiiiibPKf.kd
    .uniform_work_group_size: 1
    .uses_dynamic_stack: false
    .vgpr_count:     47
    .vgpr_spill_count: 0
    .wavefront_size: 32
    .workgroup_processor_mode: 1
  - .args:
      - .address_space:  global
        .offset:         0
        .size:           8
        .value_kind:     global_buffer
      - .address_space:  global
        .offset:         8
        .size:           8
        .value_kind:     global_buffer
      - .address_space:  global
        .offset:         16
        .size:           8
        .value_kind:     global_buffer
      - .offset:         24
        .size:           4
        .value_kind:     by_value
      - .address_space:  global
        .offset:         32
        .size:           8
        .value_kind:     global_buffer
      - .address_space:  global
        .offset:         40
        .size:           8
        .value_kind:     global_buffer
      - .offset:         48
        .size:           4
        .value_kind:     by_value
      - .offset:         52
        .size:           4
        .value_kind:     by_value
      - .offset:         56
        .size:           4
        .value_kind:     by_value
      - .offset:         60
        .size:           1
        .value_kind:     by_value
      - .address_space:  global
        .offset:         64
        .size:           8
        .value_kind:     global_buffer
    .group_segment_fixed_size: 0
    .kernarg_segment_align: 8
    .kernarg_segment_size: 72
    .language:       OpenCL C
    .language_version:
      - 2
      - 0
    .max_flat_workgroup_size: 128
    .name:           _ZN4vllm3moe10topkGatingILi8ELi128ELi4ELi16ELi32Ej6__halfLNS0_11ScoringFuncE1EEEvPKT5_PKbPfiPT4_PiiiibPKf
    .private_segment_fixed_size: 0
    .sgpr_count:     22
    .sgpr_spill_count: 0
    .symbol:         _ZN4vllm3moe10topkGatingILi8ELi128ELi4ELi16ELi32Ej6__halfLNS0_11ScoringFuncE1EEEvPKT5_PKbPfiPT4_PiiiibPKf.kd
    .uniform_work_group_size: 1
    .uses_dynamic_stack: false
    .vgpr_count:     47
    .vgpr_spill_count: 0
    .wavefront_size: 32
    .workgroup_processor_mode: 1
  - .args:
      - .address_space:  global
        .offset:         0
        .size:           8
        .value_kind:     global_buffer
      - .address_space:  global
        .offset:         8
        .size:           8
        .value_kind:     global_buffer
      - .address_space:  global
        .offset:         16
        .size:           8
        .value_kind:     global_buffer
      - .offset:         24
        .size:           4
        .value_kind:     by_value
      - .address_space:  global
        .offset:         32
        .size:           8
        .value_kind:     global_buffer
      - .address_space:  global
        .offset:         40
        .size:           8
        .value_kind:     global_buffer
      - .offset:         48
        .size:           4
        .value_kind:     by_value
      - .offset:         52
        .size:           4
        .value_kind:     by_value
      - .offset:         56
        .size:           4
        .value_kind:     by_value
      - .offset:         60
        .size:           1
        .value_kind:     by_value
      - .address_space:  global
        .offset:         64
        .size:           8
        .value_kind:     global_buffer
    .group_segment_fixed_size: 0
    .kernarg_segment_align: 8
    .kernarg_segment_size: 72
    .language:       OpenCL C
    .language_version:
      - 2
      - 0
    .max_flat_workgroup_size: 256
    .name:           _ZN4vllm3moe10topkGatingILi8ELi256ELi4ELi16ELi64Ej6__halfLNS0_11ScoringFuncE1EEEvPKT5_PKbPfiPT4_PiiiibPKf
    .private_segment_fixed_size: 0
    .sgpr_count:     22
    .sgpr_spill_count: 0
    .symbol:         _ZN4vllm3moe10topkGatingILi8ELi256ELi4ELi16ELi64Ej6__halfLNS0_11ScoringFuncE1EEEvPKT5_PKbPfiPT4_PiiiibPKf.kd
    .uniform_work_group_size: 1
    .uses_dynamic_stack: false
    .vgpr_count:     47
    .vgpr_spill_count: 0
    .wavefront_size: 32
    .workgroup_processor_mode: 1
  - .args:
      - .address_space:  global
        .offset:         0
        .size:           8
        .value_kind:     global_buffer
      - .address_space:  global
        .offset:         8
        .size:           8
        .value_kind:     global_buffer
      - .address_space:  global
        .offset:         16
        .size:           8
        .value_kind:     global_buffer
      - .offset:         24
        .size:           4
        .value_kind:     by_value
      - .address_space:  global
        .offset:         32
        .size:           8
        .value_kind:     global_buffer
      - .address_space:  global
        .offset:         40
        .size:           8
        .value_kind:     global_buffer
      - .offset:         48
        .size:           4
        .value_kind:     by_value
      - .offset:         52
        .size:           4
        .value_kind:     by_value
      - .offset:         56
        .size:           4
        .value_kind:     by_value
      - .offset:         60
        .size:           1
        .value_kind:     by_value
      - .address_space:  global
        .offset:         64
        .size:           8
        .value_kind:     global_buffer
    .group_segment_fixed_size: 0
    .kernarg_segment_align: 8
    .kernarg_segment_size: 72
    .language:       OpenCL C
    .language_version:
      - 2
      - 0
    .max_flat_workgroup_size: 128
    .name:           _ZN4vllm3moe10topkGatingILi8ELi256ELi4ELi16ELi32Ej6__halfLNS0_11ScoringFuncE1EEEvPKT5_PKbPfiPT4_PiiiibPKf
    .private_segment_fixed_size: 0
    .sgpr_count:     22
    .sgpr_spill_count: 0
    .symbol:         _ZN4vllm3moe10topkGatingILi8ELi256ELi4ELi16ELi32Ej6__halfLNS0_11ScoringFuncE1EEEvPKT5_PKbPfiPT4_PiiiibPKf.kd
    .uniform_work_group_size: 1
    .uses_dynamic_stack: false
    .vgpr_count:     47
    .vgpr_spill_count: 0
    .wavefront_size: 32
    .workgroup_processor_mode: 1
  - .args:
      - .address_space:  global
        .offset:         0
        .size:           8
        .value_kind:     global_buffer
      - .address_space:  global
        .offset:         8
        .size:           8
        .value_kind:     global_buffer
      - .address_space:  global
        .offset:         16
        .size:           8
        .value_kind:     global_buffer
      - .offset:         24
        .size:           4
        .value_kind:     by_value
      - .address_space:  global
        .offset:         32
        .size:           8
        .value_kind:     global_buffer
      - .address_space:  global
        .offset:         40
        .size:           8
        .value_kind:     global_buffer
      - .offset:         48
        .size:           4
        .value_kind:     by_value
      - .offset:         52
        .size:           4
        .value_kind:     by_value
      - .offset:         56
        .size:           4
        .value_kind:     by_value
      - .offset:         60
        .size:           1
        .value_kind:     by_value
      - .address_space:  global
        .offset:         64
        .size:           8
        .value_kind:     global_buffer
    .group_segment_fixed_size: 0
    .kernarg_segment_align: 8
    .kernarg_segment_size: 72
    .language:       OpenCL C
    .language_version:
      - 2
      - 0
    .max_flat_workgroup_size: 256
    .name:           _ZN4vllm3moe10topkGatingILi8ELi512ELi4ELi16ELi64Ej6__halfLNS0_11ScoringFuncE1EEEvPKT5_PKbPfiPT4_PiiiibPKf
    .private_segment_fixed_size: 0
    .sgpr_count:     22
    .sgpr_spill_count: 0
    .symbol:         _ZN4vllm3moe10topkGatingILi8ELi512ELi4ELi16ELi64Ej6__halfLNS0_11ScoringFuncE1EEEvPKT5_PKbPfiPT4_PiiiibPKf.kd
    .uniform_work_group_size: 1
    .uses_dynamic_stack: false
    .vgpr_count:     47
    .vgpr_spill_count: 0
    .wavefront_size: 32
    .workgroup_processor_mode: 1
  - .args:
      - .address_space:  global
        .offset:         0
        .size:           8
        .value_kind:     global_buffer
      - .address_space:  global
        .offset:         8
        .size:           8
        .value_kind:     global_buffer
      - .address_space:  global
        .offset:         16
        .size:           8
        .value_kind:     global_buffer
      - .offset:         24
        .size:           4
        .value_kind:     by_value
      - .address_space:  global
        .offset:         32
        .size:           8
        .value_kind:     global_buffer
      - .address_space:  global
        .offset:         40
        .size:           8
        .value_kind:     global_buffer
      - .offset:         48
        .size:           4
        .value_kind:     by_value
      - .offset:         52
        .size:           4
        .value_kind:     by_value
      - .offset:         56
        .size:           4
        .value_kind:     by_value
      - .offset:         60
        .size:           1
        .value_kind:     by_value
      - .address_space:  global
        .offset:         64
        .size:           8
        .value_kind:     global_buffer
    .group_segment_fixed_size: 0
    .kernarg_segment_align: 8
    .kernarg_segment_size: 72
    .language:       OpenCL C
    .language_version:
      - 2
      - 0
    .max_flat_workgroup_size: 128
    .name:           _ZN4vllm3moe10topkGatingILi16ELi512ELi4ELi16ELi32Ej6__halfLNS0_11ScoringFuncE1EEEvPKT5_PKbPfiPT4_PiiiibPKf
    .private_segment_fixed_size: 0
    .sgpr_count:     26
    .sgpr_spill_count: 0
    .symbol:         _ZN4vllm3moe10topkGatingILi16ELi512ELi4ELi16ELi32Ej6__halfLNS0_11ScoringFuncE1EEEvPKT5_PKbPfiPT4_PiiiibPKf.kd
    .uniform_work_group_size: 1
    .uses_dynamic_stack: false
    .vgpr_count:     91
    .vgpr_spill_count: 0
    .wavefront_size: 32
    .workgroup_processor_mode: 1
  - .args:
      - .address_space:  global
        .offset:         0
        .size:           8
        .value_kind:     global_buffer
      - .address_space:  global
        .offset:         8
        .size:           8
        .value_kind:     global_buffer
      - .address_space:  global
        .offset:         16
        .size:           8
        .value_kind:     global_buffer
      - .offset:         24
        .size:           4
        .value_kind:     by_value
      - .address_space:  global
        .offset:         32
        .size:           8
        .value_kind:     global_buffer
      - .address_space:  global
        .offset:         40
        .size:           8
        .value_kind:     global_buffer
      - .offset:         48
        .size:           4
        .value_kind:     by_value
      - .offset:         52
        .size:           4
        .value_kind:     by_value
      - .offset:         56
        .size:           4
        .value_kind:     by_value
      - .offset:         60
        .size:           1
        .value_kind:     by_value
      - .address_space:  global
        .offset:         64
        .size:           8
        .value_kind:     global_buffer
    .group_segment_fixed_size: 0
    .kernarg_segment_align: 8
    .kernarg_segment_size: 72
    .language:       OpenCL C
    .language_version:
      - 2
      - 0
    .max_flat_workgroup_size: 256
    .name:           _ZN4vllm3moe10topkGatingILi1ELi1ELi4ELi2ELi64El6__halfLNS0_11ScoringFuncE1EEEvPKT5_PKbPfiPT4_PiiiibPKf
    .private_segment_fixed_size: 0
    .sgpr_count:     18
    .sgpr_spill_count: 0
    .symbol:         _ZN4vllm3moe10topkGatingILi1ELi1ELi4ELi2ELi64El6__halfLNS0_11ScoringFuncE1EEEvPKT5_PKbPfiPT4_PiiiibPKf.kd
    .uniform_work_group_size: 1
    .uses_dynamic_stack: false
    .vgpr_count:     15
    .vgpr_spill_count: 0
    .wavefront_size: 32
    .workgroup_processor_mode: 1
  - .args:
      - .address_space:  global
        .offset:         0
        .size:           8
        .value_kind:     global_buffer
      - .address_space:  global
        .offset:         8
        .size:           8
        .value_kind:     global_buffer
      - .address_space:  global
        .offset:         16
        .size:           8
        .value_kind:     global_buffer
      - .offset:         24
        .size:           4
        .value_kind:     by_value
      - .address_space:  global
        .offset:         32
        .size:           8
        .value_kind:     global_buffer
      - .address_space:  global
        .offset:         40
        .size:           8
        .value_kind:     global_buffer
      - .offset:         48
        .size:           4
        .value_kind:     by_value
      - .offset:         52
        .size:           4
        .value_kind:     by_value
      - .offset:         56
        .size:           4
        .value_kind:     by_value
      - .offset:         60
        .size:           1
        .value_kind:     by_value
      - .address_space:  global
        .offset:         64
        .size:           8
        .value_kind:     global_buffer
    .group_segment_fixed_size: 0
    .kernarg_segment_align: 8
    .kernarg_segment_size: 72
    .language:       OpenCL C
    .language_version:
      - 2
      - 0
    .max_flat_workgroup_size: 128
    .name:           _ZN4vllm3moe10topkGatingILi1ELi1ELi4ELi2ELi32El6__halfLNS0_11ScoringFuncE1EEEvPKT5_PKbPfiPT4_PiiiibPKf
    .private_segment_fixed_size: 0
    .sgpr_count:     18
    .sgpr_spill_count: 0
    .symbol:         _ZN4vllm3moe10topkGatingILi1ELi1ELi4ELi2ELi32El6__halfLNS0_11ScoringFuncE1EEEvPKT5_PKbPfiPT4_PiiiibPKf.kd
    .uniform_work_group_size: 1
    .uses_dynamic_stack: false
    .vgpr_count:     15
    .vgpr_spill_count: 0
    .wavefront_size: 32
    .workgroup_processor_mode: 1
  - .args:
      - .address_space:  global
        .offset:         0
        .size:           8
        .value_kind:     global_buffer
      - .address_space:  global
        .offset:         8
        .size:           8
        .value_kind:     global_buffer
      - .address_space:  global
        .offset:         16
        .size:           8
        .value_kind:     global_buffer
      - .offset:         24
        .size:           4
        .value_kind:     by_value
      - .address_space:  global
        .offset:         32
        .size:           8
        .value_kind:     global_buffer
      - .address_space:  global
        .offset:         40
        .size:           8
        .value_kind:     global_buffer
      - .offset:         48
        .size:           4
        .value_kind:     by_value
      - .offset:         52
        .size:           4
        .value_kind:     by_value
      - .offset:         56
        .size:           4
        .value_kind:     by_value
      - .offset:         60
        .size:           1
        .value_kind:     by_value
      - .address_space:  global
        .offset:         64
        .size:           8
        .value_kind:     global_buffer
    .group_segment_fixed_size: 0
    .kernarg_segment_align: 8
    .kernarg_segment_size: 72
    .language:       OpenCL C
    .language_version:
      - 2
      - 0
    .max_flat_workgroup_size: 256
    .name:           _ZN4vllm3moe10topkGatingILi2ELi2ELi4ELi4ELi64El6__halfLNS0_11ScoringFuncE1EEEvPKT5_PKbPfiPT4_PiiiibPKf
    .private_segment_fixed_size: 0
    .sgpr_count:     18
    .sgpr_spill_count: 0
    .symbol:         _ZN4vllm3moe10topkGatingILi2ELi2ELi4ELi4ELi64El6__halfLNS0_11ScoringFuncE1EEEvPKT5_PKbPfiPT4_PiiiibPKf.kd
    .uniform_work_group_size: 1
    .uses_dynamic_stack: false
    .vgpr_count:     19
    .vgpr_spill_count: 0
    .wavefront_size: 32
    .workgroup_processor_mode: 1
  - .args:
      - .address_space:  global
        .offset:         0
        .size:           8
        .value_kind:     global_buffer
      - .address_space:  global
        .offset:         8
        .size:           8
        .value_kind:     global_buffer
      - .address_space:  global
        .offset:         16
        .size:           8
        .value_kind:     global_buffer
      - .offset:         24
        .size:           4
        .value_kind:     by_value
      - .address_space:  global
        .offset:         32
        .size:           8
        .value_kind:     global_buffer
      - .address_space:  global
        .offset:         40
        .size:           8
        .value_kind:     global_buffer
      - .offset:         48
        .size:           4
        .value_kind:     by_value
      - .offset:         52
        .size:           4
        .value_kind:     by_value
      - .offset:         56
        .size:           4
        .value_kind:     by_value
      - .offset:         60
        .size:           1
        .value_kind:     by_value
      - .address_space:  global
        .offset:         64
        .size:           8
        .value_kind:     global_buffer
    .group_segment_fixed_size: 0
    .kernarg_segment_align: 8
    .kernarg_segment_size: 72
    .language:       OpenCL C
    .language_version:
      - 2
      - 0
    .max_flat_workgroup_size: 128
    .name:           _ZN4vllm3moe10topkGatingILi2ELi2ELi4ELi4ELi32El6__halfLNS0_11ScoringFuncE1EEEvPKT5_PKbPfiPT4_PiiiibPKf
    .private_segment_fixed_size: 0
    .sgpr_count:     18
    .sgpr_spill_count: 0
    .symbol:         _ZN4vllm3moe10topkGatingILi2ELi2ELi4ELi4ELi32El6__halfLNS0_11ScoringFuncE1EEEvPKT5_PKbPfiPT4_PiiiibPKf.kd
    .uniform_work_group_size: 1
    .uses_dynamic_stack: false
    .vgpr_count:     19
    .vgpr_spill_count: 0
    .wavefront_size: 32
    .workgroup_processor_mode: 1
  - .args:
      - .address_space:  global
        .offset:         0
        .size:           8
        .value_kind:     global_buffer
      - .address_space:  global
        .offset:         8
        .size:           8
        .value_kind:     global_buffer
      - .address_space:  global
        .offset:         16
        .size:           8
        .value_kind:     global_buffer
      - .offset:         24
        .size:           4
        .value_kind:     by_value
      - .address_space:  global
        .offset:         32
        .size:           8
        .value_kind:     global_buffer
      - .address_space:  global
        .offset:         40
        .size:           8
        .value_kind:     global_buffer
      - .offset:         48
        .size:           4
        .value_kind:     by_value
      - .offset:         52
        .size:           4
        .value_kind:     by_value
      - .offset:         56
        .size:           4
        .value_kind:     by_value
      - .offset:         60
        .size:           1
        .value_kind:     by_value
      - .address_space:  global
        .offset:         64
        .size:           8
        .value_kind:     global_buffer
    .group_segment_fixed_size: 0
    .kernarg_segment_align: 8
    .kernarg_segment_size: 72
    .language:       OpenCL C
    .language_version:
      - 2
      - 0
    .max_flat_workgroup_size: 256
    .name:           _ZN4vllm3moe10topkGatingILi4ELi4ELi4ELi8ELi64El6__halfLNS0_11ScoringFuncE1EEEvPKT5_PKbPfiPT4_PiiiibPKf
    .private_segment_fixed_size: 0
    .sgpr_count:     18
    .sgpr_spill_count: 0
    .symbol:         _ZN4vllm3moe10topkGatingILi4ELi4ELi4ELi8ELi64El6__halfLNS0_11ScoringFuncE1EEEvPKT5_PKbPfiPT4_PiiiibPKf.kd
    .uniform_work_group_size: 1
    .uses_dynamic_stack: false
    .vgpr_count:     25
    .vgpr_spill_count: 0
    .wavefront_size: 32
    .workgroup_processor_mode: 1
  - .args:
      - .address_space:  global
        .offset:         0
        .size:           8
        .value_kind:     global_buffer
      - .address_space:  global
        .offset:         8
        .size:           8
        .value_kind:     global_buffer
      - .address_space:  global
        .offset:         16
        .size:           8
        .value_kind:     global_buffer
      - .offset:         24
        .size:           4
        .value_kind:     by_value
      - .address_space:  global
        .offset:         32
        .size:           8
        .value_kind:     global_buffer
      - .address_space:  global
        .offset:         40
        .size:           8
        .value_kind:     global_buffer
      - .offset:         48
        .size:           4
        .value_kind:     by_value
      - .offset:         52
        .size:           4
        .value_kind:     by_value
      - .offset:         56
        .size:           4
        .value_kind:     by_value
      - .offset:         60
        .size:           1
        .value_kind:     by_value
      - .address_space:  global
        .offset:         64
        .size:           8
        .value_kind:     global_buffer
    .group_segment_fixed_size: 0
    .kernarg_segment_align: 8
    .kernarg_segment_size: 72
    .language:       OpenCL C
    .language_version:
      - 2
      - 0
    .max_flat_workgroup_size: 128
    .name:           _ZN4vllm3moe10topkGatingILi4ELi4ELi4ELi8ELi32El6__halfLNS0_11ScoringFuncE1EEEvPKT5_PKbPfiPT4_PiiiibPKf
    .private_segment_fixed_size: 0
    .sgpr_count:     18
    .sgpr_spill_count: 0
    .symbol:         _ZN4vllm3moe10topkGatingILi4ELi4ELi4ELi8ELi32El6__halfLNS0_11ScoringFuncE1EEEvPKT5_PKbPfiPT4_PiiiibPKf.kd
    .uniform_work_group_size: 1
    .uses_dynamic_stack: false
    .vgpr_count:     25
    .vgpr_spill_count: 0
    .wavefront_size: 32
    .workgroup_processor_mode: 1
  - .args:
      - .address_space:  global
        .offset:         0
        .size:           8
        .value_kind:     global_buffer
      - .address_space:  global
        .offset:         8
        .size:           8
        .value_kind:     global_buffer
      - .address_space:  global
        .offset:         16
        .size:           8
        .value_kind:     global_buffer
      - .offset:         24
        .size:           4
        .value_kind:     by_value
      - .address_space:  global
        .offset:         32
        .size:           8
        .value_kind:     global_buffer
      - .address_space:  global
        .offset:         40
        .size:           8
        .value_kind:     global_buffer
      - .offset:         48
        .size:           4
        .value_kind:     by_value
      - .offset:         52
        .size:           4
        .value_kind:     by_value
      - .offset:         56
        .size:           4
        .value_kind:     by_value
      - .offset:         60
        .size:           1
        .value_kind:     by_value
      - .address_space:  global
        .offset:         64
        .size:           8
        .value_kind:     global_buffer
    .group_segment_fixed_size: 0
    .kernarg_segment_align: 8
    .kernarg_segment_size: 72
    .language:       OpenCL C
    .language_version:
      - 2
      - 0
    .max_flat_workgroup_size: 256
    .name:           _ZN4vllm3moe10topkGatingILi8ELi8ELi4ELi16ELi64El6__halfLNS0_11ScoringFuncE1EEEvPKT5_PKbPfiPT4_PiiiibPKf
    .private_segment_fixed_size: 0
    .sgpr_count:     19
    .sgpr_spill_count: 0
    .symbol:         _ZN4vllm3moe10topkGatingILi8ELi8ELi4ELi16ELi64El6__halfLNS0_11ScoringFuncE1EEEvPKT5_PKbPfiPT4_PiiiibPKf.kd
    .uniform_work_group_size: 1
    .uses_dynamic_stack: false
    .vgpr_count:     45
    .vgpr_spill_count: 0
    .wavefront_size: 32
    .workgroup_processor_mode: 1
  - .args:
      - .address_space:  global
        .offset:         0
        .size:           8
        .value_kind:     global_buffer
      - .address_space:  global
        .offset:         8
        .size:           8
        .value_kind:     global_buffer
      - .address_space:  global
        .offset:         16
        .size:           8
        .value_kind:     global_buffer
      - .offset:         24
        .size:           4
        .value_kind:     by_value
      - .address_space:  global
        .offset:         32
        .size:           8
        .value_kind:     global_buffer
      - .address_space:  global
        .offset:         40
        .size:           8
        .value_kind:     global_buffer
      - .offset:         48
        .size:           4
        .value_kind:     by_value
      - .offset:         52
        .size:           4
        .value_kind:     by_value
      - .offset:         56
        .size:           4
        .value_kind:     by_value
      - .offset:         60
        .size:           1
        .value_kind:     by_value
      - .address_space:  global
        .offset:         64
        .size:           8
        .value_kind:     global_buffer
    .group_segment_fixed_size: 0
    .kernarg_segment_align: 8
    .kernarg_segment_size: 72
    .language:       OpenCL C
    .language_version:
      - 2
      - 0
    .max_flat_workgroup_size: 128
    .name:           _ZN4vllm3moe10topkGatingILi8ELi8ELi4ELi16ELi32El6__halfLNS0_11ScoringFuncE1EEEvPKT5_PKbPfiPT4_PiiiibPKf
    .private_segment_fixed_size: 0
    .sgpr_count:     19
    .sgpr_spill_count: 0
    .symbol:         _ZN4vllm3moe10topkGatingILi8ELi8ELi4ELi16ELi32El6__halfLNS0_11ScoringFuncE1EEEvPKT5_PKbPfiPT4_PiiiibPKf.kd
    .uniform_work_group_size: 1
    .uses_dynamic_stack: false
    .vgpr_count:     45
    .vgpr_spill_count: 0
    .wavefront_size: 32
    .workgroup_processor_mode: 1
  - .args:
      - .address_space:  global
        .offset:         0
        .size:           8
        .value_kind:     global_buffer
      - .address_space:  global
        .offset:         8
        .size:           8
        .value_kind:     global_buffer
      - .address_space:  global
        .offset:         16
        .size:           8
        .value_kind:     global_buffer
      - .offset:         24
        .size:           4
        .value_kind:     by_value
      - .address_space:  global
        .offset:         32
        .size:           8
        .value_kind:     global_buffer
      - .address_space:  global
        .offset:         40
        .size:           8
        .value_kind:     global_buffer
      - .offset:         48
        .size:           4
        .value_kind:     by_value
      - .offset:         52
        .size:           4
        .value_kind:     by_value
      - .offset:         56
        .size:           4
        .value_kind:     by_value
      - .offset:         60
        .size:           1
        .value_kind:     by_value
      - .address_space:  global
        .offset:         64
        .size:           8
        .value_kind:     global_buffer
    .group_segment_fixed_size: 0
    .kernarg_segment_align: 8
    .kernarg_segment_size: 72
    .language:       OpenCL C
    .language_version:
      - 2
      - 0
    .max_flat_workgroup_size: 256
    .name:           _ZN4vllm3moe10topkGatingILi8ELi16ELi4ELi16ELi64El6__halfLNS0_11ScoringFuncE1EEEvPKT5_PKbPfiPT4_PiiiibPKf
    .private_segment_fixed_size: 0
    .sgpr_count:     22
    .sgpr_spill_count: 0
    .symbol:         _ZN4vllm3moe10topkGatingILi8ELi16ELi4ELi16ELi64El6__halfLNS0_11ScoringFuncE1EEEvPKT5_PKbPfiPT4_PiiiibPKf.kd
    .uniform_work_group_size: 1
    .uses_dynamic_stack: false
    .vgpr_count:     47
    .vgpr_spill_count: 0
    .wavefront_size: 32
    .workgroup_processor_mode: 1
  - .args:
      - .address_space:  global
        .offset:         0
        .size:           8
        .value_kind:     global_buffer
      - .address_space:  global
        .offset:         8
        .size:           8
        .value_kind:     global_buffer
      - .address_space:  global
        .offset:         16
        .size:           8
        .value_kind:     global_buffer
      - .offset:         24
        .size:           4
        .value_kind:     by_value
      - .address_space:  global
        .offset:         32
        .size:           8
        .value_kind:     global_buffer
      - .address_space:  global
        .offset:         40
        .size:           8
        .value_kind:     global_buffer
      - .offset:         48
        .size:           4
        .value_kind:     by_value
      - .offset:         52
        .size:           4
        .value_kind:     by_value
      - .offset:         56
        .size:           4
        .value_kind:     by_value
      - .offset:         60
        .size:           1
        .value_kind:     by_value
      - .address_space:  global
        .offset:         64
        .size:           8
        .value_kind:     global_buffer
    .group_segment_fixed_size: 0
    .kernarg_segment_align: 8
    .kernarg_segment_size: 72
    .language:       OpenCL C
    .language_version:
      - 2
      - 0
    .max_flat_workgroup_size: 128
    .name:           _ZN4vllm3moe10topkGatingILi8ELi16ELi4ELi16ELi32El6__halfLNS0_11ScoringFuncE1EEEvPKT5_PKbPfiPT4_PiiiibPKf
    .private_segment_fixed_size: 0
    .sgpr_count:     22
    .sgpr_spill_count: 0
    .symbol:         _ZN4vllm3moe10topkGatingILi8ELi16ELi4ELi16ELi32El6__halfLNS0_11ScoringFuncE1EEEvPKT5_PKbPfiPT4_PiiiibPKf.kd
    .uniform_work_group_size: 1
    .uses_dynamic_stack: false
    .vgpr_count:     47
    .vgpr_spill_count: 0
    .wavefront_size: 32
    .workgroup_processor_mode: 1
  - .args:
      - .address_space:  global
        .offset:         0
        .size:           8
        .value_kind:     global_buffer
      - .address_space:  global
        .offset:         8
        .size:           8
        .value_kind:     global_buffer
      - .address_space:  global
        .offset:         16
        .size:           8
        .value_kind:     global_buffer
      - .offset:         24
        .size:           4
        .value_kind:     by_value
      - .address_space:  global
        .offset:         32
        .size:           8
        .value_kind:     global_buffer
      - .address_space:  global
        .offset:         40
        .size:           8
        .value_kind:     global_buffer
      - .offset:         48
        .size:           4
        .value_kind:     by_value
      - .offset:         52
        .size:           4
        .value_kind:     by_value
      - .offset:         56
        .size:           4
        .value_kind:     by_value
      - .offset:         60
        .size:           1
        .value_kind:     by_value
      - .address_space:  global
        .offset:         64
        .size:           8
        .value_kind:     global_buffer
    .group_segment_fixed_size: 0
    .kernarg_segment_align: 8
    .kernarg_segment_size: 72
    .language:       OpenCL C
    .language_version:
      - 2
      - 0
    .max_flat_workgroup_size: 256
    .name:           _ZN4vllm3moe10topkGatingILi8ELi32ELi4ELi16ELi64El6__halfLNS0_11ScoringFuncE1EEEvPKT5_PKbPfiPT4_PiiiibPKf
    .private_segment_fixed_size: 0
    .sgpr_count:     22
    .sgpr_spill_count: 0
    .symbol:         _ZN4vllm3moe10topkGatingILi8ELi32ELi4ELi16ELi64El6__halfLNS0_11ScoringFuncE1EEEvPKT5_PKbPfiPT4_PiiiibPKf.kd
    .uniform_work_group_size: 1
    .uses_dynamic_stack: false
    .vgpr_count:     47
    .vgpr_spill_count: 0
    .wavefront_size: 32
    .workgroup_processor_mode: 1
  - .args:
      - .address_space:  global
        .offset:         0
        .size:           8
        .value_kind:     global_buffer
      - .address_space:  global
        .offset:         8
        .size:           8
        .value_kind:     global_buffer
      - .address_space:  global
        .offset:         16
        .size:           8
        .value_kind:     global_buffer
      - .offset:         24
        .size:           4
        .value_kind:     by_value
      - .address_space:  global
        .offset:         32
        .size:           8
        .value_kind:     global_buffer
      - .address_space:  global
        .offset:         40
        .size:           8
        .value_kind:     global_buffer
      - .offset:         48
        .size:           4
        .value_kind:     by_value
      - .offset:         52
        .size:           4
        .value_kind:     by_value
      - .offset:         56
        .size:           4
        .value_kind:     by_value
      - .offset:         60
        .size:           1
        .value_kind:     by_value
      - .address_space:  global
        .offset:         64
        .size:           8
        .value_kind:     global_buffer
    .group_segment_fixed_size: 0
    .kernarg_segment_align: 8
    .kernarg_segment_size: 72
    .language:       OpenCL C
    .language_version:
      - 2
      - 0
    .max_flat_workgroup_size: 128
    .name:           _ZN4vllm3moe10topkGatingILi8ELi32ELi4ELi16ELi32El6__halfLNS0_11ScoringFuncE1EEEvPKT5_PKbPfiPT4_PiiiibPKf
    .private_segment_fixed_size: 0
    .sgpr_count:     22
    .sgpr_spill_count: 0
    .symbol:         _ZN4vllm3moe10topkGatingILi8ELi32ELi4ELi16ELi32El6__halfLNS0_11ScoringFuncE1EEEvPKT5_PKbPfiPT4_PiiiibPKf.kd
    .uniform_work_group_size: 1
    .uses_dynamic_stack: false
    .vgpr_count:     47
    .vgpr_spill_count: 0
    .wavefront_size: 32
    .workgroup_processor_mode: 1
  - .args:
      - .address_space:  global
        .offset:         0
        .size:           8
        .value_kind:     global_buffer
      - .address_space:  global
        .offset:         8
        .size:           8
        .value_kind:     global_buffer
      - .address_space:  global
        .offset:         16
        .size:           8
        .value_kind:     global_buffer
      - .offset:         24
        .size:           4
        .value_kind:     by_value
      - .address_space:  global
        .offset:         32
        .size:           8
        .value_kind:     global_buffer
      - .address_space:  global
        .offset:         40
        .size:           8
        .value_kind:     global_buffer
      - .offset:         48
        .size:           4
        .value_kind:     by_value
      - .offset:         52
        .size:           4
        .value_kind:     by_value
      - .offset:         56
        .size:           4
        .value_kind:     by_value
      - .offset:         60
        .size:           1
        .value_kind:     by_value
      - .address_space:  global
        .offset:         64
        .size:           8
        .value_kind:     global_buffer
    .group_segment_fixed_size: 0
    .kernarg_segment_align: 8
    .kernarg_segment_size: 72
    .language:       OpenCL C
    .language_version:
      - 2
      - 0
    .max_flat_workgroup_size: 256
    .name:           _ZN4vllm3moe10topkGatingILi8ELi64ELi4ELi16ELi64El6__halfLNS0_11ScoringFuncE1EEEvPKT5_PKbPfiPT4_PiiiibPKf
    .private_segment_fixed_size: 0
    .sgpr_count:     22
    .sgpr_spill_count: 0
    .symbol:         _ZN4vllm3moe10topkGatingILi8ELi64ELi4ELi16ELi64El6__halfLNS0_11ScoringFuncE1EEEvPKT5_PKbPfiPT4_PiiiibPKf.kd
    .uniform_work_group_size: 1
    .uses_dynamic_stack: false
    .vgpr_count:     47
    .vgpr_spill_count: 0
    .wavefront_size: 32
    .workgroup_processor_mode: 1
  - .args:
      - .address_space:  global
        .offset:         0
        .size:           8
        .value_kind:     global_buffer
      - .address_space:  global
        .offset:         8
        .size:           8
        .value_kind:     global_buffer
      - .address_space:  global
        .offset:         16
        .size:           8
        .value_kind:     global_buffer
      - .offset:         24
        .size:           4
        .value_kind:     by_value
      - .address_space:  global
        .offset:         32
        .size:           8
        .value_kind:     global_buffer
      - .address_space:  global
        .offset:         40
        .size:           8
        .value_kind:     global_buffer
      - .offset:         48
        .size:           4
        .value_kind:     by_value
      - .offset:         52
        .size:           4
        .value_kind:     by_value
      - .offset:         56
        .size:           4
        .value_kind:     by_value
      - .offset:         60
        .size:           1
        .value_kind:     by_value
      - .address_space:  global
        .offset:         64
        .size:           8
        .value_kind:     global_buffer
    .group_segment_fixed_size: 0
    .kernarg_segment_align: 8
    .kernarg_segment_size: 72
    .language:       OpenCL C
    .language_version:
      - 2
      - 0
    .max_flat_workgroup_size: 128
    .name:           _ZN4vllm3moe10topkGatingILi8ELi64ELi4ELi16ELi32El6__halfLNS0_11ScoringFuncE1EEEvPKT5_PKbPfiPT4_PiiiibPKf
    .private_segment_fixed_size: 0
    .sgpr_count:     22
    .sgpr_spill_count: 0
    .symbol:         _ZN4vllm3moe10topkGatingILi8ELi64ELi4ELi16ELi32El6__halfLNS0_11ScoringFuncE1EEEvPKT5_PKbPfiPT4_PiiiibPKf.kd
    .uniform_work_group_size: 1
    .uses_dynamic_stack: false
    .vgpr_count:     47
    .vgpr_spill_count: 0
    .wavefront_size: 32
    .workgroup_processor_mode: 1
  - .args:
      - .address_space:  global
        .offset:         0
        .size:           8
        .value_kind:     global_buffer
      - .address_space:  global
        .offset:         8
        .size:           8
        .value_kind:     global_buffer
      - .address_space:  global
        .offset:         16
        .size:           8
        .value_kind:     global_buffer
      - .offset:         24
        .size:           4
        .value_kind:     by_value
      - .address_space:  global
        .offset:         32
        .size:           8
        .value_kind:     global_buffer
      - .address_space:  global
        .offset:         40
        .size:           8
        .value_kind:     global_buffer
      - .offset:         48
        .size:           4
        .value_kind:     by_value
      - .offset:         52
        .size:           4
        .value_kind:     by_value
      - .offset:         56
        .size:           4
        .value_kind:     by_value
      - .offset:         60
        .size:           1
        .value_kind:     by_value
      - .address_space:  global
        .offset:         64
        .size:           8
        .value_kind:     global_buffer
    .group_segment_fixed_size: 0
    .kernarg_segment_align: 8
    .kernarg_segment_size: 72
    .language:       OpenCL C
    .language_version:
      - 2
      - 0
    .max_flat_workgroup_size: 256
    .name:           _ZN4vllm3moe10topkGatingILi8ELi128ELi4ELi16ELi64El6__halfLNS0_11ScoringFuncE1EEEvPKT5_PKbPfiPT4_PiiiibPKf
    .private_segment_fixed_size: 0
    .sgpr_count:     22
    .sgpr_spill_count: 0
    .symbol:         _ZN4vllm3moe10topkGatingILi8ELi128ELi4ELi16ELi64El6__halfLNS0_11ScoringFuncE1EEEvPKT5_PKbPfiPT4_PiiiibPKf.kd
    .uniform_work_group_size: 1
    .uses_dynamic_stack: false
    .vgpr_count:     47
    .vgpr_spill_count: 0
    .wavefront_size: 32
    .workgroup_processor_mode: 1
  - .args:
      - .address_space:  global
        .offset:         0
        .size:           8
        .value_kind:     global_buffer
      - .address_space:  global
        .offset:         8
        .size:           8
        .value_kind:     global_buffer
      - .address_space:  global
        .offset:         16
        .size:           8
        .value_kind:     global_buffer
      - .offset:         24
        .size:           4
        .value_kind:     by_value
      - .address_space:  global
        .offset:         32
        .size:           8
        .value_kind:     global_buffer
      - .address_space:  global
        .offset:         40
        .size:           8
        .value_kind:     global_buffer
      - .offset:         48
        .size:           4
        .value_kind:     by_value
      - .offset:         52
        .size:           4
        .value_kind:     by_value
      - .offset:         56
        .size:           4
        .value_kind:     by_value
      - .offset:         60
        .size:           1
        .value_kind:     by_value
      - .address_space:  global
        .offset:         64
        .size:           8
        .value_kind:     global_buffer
    .group_segment_fixed_size: 0
    .kernarg_segment_align: 8
    .kernarg_segment_size: 72
    .language:       OpenCL C
    .language_version:
      - 2
      - 0
    .max_flat_workgroup_size: 128
    .name:           _ZN4vllm3moe10topkGatingILi8ELi128ELi4ELi16ELi32El6__halfLNS0_11ScoringFuncE1EEEvPKT5_PKbPfiPT4_PiiiibPKf
    .private_segment_fixed_size: 0
    .sgpr_count:     22
    .sgpr_spill_count: 0
    .symbol:         _ZN4vllm3moe10topkGatingILi8ELi128ELi4ELi16ELi32El6__halfLNS0_11ScoringFuncE1EEEvPKT5_PKbPfiPT4_PiiiibPKf.kd
    .uniform_work_group_size: 1
    .uses_dynamic_stack: false
    .vgpr_count:     47
    .vgpr_spill_count: 0
    .wavefront_size: 32
    .workgroup_processor_mode: 1
  - .args:
      - .address_space:  global
        .offset:         0
        .size:           8
        .value_kind:     global_buffer
      - .address_space:  global
        .offset:         8
        .size:           8
        .value_kind:     global_buffer
      - .address_space:  global
        .offset:         16
        .size:           8
        .value_kind:     global_buffer
      - .offset:         24
        .size:           4
        .value_kind:     by_value
      - .address_space:  global
        .offset:         32
        .size:           8
        .value_kind:     global_buffer
      - .address_space:  global
        .offset:         40
        .size:           8
        .value_kind:     global_buffer
      - .offset:         48
        .size:           4
        .value_kind:     by_value
      - .offset:         52
        .size:           4
        .value_kind:     by_value
      - .offset:         56
        .size:           4
        .value_kind:     by_value
      - .offset:         60
        .size:           1
        .value_kind:     by_value
      - .address_space:  global
        .offset:         64
        .size:           8
        .value_kind:     global_buffer
    .group_segment_fixed_size: 0
    .kernarg_segment_align: 8
    .kernarg_segment_size: 72
    .language:       OpenCL C
    .language_version:
      - 2
      - 0
    .max_flat_workgroup_size: 256
    .name:           _ZN4vllm3moe10topkGatingILi8ELi256ELi4ELi16ELi64El6__halfLNS0_11ScoringFuncE1EEEvPKT5_PKbPfiPT4_PiiiibPKf
    .private_segment_fixed_size: 0
    .sgpr_count:     22
    .sgpr_spill_count: 0
    .symbol:         _ZN4vllm3moe10topkGatingILi8ELi256ELi4ELi16ELi64El6__halfLNS0_11ScoringFuncE1EEEvPKT5_PKbPfiPT4_PiiiibPKf.kd
    .uniform_work_group_size: 1
    .uses_dynamic_stack: false
    .vgpr_count:     47
    .vgpr_spill_count: 0
    .wavefront_size: 32
    .workgroup_processor_mode: 1
  - .args:
      - .address_space:  global
        .offset:         0
        .size:           8
        .value_kind:     global_buffer
      - .address_space:  global
        .offset:         8
        .size:           8
        .value_kind:     global_buffer
      - .address_space:  global
        .offset:         16
        .size:           8
        .value_kind:     global_buffer
      - .offset:         24
        .size:           4
        .value_kind:     by_value
      - .address_space:  global
        .offset:         32
        .size:           8
        .value_kind:     global_buffer
      - .address_space:  global
        .offset:         40
        .size:           8
        .value_kind:     global_buffer
      - .offset:         48
        .size:           4
        .value_kind:     by_value
      - .offset:         52
        .size:           4
        .value_kind:     by_value
      - .offset:         56
        .size:           4
        .value_kind:     by_value
      - .offset:         60
        .size:           1
        .value_kind:     by_value
      - .address_space:  global
        .offset:         64
        .size:           8
        .value_kind:     global_buffer
    .group_segment_fixed_size: 0
    .kernarg_segment_align: 8
    .kernarg_segment_size: 72
    .language:       OpenCL C
    .language_version:
      - 2
      - 0
    .max_flat_workgroup_size: 128
    .name:           _ZN4vllm3moe10topkGatingILi8ELi256ELi4ELi16ELi32El6__halfLNS0_11ScoringFuncE1EEEvPKT5_PKbPfiPT4_PiiiibPKf
    .private_segment_fixed_size: 0
    .sgpr_count:     22
    .sgpr_spill_count: 0
    .symbol:         _ZN4vllm3moe10topkGatingILi8ELi256ELi4ELi16ELi32El6__halfLNS0_11ScoringFuncE1EEEvPKT5_PKbPfiPT4_PiiiibPKf.kd
    .uniform_work_group_size: 1
    .uses_dynamic_stack: false
    .vgpr_count:     47
    .vgpr_spill_count: 0
    .wavefront_size: 32
    .workgroup_processor_mode: 1
  - .args:
      - .address_space:  global
        .offset:         0
        .size:           8
        .value_kind:     global_buffer
      - .address_space:  global
        .offset:         8
        .size:           8
        .value_kind:     global_buffer
      - .address_space:  global
        .offset:         16
        .size:           8
        .value_kind:     global_buffer
      - .offset:         24
        .size:           4
        .value_kind:     by_value
      - .address_space:  global
        .offset:         32
        .size:           8
        .value_kind:     global_buffer
      - .address_space:  global
        .offset:         40
        .size:           8
        .value_kind:     global_buffer
      - .offset:         48
        .size:           4
        .value_kind:     by_value
      - .offset:         52
        .size:           4
        .value_kind:     by_value
      - .offset:         56
        .size:           4
        .value_kind:     by_value
      - .offset:         60
        .size:           1
        .value_kind:     by_value
      - .address_space:  global
        .offset:         64
        .size:           8
        .value_kind:     global_buffer
    .group_segment_fixed_size: 0
    .kernarg_segment_align: 8
    .kernarg_segment_size: 72
    .language:       OpenCL C
    .language_version:
      - 2
      - 0
    .max_flat_workgroup_size: 256
    .name:           _ZN4vllm3moe10topkGatingILi8ELi512ELi4ELi16ELi64El6__halfLNS0_11ScoringFuncE1EEEvPKT5_PKbPfiPT4_PiiiibPKf
    .private_segment_fixed_size: 0
    .sgpr_count:     22
    .sgpr_spill_count: 0
    .symbol:         _ZN4vllm3moe10topkGatingILi8ELi512ELi4ELi16ELi64El6__halfLNS0_11ScoringFuncE1EEEvPKT5_PKbPfiPT4_PiiiibPKf.kd
    .uniform_work_group_size: 1
    .uses_dynamic_stack: false
    .vgpr_count:     47
    .vgpr_spill_count: 0
    .wavefront_size: 32
    .workgroup_processor_mode: 1
  - .args:
      - .address_space:  global
        .offset:         0
        .size:           8
        .value_kind:     global_buffer
      - .address_space:  global
        .offset:         8
        .size:           8
        .value_kind:     global_buffer
      - .address_space:  global
        .offset:         16
        .size:           8
        .value_kind:     global_buffer
      - .offset:         24
        .size:           4
        .value_kind:     by_value
      - .address_space:  global
        .offset:         32
        .size:           8
        .value_kind:     global_buffer
      - .address_space:  global
        .offset:         40
        .size:           8
        .value_kind:     global_buffer
      - .offset:         48
        .size:           4
        .value_kind:     by_value
      - .offset:         52
        .size:           4
        .value_kind:     by_value
      - .offset:         56
        .size:           4
        .value_kind:     by_value
      - .offset:         60
        .size:           1
        .value_kind:     by_value
      - .address_space:  global
        .offset:         64
        .size:           8
        .value_kind:     global_buffer
    .group_segment_fixed_size: 0
    .kernarg_segment_align: 8
    .kernarg_segment_size: 72
    .language:       OpenCL C
    .language_version:
      - 2
      - 0
    .max_flat_workgroup_size: 128
    .name:           _ZN4vllm3moe10topkGatingILi16ELi512ELi4ELi16ELi32El6__halfLNS0_11ScoringFuncE1EEEvPKT5_PKbPfiPT4_PiiiibPKf
    .private_segment_fixed_size: 0
    .sgpr_count:     26
    .sgpr_spill_count: 0
    .symbol:         _ZN4vllm3moe10topkGatingILi16ELi512ELi4ELi16ELi32El6__halfLNS0_11ScoringFuncE1EEEvPKT5_PKbPfiPT4_PiiiibPKf.kd
    .uniform_work_group_size: 1
    .uses_dynamic_stack: false
    .vgpr_count:     91
    .vgpr_spill_count: 0
    .wavefront_size: 32
    .workgroup_processor_mode: 1
  - .args:
      - .address_space:  global
        .offset:         0
        .size:           8
        .value_kind:     global_buffer
      - .address_space:  global
        .offset:         8
        .size:           8
        .value_kind:     global_buffer
      - .address_space:  global
        .offset:         16
        .size:           8
        .value_kind:     global_buffer
      - .offset:         24
        .size:           4
        .value_kind:     by_value
      - .address_space:  global
        .offset:         32
        .size:           8
        .value_kind:     global_buffer
      - .address_space:  global
        .offset:         40
        .size:           8
        .value_kind:     global_buffer
      - .offset:         48
        .size:           4
        .value_kind:     by_value
      - .offset:         52
        .size:           4
        .value_kind:     by_value
      - .offset:         56
        .size:           4
        .value_kind:     by_value
      - .offset:         60
        .size:           1
        .value_kind:     by_value
      - .address_space:  global
        .offset:         64
        .size:           8
        .value_kind:     global_buffer
    .group_segment_fixed_size: 0
    .kernarg_segment_align: 8
    .kernarg_segment_size: 72
    .language:       OpenCL C
    .language_version:
      - 2
      - 0
    .max_flat_workgroup_size: 256
    .name:           _ZN4vllm3moe10topkGatingILi1ELi1ELi4ELi2ELi64Ei14__hip_bfloat16LNS0_11ScoringFuncE1EEEvPKT5_PKbPfiPT4_PiiiibPKf
    .private_segment_fixed_size: 0
    .sgpr_count:     22
    .sgpr_spill_count: 0
    .symbol:         _ZN4vllm3moe10topkGatingILi1ELi1ELi4ELi2ELi64Ei14__hip_bfloat16LNS0_11ScoringFuncE1EEEvPKT5_PKbPfiPT4_PiiiibPKf.kd
    .uniform_work_group_size: 1
    .uses_dynamic_stack: false
    .vgpr_count:     12
    .vgpr_spill_count: 0
    .wavefront_size: 32
    .workgroup_processor_mode: 1
  - .args:
      - .address_space:  global
        .offset:         0
        .size:           8
        .value_kind:     global_buffer
      - .address_space:  global
        .offset:         8
        .size:           8
        .value_kind:     global_buffer
      - .address_space:  global
        .offset:         16
        .size:           8
        .value_kind:     global_buffer
      - .offset:         24
        .size:           4
        .value_kind:     by_value
      - .address_space:  global
        .offset:         32
        .size:           8
        .value_kind:     global_buffer
      - .address_space:  global
        .offset:         40
        .size:           8
        .value_kind:     global_buffer
      - .offset:         48
        .size:           4
        .value_kind:     by_value
      - .offset:         52
        .size:           4
        .value_kind:     by_value
      - .offset:         56
        .size:           4
        .value_kind:     by_value
      - .offset:         60
        .size:           1
        .value_kind:     by_value
      - .address_space:  global
        .offset:         64
        .size:           8
        .value_kind:     global_buffer
    .group_segment_fixed_size: 0
    .kernarg_segment_align: 8
    .kernarg_segment_size: 72
    .language:       OpenCL C
    .language_version:
      - 2
      - 0
    .max_flat_workgroup_size: 128
    .name:           _ZN4vllm3moe10topkGatingILi1ELi1ELi4ELi2ELi32Ei14__hip_bfloat16LNS0_11ScoringFuncE1EEEvPKT5_PKbPfiPT4_PiiiibPKf
    .private_segment_fixed_size: 0
    .sgpr_count:     22
    .sgpr_spill_count: 0
    .symbol:         _ZN4vllm3moe10topkGatingILi1ELi1ELi4ELi2ELi32Ei14__hip_bfloat16LNS0_11ScoringFuncE1EEEvPKT5_PKbPfiPT4_PiiiibPKf.kd
    .uniform_work_group_size: 1
    .uses_dynamic_stack: false
    .vgpr_count:     12
    .vgpr_spill_count: 0
    .wavefront_size: 32
    .workgroup_processor_mode: 1
  - .args:
      - .address_space:  global
        .offset:         0
        .size:           8
        .value_kind:     global_buffer
      - .address_space:  global
        .offset:         8
        .size:           8
        .value_kind:     global_buffer
      - .address_space:  global
        .offset:         16
        .size:           8
        .value_kind:     global_buffer
      - .offset:         24
        .size:           4
        .value_kind:     by_value
      - .address_space:  global
        .offset:         32
        .size:           8
        .value_kind:     global_buffer
      - .address_space:  global
        .offset:         40
        .size:           8
        .value_kind:     global_buffer
      - .offset:         48
        .size:           4
        .value_kind:     by_value
      - .offset:         52
        .size:           4
        .value_kind:     by_value
      - .offset:         56
        .size:           4
        .value_kind:     by_value
      - .offset:         60
        .size:           1
        .value_kind:     by_value
      - .address_space:  global
        .offset:         64
        .size:           8
        .value_kind:     global_buffer
    .group_segment_fixed_size: 0
    .kernarg_segment_align: 8
    .kernarg_segment_size: 72
    .language:       OpenCL C
    .language_version:
      - 2
      - 0
    .max_flat_workgroup_size: 256
    .name:           _ZN4vllm3moe10topkGatingILi2ELi2ELi4ELi4ELi64Ei14__hip_bfloat16LNS0_11ScoringFuncE1EEEvPKT5_PKbPfiPT4_PiiiibPKf
    .private_segment_fixed_size: 0
    .sgpr_count:     18
    .sgpr_spill_count: 0
    .symbol:         _ZN4vllm3moe10topkGatingILi2ELi2ELi4ELi4ELi64Ei14__hip_bfloat16LNS0_11ScoringFuncE1EEEvPKT5_PKbPfiPT4_PiiiibPKf.kd
    .uniform_work_group_size: 1
    .uses_dynamic_stack: false
    .vgpr_count:     18
    .vgpr_spill_count: 0
    .wavefront_size: 32
    .workgroup_processor_mode: 1
  - .args:
      - .address_space:  global
        .offset:         0
        .size:           8
        .value_kind:     global_buffer
      - .address_space:  global
        .offset:         8
        .size:           8
        .value_kind:     global_buffer
      - .address_space:  global
        .offset:         16
        .size:           8
        .value_kind:     global_buffer
      - .offset:         24
        .size:           4
        .value_kind:     by_value
      - .address_space:  global
        .offset:         32
        .size:           8
        .value_kind:     global_buffer
      - .address_space:  global
        .offset:         40
        .size:           8
        .value_kind:     global_buffer
      - .offset:         48
        .size:           4
        .value_kind:     by_value
      - .offset:         52
        .size:           4
        .value_kind:     by_value
      - .offset:         56
        .size:           4
        .value_kind:     by_value
      - .offset:         60
        .size:           1
        .value_kind:     by_value
      - .address_space:  global
        .offset:         64
        .size:           8
        .value_kind:     global_buffer
    .group_segment_fixed_size: 0
    .kernarg_segment_align: 8
    .kernarg_segment_size: 72
    .language:       OpenCL C
    .language_version:
      - 2
      - 0
    .max_flat_workgroup_size: 128
    .name:           _ZN4vllm3moe10topkGatingILi2ELi2ELi4ELi4ELi32Ei14__hip_bfloat16LNS0_11ScoringFuncE1EEEvPKT5_PKbPfiPT4_PiiiibPKf
    .private_segment_fixed_size: 0
    .sgpr_count:     18
    .sgpr_spill_count: 0
    .symbol:         _ZN4vllm3moe10topkGatingILi2ELi2ELi4ELi4ELi32Ei14__hip_bfloat16LNS0_11ScoringFuncE1EEEvPKT5_PKbPfiPT4_PiiiibPKf.kd
    .uniform_work_group_size: 1
    .uses_dynamic_stack: false
    .vgpr_count:     18
    .vgpr_spill_count: 0
    .wavefront_size: 32
    .workgroup_processor_mode: 1
  - .args:
      - .address_space:  global
        .offset:         0
        .size:           8
        .value_kind:     global_buffer
      - .address_space:  global
        .offset:         8
        .size:           8
        .value_kind:     global_buffer
      - .address_space:  global
        .offset:         16
        .size:           8
        .value_kind:     global_buffer
      - .offset:         24
        .size:           4
        .value_kind:     by_value
      - .address_space:  global
        .offset:         32
        .size:           8
        .value_kind:     global_buffer
      - .address_space:  global
        .offset:         40
        .size:           8
        .value_kind:     global_buffer
      - .offset:         48
        .size:           4
        .value_kind:     by_value
      - .offset:         52
        .size:           4
        .value_kind:     by_value
      - .offset:         56
        .size:           4
        .value_kind:     by_value
      - .offset:         60
        .size:           1
        .value_kind:     by_value
      - .address_space:  global
        .offset:         64
        .size:           8
        .value_kind:     global_buffer
    .group_segment_fixed_size: 0
    .kernarg_segment_align: 8
    .kernarg_segment_size: 72
    .language:       OpenCL C
    .language_version:
      - 2
      - 0
    .max_flat_workgroup_size: 256
    .name:           _ZN4vllm3moe10topkGatingILi4ELi4ELi4ELi8ELi64Ei14__hip_bfloat16LNS0_11ScoringFuncE1EEEvPKT5_PKbPfiPT4_PiiiibPKf
    .private_segment_fixed_size: 0
    .sgpr_count:     18
    .sgpr_spill_count: 0
    .symbol:         _ZN4vllm3moe10topkGatingILi4ELi4ELi4ELi8ELi64Ei14__hip_bfloat16LNS0_11ScoringFuncE1EEEvPKT5_PKbPfiPT4_PiiiibPKf.kd
    .uniform_work_group_size: 1
    .uses_dynamic_stack: false
    .vgpr_count:     24
    .vgpr_spill_count: 0
    .wavefront_size: 32
    .workgroup_processor_mode: 1
  - .args:
      - .address_space:  global
        .offset:         0
        .size:           8
        .value_kind:     global_buffer
      - .address_space:  global
        .offset:         8
        .size:           8
        .value_kind:     global_buffer
      - .address_space:  global
        .offset:         16
        .size:           8
        .value_kind:     global_buffer
      - .offset:         24
        .size:           4
        .value_kind:     by_value
      - .address_space:  global
        .offset:         32
        .size:           8
        .value_kind:     global_buffer
      - .address_space:  global
        .offset:         40
        .size:           8
        .value_kind:     global_buffer
      - .offset:         48
        .size:           4
        .value_kind:     by_value
      - .offset:         52
        .size:           4
        .value_kind:     by_value
      - .offset:         56
        .size:           4
        .value_kind:     by_value
      - .offset:         60
        .size:           1
        .value_kind:     by_value
      - .address_space:  global
        .offset:         64
        .size:           8
        .value_kind:     global_buffer
    .group_segment_fixed_size: 0
    .kernarg_segment_align: 8
    .kernarg_segment_size: 72
    .language:       OpenCL C
    .language_version:
      - 2
      - 0
    .max_flat_workgroup_size: 128
    .name:           _ZN4vllm3moe10topkGatingILi4ELi4ELi4ELi8ELi32Ei14__hip_bfloat16LNS0_11ScoringFuncE1EEEvPKT5_PKbPfiPT4_PiiiibPKf
    .private_segment_fixed_size: 0
    .sgpr_count:     18
    .sgpr_spill_count: 0
    .symbol:         _ZN4vllm3moe10topkGatingILi4ELi4ELi4ELi8ELi32Ei14__hip_bfloat16LNS0_11ScoringFuncE1EEEvPKT5_PKbPfiPT4_PiiiibPKf.kd
    .uniform_work_group_size: 1
    .uses_dynamic_stack: false
    .vgpr_count:     24
    .vgpr_spill_count: 0
    .wavefront_size: 32
    .workgroup_processor_mode: 1
  - .args:
      - .address_space:  global
        .offset:         0
        .size:           8
        .value_kind:     global_buffer
      - .address_space:  global
        .offset:         8
        .size:           8
        .value_kind:     global_buffer
      - .address_space:  global
        .offset:         16
        .size:           8
        .value_kind:     global_buffer
      - .offset:         24
        .size:           4
        .value_kind:     by_value
      - .address_space:  global
        .offset:         32
        .size:           8
        .value_kind:     global_buffer
      - .address_space:  global
        .offset:         40
        .size:           8
        .value_kind:     global_buffer
      - .offset:         48
        .size:           4
        .value_kind:     by_value
      - .offset:         52
        .size:           4
        .value_kind:     by_value
      - .offset:         56
        .size:           4
        .value_kind:     by_value
      - .offset:         60
        .size:           1
        .value_kind:     by_value
      - .address_space:  global
        .offset:         64
        .size:           8
        .value_kind:     global_buffer
    .group_segment_fixed_size: 0
    .kernarg_segment_align: 8
    .kernarg_segment_size: 72
    .language:       OpenCL C
    .language_version:
      - 2
      - 0
    .max_flat_workgroup_size: 256
    .name:           _ZN4vllm3moe10topkGatingILi8ELi8ELi4ELi16ELi64Ei14__hip_bfloat16LNS0_11ScoringFuncE1EEEvPKT5_PKbPfiPT4_PiiiibPKf
    .private_segment_fixed_size: 0
    .sgpr_count:     19
    .sgpr_spill_count: 0
    .symbol:         _ZN4vllm3moe10topkGatingILi8ELi8ELi4ELi16ELi64Ei14__hip_bfloat16LNS0_11ScoringFuncE1EEEvPKT5_PKbPfiPT4_PiiiibPKf.kd
    .uniform_work_group_size: 1
    .uses_dynamic_stack: false
    .vgpr_count:     49
    .vgpr_spill_count: 0
    .wavefront_size: 32
    .workgroup_processor_mode: 1
  - .args:
      - .address_space:  global
        .offset:         0
        .size:           8
        .value_kind:     global_buffer
      - .address_space:  global
        .offset:         8
        .size:           8
        .value_kind:     global_buffer
      - .address_space:  global
        .offset:         16
        .size:           8
        .value_kind:     global_buffer
      - .offset:         24
        .size:           4
        .value_kind:     by_value
      - .address_space:  global
        .offset:         32
        .size:           8
        .value_kind:     global_buffer
      - .address_space:  global
        .offset:         40
        .size:           8
        .value_kind:     global_buffer
      - .offset:         48
        .size:           4
        .value_kind:     by_value
      - .offset:         52
        .size:           4
        .value_kind:     by_value
      - .offset:         56
        .size:           4
        .value_kind:     by_value
      - .offset:         60
        .size:           1
        .value_kind:     by_value
      - .address_space:  global
        .offset:         64
        .size:           8
        .value_kind:     global_buffer
    .group_segment_fixed_size: 0
    .kernarg_segment_align: 8
    .kernarg_segment_size: 72
    .language:       OpenCL C
    .language_version:
      - 2
      - 0
    .max_flat_workgroup_size: 128
    .name:           _ZN4vllm3moe10topkGatingILi8ELi8ELi4ELi16ELi32Ei14__hip_bfloat16LNS0_11ScoringFuncE1EEEvPKT5_PKbPfiPT4_PiiiibPKf
    .private_segment_fixed_size: 0
    .sgpr_count:     19
    .sgpr_spill_count: 0
    .symbol:         _ZN4vllm3moe10topkGatingILi8ELi8ELi4ELi16ELi32Ei14__hip_bfloat16LNS0_11ScoringFuncE1EEEvPKT5_PKbPfiPT4_PiiiibPKf.kd
    .uniform_work_group_size: 1
    .uses_dynamic_stack: false
    .vgpr_count:     49
    .vgpr_spill_count: 0
    .wavefront_size: 32
    .workgroup_processor_mode: 1
  - .args:
      - .address_space:  global
        .offset:         0
        .size:           8
        .value_kind:     global_buffer
      - .address_space:  global
        .offset:         8
        .size:           8
        .value_kind:     global_buffer
      - .address_space:  global
        .offset:         16
        .size:           8
        .value_kind:     global_buffer
      - .offset:         24
        .size:           4
        .value_kind:     by_value
      - .address_space:  global
        .offset:         32
        .size:           8
        .value_kind:     global_buffer
      - .address_space:  global
        .offset:         40
        .size:           8
        .value_kind:     global_buffer
      - .offset:         48
        .size:           4
        .value_kind:     by_value
      - .offset:         52
        .size:           4
        .value_kind:     by_value
      - .offset:         56
        .size:           4
        .value_kind:     by_value
      - .offset:         60
        .size:           1
        .value_kind:     by_value
      - .address_space:  global
        .offset:         64
        .size:           8
        .value_kind:     global_buffer
    .group_segment_fixed_size: 0
    .kernarg_segment_align: 8
    .kernarg_segment_size: 72
    .language:       OpenCL C
    .language_version:
      - 2
      - 0
    .max_flat_workgroup_size: 256
    .name:           _ZN4vllm3moe10topkGatingILi8ELi16ELi4ELi16ELi64Ei14__hip_bfloat16LNS0_11ScoringFuncE1EEEvPKT5_PKbPfiPT4_PiiiibPKf
    .private_segment_fixed_size: 0
    .sgpr_count:     22
    .sgpr_spill_count: 0
    .symbol:         _ZN4vllm3moe10topkGatingILi8ELi16ELi4ELi16ELi64Ei14__hip_bfloat16LNS0_11ScoringFuncE1EEEvPKT5_PKbPfiPT4_PiiiibPKf.kd
    .uniform_work_group_size: 1
    .uses_dynamic_stack: false
    .vgpr_count:     51
    .vgpr_spill_count: 0
    .wavefront_size: 32
    .workgroup_processor_mode: 1
  - .args:
      - .address_space:  global
        .offset:         0
        .size:           8
        .value_kind:     global_buffer
      - .address_space:  global
        .offset:         8
        .size:           8
        .value_kind:     global_buffer
      - .address_space:  global
        .offset:         16
        .size:           8
        .value_kind:     global_buffer
      - .offset:         24
        .size:           4
        .value_kind:     by_value
      - .address_space:  global
        .offset:         32
        .size:           8
        .value_kind:     global_buffer
      - .address_space:  global
        .offset:         40
        .size:           8
        .value_kind:     global_buffer
      - .offset:         48
        .size:           4
        .value_kind:     by_value
      - .offset:         52
        .size:           4
        .value_kind:     by_value
      - .offset:         56
        .size:           4
        .value_kind:     by_value
      - .offset:         60
        .size:           1
        .value_kind:     by_value
      - .address_space:  global
        .offset:         64
        .size:           8
        .value_kind:     global_buffer
    .group_segment_fixed_size: 0
    .kernarg_segment_align: 8
    .kernarg_segment_size: 72
    .language:       OpenCL C
    .language_version:
      - 2
      - 0
    .max_flat_workgroup_size: 128
    .name:           _ZN4vllm3moe10topkGatingILi8ELi16ELi4ELi16ELi32Ei14__hip_bfloat16LNS0_11ScoringFuncE1EEEvPKT5_PKbPfiPT4_PiiiibPKf
    .private_segment_fixed_size: 0
    .sgpr_count:     22
    .sgpr_spill_count: 0
    .symbol:         _ZN4vllm3moe10topkGatingILi8ELi16ELi4ELi16ELi32Ei14__hip_bfloat16LNS0_11ScoringFuncE1EEEvPKT5_PKbPfiPT4_PiiiibPKf.kd
    .uniform_work_group_size: 1
    .uses_dynamic_stack: false
    .vgpr_count:     51
    .vgpr_spill_count: 0
    .wavefront_size: 32
    .workgroup_processor_mode: 1
  - .args:
      - .address_space:  global
        .offset:         0
        .size:           8
        .value_kind:     global_buffer
      - .address_space:  global
        .offset:         8
        .size:           8
        .value_kind:     global_buffer
      - .address_space:  global
        .offset:         16
        .size:           8
        .value_kind:     global_buffer
      - .offset:         24
        .size:           4
        .value_kind:     by_value
      - .address_space:  global
        .offset:         32
        .size:           8
        .value_kind:     global_buffer
      - .address_space:  global
        .offset:         40
        .size:           8
        .value_kind:     global_buffer
      - .offset:         48
        .size:           4
        .value_kind:     by_value
      - .offset:         52
        .size:           4
        .value_kind:     by_value
      - .offset:         56
        .size:           4
        .value_kind:     by_value
      - .offset:         60
        .size:           1
        .value_kind:     by_value
      - .address_space:  global
        .offset:         64
        .size:           8
        .value_kind:     global_buffer
    .group_segment_fixed_size: 0
    .kernarg_segment_align: 8
    .kernarg_segment_size: 72
    .language:       OpenCL C
    .language_version:
      - 2
      - 0
    .max_flat_workgroup_size: 256
    .name:           _ZN4vllm3moe10topkGatingILi8ELi32ELi4ELi16ELi64Ei14__hip_bfloat16LNS0_11ScoringFuncE1EEEvPKT5_PKbPfiPT4_PiiiibPKf
    .private_segment_fixed_size: 0
    .sgpr_count:     22
    .sgpr_spill_count: 0
    .symbol:         _ZN4vllm3moe10topkGatingILi8ELi32ELi4ELi16ELi64Ei14__hip_bfloat16LNS0_11ScoringFuncE1EEEvPKT5_PKbPfiPT4_PiiiibPKf.kd
    .uniform_work_group_size: 1
    .uses_dynamic_stack: false
    .vgpr_count:     51
    .vgpr_spill_count: 0
    .wavefront_size: 32
    .workgroup_processor_mode: 1
  - .args:
      - .address_space:  global
        .offset:         0
        .size:           8
        .value_kind:     global_buffer
      - .address_space:  global
        .offset:         8
        .size:           8
        .value_kind:     global_buffer
      - .address_space:  global
        .offset:         16
        .size:           8
        .value_kind:     global_buffer
      - .offset:         24
        .size:           4
        .value_kind:     by_value
      - .address_space:  global
        .offset:         32
        .size:           8
        .value_kind:     global_buffer
      - .address_space:  global
        .offset:         40
        .size:           8
        .value_kind:     global_buffer
      - .offset:         48
        .size:           4
        .value_kind:     by_value
      - .offset:         52
        .size:           4
        .value_kind:     by_value
      - .offset:         56
        .size:           4
        .value_kind:     by_value
      - .offset:         60
        .size:           1
        .value_kind:     by_value
      - .address_space:  global
        .offset:         64
        .size:           8
        .value_kind:     global_buffer
    .group_segment_fixed_size: 0
    .kernarg_segment_align: 8
    .kernarg_segment_size: 72
    .language:       OpenCL C
    .language_version:
      - 2
      - 0
    .max_flat_workgroup_size: 128
    .name:           _ZN4vllm3moe10topkGatingILi8ELi32ELi4ELi16ELi32Ei14__hip_bfloat16LNS0_11ScoringFuncE1EEEvPKT5_PKbPfiPT4_PiiiibPKf
    .private_segment_fixed_size: 0
    .sgpr_count:     22
    .sgpr_spill_count: 0
    .symbol:         _ZN4vllm3moe10topkGatingILi8ELi32ELi4ELi16ELi32Ei14__hip_bfloat16LNS0_11ScoringFuncE1EEEvPKT5_PKbPfiPT4_PiiiibPKf.kd
    .uniform_work_group_size: 1
    .uses_dynamic_stack: false
    .vgpr_count:     51
    .vgpr_spill_count: 0
    .wavefront_size: 32
    .workgroup_processor_mode: 1
  - .args:
      - .address_space:  global
        .offset:         0
        .size:           8
        .value_kind:     global_buffer
      - .address_space:  global
        .offset:         8
        .size:           8
        .value_kind:     global_buffer
      - .address_space:  global
        .offset:         16
        .size:           8
        .value_kind:     global_buffer
      - .offset:         24
        .size:           4
        .value_kind:     by_value
      - .address_space:  global
        .offset:         32
        .size:           8
        .value_kind:     global_buffer
      - .address_space:  global
        .offset:         40
        .size:           8
        .value_kind:     global_buffer
      - .offset:         48
        .size:           4
        .value_kind:     by_value
      - .offset:         52
        .size:           4
        .value_kind:     by_value
      - .offset:         56
        .size:           4
        .value_kind:     by_value
      - .offset:         60
        .size:           1
        .value_kind:     by_value
      - .address_space:  global
        .offset:         64
        .size:           8
        .value_kind:     global_buffer
    .group_segment_fixed_size: 0
    .kernarg_segment_align: 8
    .kernarg_segment_size: 72
    .language:       OpenCL C
    .language_version:
      - 2
      - 0
    .max_flat_workgroup_size: 256
    .name:           _ZN4vllm3moe10topkGatingILi8ELi64ELi4ELi16ELi64Ei14__hip_bfloat16LNS0_11ScoringFuncE1EEEvPKT5_PKbPfiPT4_PiiiibPKf
    .private_segment_fixed_size: 0
    .sgpr_count:     22
    .sgpr_spill_count: 0
    .symbol:         _ZN4vllm3moe10topkGatingILi8ELi64ELi4ELi16ELi64Ei14__hip_bfloat16LNS0_11ScoringFuncE1EEEvPKT5_PKbPfiPT4_PiiiibPKf.kd
    .uniform_work_group_size: 1
    .uses_dynamic_stack: false
    .vgpr_count:     51
    .vgpr_spill_count: 0
    .wavefront_size: 32
    .workgroup_processor_mode: 1
  - .args:
      - .address_space:  global
        .offset:         0
        .size:           8
        .value_kind:     global_buffer
      - .address_space:  global
        .offset:         8
        .size:           8
        .value_kind:     global_buffer
      - .address_space:  global
        .offset:         16
        .size:           8
        .value_kind:     global_buffer
      - .offset:         24
        .size:           4
        .value_kind:     by_value
      - .address_space:  global
        .offset:         32
        .size:           8
        .value_kind:     global_buffer
      - .address_space:  global
        .offset:         40
        .size:           8
        .value_kind:     global_buffer
      - .offset:         48
        .size:           4
        .value_kind:     by_value
      - .offset:         52
        .size:           4
        .value_kind:     by_value
      - .offset:         56
        .size:           4
        .value_kind:     by_value
      - .offset:         60
        .size:           1
        .value_kind:     by_value
      - .address_space:  global
        .offset:         64
        .size:           8
        .value_kind:     global_buffer
    .group_segment_fixed_size: 0
    .kernarg_segment_align: 8
    .kernarg_segment_size: 72
    .language:       OpenCL C
    .language_version:
      - 2
      - 0
    .max_flat_workgroup_size: 128
    .name:           _ZN4vllm3moe10topkGatingILi8ELi64ELi4ELi16ELi32Ei14__hip_bfloat16LNS0_11ScoringFuncE1EEEvPKT5_PKbPfiPT4_PiiiibPKf
    .private_segment_fixed_size: 0
    .sgpr_count:     22
    .sgpr_spill_count: 0
    .symbol:         _ZN4vllm3moe10topkGatingILi8ELi64ELi4ELi16ELi32Ei14__hip_bfloat16LNS0_11ScoringFuncE1EEEvPKT5_PKbPfiPT4_PiiiibPKf.kd
    .uniform_work_group_size: 1
    .uses_dynamic_stack: false
    .vgpr_count:     51
    .vgpr_spill_count: 0
    .wavefront_size: 32
    .workgroup_processor_mode: 1
  - .args:
      - .address_space:  global
        .offset:         0
        .size:           8
        .value_kind:     global_buffer
      - .address_space:  global
        .offset:         8
        .size:           8
        .value_kind:     global_buffer
      - .address_space:  global
        .offset:         16
        .size:           8
        .value_kind:     global_buffer
      - .offset:         24
        .size:           4
        .value_kind:     by_value
      - .address_space:  global
        .offset:         32
        .size:           8
        .value_kind:     global_buffer
      - .address_space:  global
        .offset:         40
        .size:           8
        .value_kind:     global_buffer
      - .offset:         48
        .size:           4
        .value_kind:     by_value
      - .offset:         52
        .size:           4
        .value_kind:     by_value
      - .offset:         56
        .size:           4
        .value_kind:     by_value
      - .offset:         60
        .size:           1
        .value_kind:     by_value
      - .address_space:  global
        .offset:         64
        .size:           8
        .value_kind:     global_buffer
    .group_segment_fixed_size: 0
    .kernarg_segment_align: 8
    .kernarg_segment_size: 72
    .language:       OpenCL C
    .language_version:
      - 2
      - 0
    .max_flat_workgroup_size: 256
    .name:           _ZN4vllm3moe10topkGatingILi8ELi128ELi4ELi16ELi64Ei14__hip_bfloat16LNS0_11ScoringFuncE1EEEvPKT5_PKbPfiPT4_PiiiibPKf
    .private_segment_fixed_size: 0
    .sgpr_count:     22
    .sgpr_spill_count: 0
    .symbol:         _ZN4vllm3moe10topkGatingILi8ELi128ELi4ELi16ELi64Ei14__hip_bfloat16LNS0_11ScoringFuncE1EEEvPKT5_PKbPfiPT4_PiiiibPKf.kd
    .uniform_work_group_size: 1
    .uses_dynamic_stack: false
    .vgpr_count:     51
    .vgpr_spill_count: 0
    .wavefront_size: 32
    .workgroup_processor_mode: 1
  - .args:
      - .address_space:  global
        .offset:         0
        .size:           8
        .value_kind:     global_buffer
      - .address_space:  global
        .offset:         8
        .size:           8
        .value_kind:     global_buffer
      - .address_space:  global
        .offset:         16
        .size:           8
        .value_kind:     global_buffer
      - .offset:         24
        .size:           4
        .value_kind:     by_value
      - .address_space:  global
        .offset:         32
        .size:           8
        .value_kind:     global_buffer
      - .address_space:  global
        .offset:         40
        .size:           8
        .value_kind:     global_buffer
      - .offset:         48
        .size:           4
        .value_kind:     by_value
      - .offset:         52
        .size:           4
        .value_kind:     by_value
      - .offset:         56
        .size:           4
        .value_kind:     by_value
      - .offset:         60
        .size:           1
        .value_kind:     by_value
      - .address_space:  global
        .offset:         64
        .size:           8
        .value_kind:     global_buffer
    .group_segment_fixed_size: 0
    .kernarg_segment_align: 8
    .kernarg_segment_size: 72
    .language:       OpenCL C
    .language_version:
      - 2
      - 0
    .max_flat_workgroup_size: 128
    .name:           _ZN4vllm3moe10topkGatingILi8ELi128ELi4ELi16ELi32Ei14__hip_bfloat16LNS0_11ScoringFuncE1EEEvPKT5_PKbPfiPT4_PiiiibPKf
    .private_segment_fixed_size: 0
    .sgpr_count:     22
    .sgpr_spill_count: 0
    .symbol:         _ZN4vllm3moe10topkGatingILi8ELi128ELi4ELi16ELi32Ei14__hip_bfloat16LNS0_11ScoringFuncE1EEEvPKT5_PKbPfiPT4_PiiiibPKf.kd
    .uniform_work_group_size: 1
    .uses_dynamic_stack: false
    .vgpr_count:     51
    .vgpr_spill_count: 0
    .wavefront_size: 32
    .workgroup_processor_mode: 1
  - .args:
      - .address_space:  global
        .offset:         0
        .size:           8
        .value_kind:     global_buffer
      - .address_space:  global
        .offset:         8
        .size:           8
        .value_kind:     global_buffer
      - .address_space:  global
        .offset:         16
        .size:           8
        .value_kind:     global_buffer
      - .offset:         24
        .size:           4
        .value_kind:     by_value
      - .address_space:  global
        .offset:         32
        .size:           8
        .value_kind:     global_buffer
      - .address_space:  global
        .offset:         40
        .size:           8
        .value_kind:     global_buffer
      - .offset:         48
        .size:           4
        .value_kind:     by_value
      - .offset:         52
        .size:           4
        .value_kind:     by_value
      - .offset:         56
        .size:           4
        .value_kind:     by_value
      - .offset:         60
        .size:           1
        .value_kind:     by_value
      - .address_space:  global
        .offset:         64
        .size:           8
        .value_kind:     global_buffer
    .group_segment_fixed_size: 0
    .kernarg_segment_align: 8
    .kernarg_segment_size: 72
    .language:       OpenCL C
    .language_version:
      - 2
      - 0
    .max_flat_workgroup_size: 256
    .name:           _ZN4vllm3moe10topkGatingILi8ELi256ELi4ELi16ELi64Ei14__hip_bfloat16LNS0_11ScoringFuncE1EEEvPKT5_PKbPfiPT4_PiiiibPKf
    .private_segment_fixed_size: 0
    .sgpr_count:     22
    .sgpr_spill_count: 0
    .symbol:         _ZN4vllm3moe10topkGatingILi8ELi256ELi4ELi16ELi64Ei14__hip_bfloat16LNS0_11ScoringFuncE1EEEvPKT5_PKbPfiPT4_PiiiibPKf.kd
    .uniform_work_group_size: 1
    .uses_dynamic_stack: false
    .vgpr_count:     51
    .vgpr_spill_count: 0
    .wavefront_size: 32
    .workgroup_processor_mode: 1
  - .args:
      - .address_space:  global
        .offset:         0
        .size:           8
        .value_kind:     global_buffer
      - .address_space:  global
        .offset:         8
        .size:           8
        .value_kind:     global_buffer
      - .address_space:  global
        .offset:         16
        .size:           8
        .value_kind:     global_buffer
      - .offset:         24
        .size:           4
        .value_kind:     by_value
      - .address_space:  global
        .offset:         32
        .size:           8
        .value_kind:     global_buffer
      - .address_space:  global
        .offset:         40
        .size:           8
        .value_kind:     global_buffer
      - .offset:         48
        .size:           4
        .value_kind:     by_value
      - .offset:         52
        .size:           4
        .value_kind:     by_value
      - .offset:         56
        .size:           4
        .value_kind:     by_value
      - .offset:         60
        .size:           1
        .value_kind:     by_value
      - .address_space:  global
        .offset:         64
        .size:           8
        .value_kind:     global_buffer
    .group_segment_fixed_size: 0
    .kernarg_segment_align: 8
    .kernarg_segment_size: 72
    .language:       OpenCL C
    .language_version:
      - 2
      - 0
    .max_flat_workgroup_size: 128
    .name:           _ZN4vllm3moe10topkGatingILi8ELi256ELi4ELi16ELi32Ei14__hip_bfloat16LNS0_11ScoringFuncE1EEEvPKT5_PKbPfiPT4_PiiiibPKf
    .private_segment_fixed_size: 0
    .sgpr_count:     22
    .sgpr_spill_count: 0
    .symbol:         _ZN4vllm3moe10topkGatingILi8ELi256ELi4ELi16ELi32Ei14__hip_bfloat16LNS0_11ScoringFuncE1EEEvPKT5_PKbPfiPT4_PiiiibPKf.kd
    .uniform_work_group_size: 1
    .uses_dynamic_stack: false
    .vgpr_count:     51
    .vgpr_spill_count: 0
    .wavefront_size: 32
    .workgroup_processor_mode: 1
  - .args:
      - .address_space:  global
        .offset:         0
        .size:           8
        .value_kind:     global_buffer
      - .address_space:  global
        .offset:         8
        .size:           8
        .value_kind:     global_buffer
      - .address_space:  global
        .offset:         16
        .size:           8
        .value_kind:     global_buffer
      - .offset:         24
        .size:           4
        .value_kind:     by_value
      - .address_space:  global
        .offset:         32
        .size:           8
        .value_kind:     global_buffer
      - .address_space:  global
        .offset:         40
        .size:           8
        .value_kind:     global_buffer
      - .offset:         48
        .size:           4
        .value_kind:     by_value
      - .offset:         52
        .size:           4
        .value_kind:     by_value
      - .offset:         56
        .size:           4
        .value_kind:     by_value
      - .offset:         60
        .size:           1
        .value_kind:     by_value
      - .address_space:  global
        .offset:         64
        .size:           8
        .value_kind:     global_buffer
    .group_segment_fixed_size: 0
    .kernarg_segment_align: 8
    .kernarg_segment_size: 72
    .language:       OpenCL C
    .language_version:
      - 2
      - 0
    .max_flat_workgroup_size: 256
    .name:           _ZN4vllm3moe10topkGatingILi8ELi512ELi4ELi16ELi64Ei14__hip_bfloat16LNS0_11ScoringFuncE1EEEvPKT5_PKbPfiPT4_PiiiibPKf
    .private_segment_fixed_size: 0
    .sgpr_count:     22
    .sgpr_spill_count: 0
    .symbol:         _ZN4vllm3moe10topkGatingILi8ELi512ELi4ELi16ELi64Ei14__hip_bfloat16LNS0_11ScoringFuncE1EEEvPKT5_PKbPfiPT4_PiiiibPKf.kd
    .uniform_work_group_size: 1
    .uses_dynamic_stack: false
    .vgpr_count:     51
    .vgpr_spill_count: 0
    .wavefront_size: 32
    .workgroup_processor_mode: 1
  - .args:
      - .address_space:  global
        .offset:         0
        .size:           8
        .value_kind:     global_buffer
      - .address_space:  global
        .offset:         8
        .size:           8
        .value_kind:     global_buffer
      - .address_space:  global
        .offset:         16
        .size:           8
        .value_kind:     global_buffer
      - .offset:         24
        .size:           4
        .value_kind:     by_value
      - .address_space:  global
        .offset:         32
        .size:           8
        .value_kind:     global_buffer
      - .address_space:  global
        .offset:         40
        .size:           8
        .value_kind:     global_buffer
      - .offset:         48
        .size:           4
        .value_kind:     by_value
      - .offset:         52
        .size:           4
        .value_kind:     by_value
      - .offset:         56
        .size:           4
        .value_kind:     by_value
      - .offset:         60
        .size:           1
        .value_kind:     by_value
      - .address_space:  global
        .offset:         64
        .size:           8
        .value_kind:     global_buffer
    .group_segment_fixed_size: 0
    .kernarg_segment_align: 8
    .kernarg_segment_size: 72
    .language:       OpenCL C
    .language_version:
      - 2
      - 0
    .max_flat_workgroup_size: 128
    .name:           _ZN4vllm3moe10topkGatingILi16ELi512ELi4ELi16ELi32Ei14__hip_bfloat16LNS0_11ScoringFuncE1EEEvPKT5_PKbPfiPT4_PiiiibPKf
    .private_segment_fixed_size: 0
    .sgpr_count:     26
    .sgpr_spill_count: 0
    .symbol:         _ZN4vllm3moe10topkGatingILi16ELi512ELi4ELi16ELi32Ei14__hip_bfloat16LNS0_11ScoringFuncE1EEEvPKT5_PKbPfiPT4_PiiiibPKf.kd
    .uniform_work_group_size: 1
    .uses_dynamic_stack: false
    .vgpr_count:     92
    .vgpr_spill_count: 0
    .wavefront_size: 32
    .workgroup_processor_mode: 1
  - .args:
      - .address_space:  global
        .offset:         0
        .size:           8
        .value_kind:     global_buffer
      - .address_space:  global
        .offset:         8
        .size:           8
        .value_kind:     global_buffer
      - .address_space:  global
        .offset:         16
        .size:           8
        .value_kind:     global_buffer
      - .offset:         24
        .size:           4
        .value_kind:     by_value
    .group_segment_fixed_size: 0
    .kernarg_segment_align: 8
    .kernarg_segment_size: 28
    .language:       OpenCL C
    .language_version:
      - 2
      - 0
    .max_flat_workgroup_size: 256
    .name:           _ZN4vllm3moe10moeSigmoidILi256E14__hip_bfloat16EEvPKT0_PKbPfi
    .private_segment_fixed_size: 0
    .sgpr_count:     18
    .sgpr_spill_count: 0
    .symbol:         _ZN4vllm3moe10moeSigmoidILi256E14__hip_bfloat16EEvPKT0_PKbPfi.kd
    .uniform_work_group_size: 1
    .uses_dynamic_stack: false
    .vgpr_count:     11
    .vgpr_spill_count: 0
    .wavefront_size: 32
    .workgroup_processor_mode: 1
  - .args:
      - .address_space:  global
        .offset:         0
        .size:           8
        .value_kind:     global_buffer
      - .address_space:  global
        .offset:         8
        .size:           8
        .value_kind:     global_buffer
      - .address_space:  global
        .offset:         16
        .size:           8
        .value_kind:     global_buffer
      - .offset:         24
        .size:           4
        .value_kind:     by_value
      - .address_space:  global
        .offset:         32
        .size:           8
        .value_kind:     global_buffer
      - .address_space:  global
        .offset:         40
        .size:           8
        .value_kind:     global_buffer
      - .offset:         48
        .size:           4
        .value_kind:     by_value
      - .offset:         52
        .size:           4
        .value_kind:     by_value
      - .offset:         56
        .size:           4
        .value_kind:     by_value
      - .offset:         60
        .size:           1
        .value_kind:     by_value
      - .address_space:  global
        .offset:         64
        .size:           8
        .value_kind:     global_buffer
    .group_segment_fixed_size: 0
    .kernarg_segment_align: 8
    .kernarg_segment_size: 72
    .language:       OpenCL C
    .language_version:
      - 2
      - 0
    .max_flat_workgroup_size: 256
    .name:           _ZN4vllm3moe10topkGatingILi1ELi1ELi4ELi2ELi64Ej14__hip_bfloat16LNS0_11ScoringFuncE1EEEvPKT5_PKbPfiPT4_PiiiibPKf
    .private_segment_fixed_size: 0
    .sgpr_count:     22
    .sgpr_spill_count: 0
    .symbol:         _ZN4vllm3moe10topkGatingILi1ELi1ELi4ELi2ELi64Ej14__hip_bfloat16LNS0_11ScoringFuncE1EEEvPKT5_PKbPfiPT4_PiiiibPKf.kd
    .uniform_work_group_size: 1
    .uses_dynamic_stack: false
    .vgpr_count:     12
    .vgpr_spill_count: 0
    .wavefront_size: 32
    .workgroup_processor_mode: 1
  - .args:
      - .address_space:  global
        .offset:         0
        .size:           8
        .value_kind:     global_buffer
      - .address_space:  global
        .offset:         8
        .size:           8
        .value_kind:     global_buffer
      - .address_space:  global
        .offset:         16
        .size:           8
        .value_kind:     global_buffer
      - .offset:         24
        .size:           4
        .value_kind:     by_value
      - .address_space:  global
        .offset:         32
        .size:           8
        .value_kind:     global_buffer
      - .address_space:  global
        .offset:         40
        .size:           8
        .value_kind:     global_buffer
      - .offset:         48
        .size:           4
        .value_kind:     by_value
      - .offset:         52
        .size:           4
        .value_kind:     by_value
      - .offset:         56
        .size:           4
        .value_kind:     by_value
      - .offset:         60
        .size:           1
        .value_kind:     by_value
      - .address_space:  global
        .offset:         64
        .size:           8
        .value_kind:     global_buffer
    .group_segment_fixed_size: 0
    .kernarg_segment_align: 8
    .kernarg_segment_size: 72
    .language:       OpenCL C
    .language_version:
      - 2
      - 0
    .max_flat_workgroup_size: 128
    .name:           _ZN4vllm3moe10topkGatingILi1ELi1ELi4ELi2ELi32Ej14__hip_bfloat16LNS0_11ScoringFuncE1EEEvPKT5_PKbPfiPT4_PiiiibPKf
    .private_segment_fixed_size: 0
    .sgpr_count:     22
    .sgpr_spill_count: 0
    .symbol:         _ZN4vllm3moe10topkGatingILi1ELi1ELi4ELi2ELi32Ej14__hip_bfloat16LNS0_11ScoringFuncE1EEEvPKT5_PKbPfiPT4_PiiiibPKf.kd
    .uniform_work_group_size: 1
    .uses_dynamic_stack: false
    .vgpr_count:     12
    .vgpr_spill_count: 0
    .wavefront_size: 32
    .workgroup_processor_mode: 1
  - .args:
      - .address_space:  global
        .offset:         0
        .size:           8
        .value_kind:     global_buffer
      - .address_space:  global
        .offset:         8
        .size:           8
        .value_kind:     global_buffer
      - .address_space:  global
        .offset:         16
        .size:           8
        .value_kind:     global_buffer
      - .offset:         24
        .size:           4
        .value_kind:     by_value
      - .address_space:  global
        .offset:         32
        .size:           8
        .value_kind:     global_buffer
      - .address_space:  global
        .offset:         40
        .size:           8
        .value_kind:     global_buffer
      - .offset:         48
        .size:           4
        .value_kind:     by_value
      - .offset:         52
        .size:           4
        .value_kind:     by_value
      - .offset:         56
        .size:           4
        .value_kind:     by_value
      - .offset:         60
        .size:           1
        .value_kind:     by_value
      - .address_space:  global
        .offset:         64
        .size:           8
        .value_kind:     global_buffer
    .group_segment_fixed_size: 0
    .kernarg_segment_align: 8
    .kernarg_segment_size: 72
    .language:       OpenCL C
    .language_version:
      - 2
      - 0
    .max_flat_workgroup_size: 256
    .name:           _ZN4vllm3moe10topkGatingILi2ELi2ELi4ELi4ELi64Ej14__hip_bfloat16LNS0_11ScoringFuncE1EEEvPKT5_PKbPfiPT4_PiiiibPKf
    .private_segment_fixed_size: 0
    .sgpr_count:     18
    .sgpr_spill_count: 0
    .symbol:         _ZN4vllm3moe10topkGatingILi2ELi2ELi4ELi4ELi64Ej14__hip_bfloat16LNS0_11ScoringFuncE1EEEvPKT5_PKbPfiPT4_PiiiibPKf.kd
    .uniform_work_group_size: 1
    .uses_dynamic_stack: false
    .vgpr_count:     18
    .vgpr_spill_count: 0
    .wavefront_size: 32
    .workgroup_processor_mode: 1
  - .args:
      - .address_space:  global
        .offset:         0
        .size:           8
        .value_kind:     global_buffer
      - .address_space:  global
        .offset:         8
        .size:           8
        .value_kind:     global_buffer
      - .address_space:  global
        .offset:         16
        .size:           8
        .value_kind:     global_buffer
      - .offset:         24
        .size:           4
        .value_kind:     by_value
      - .address_space:  global
        .offset:         32
        .size:           8
        .value_kind:     global_buffer
      - .address_space:  global
        .offset:         40
        .size:           8
        .value_kind:     global_buffer
      - .offset:         48
        .size:           4
        .value_kind:     by_value
      - .offset:         52
        .size:           4
        .value_kind:     by_value
      - .offset:         56
        .size:           4
        .value_kind:     by_value
      - .offset:         60
        .size:           1
        .value_kind:     by_value
      - .address_space:  global
        .offset:         64
        .size:           8
        .value_kind:     global_buffer
    .group_segment_fixed_size: 0
    .kernarg_segment_align: 8
    .kernarg_segment_size: 72
    .language:       OpenCL C
    .language_version:
      - 2
      - 0
    .max_flat_workgroup_size: 128
    .name:           _ZN4vllm3moe10topkGatingILi2ELi2ELi4ELi4ELi32Ej14__hip_bfloat16LNS0_11ScoringFuncE1EEEvPKT5_PKbPfiPT4_PiiiibPKf
    .private_segment_fixed_size: 0
    .sgpr_count:     18
    .sgpr_spill_count: 0
    .symbol:         _ZN4vllm3moe10topkGatingILi2ELi2ELi4ELi4ELi32Ej14__hip_bfloat16LNS0_11ScoringFuncE1EEEvPKT5_PKbPfiPT4_PiiiibPKf.kd
    .uniform_work_group_size: 1
    .uses_dynamic_stack: false
    .vgpr_count:     18
    .vgpr_spill_count: 0
    .wavefront_size: 32
    .workgroup_processor_mode: 1
  - .args:
      - .address_space:  global
        .offset:         0
        .size:           8
        .value_kind:     global_buffer
      - .address_space:  global
        .offset:         8
        .size:           8
        .value_kind:     global_buffer
      - .address_space:  global
        .offset:         16
        .size:           8
        .value_kind:     global_buffer
      - .offset:         24
        .size:           4
        .value_kind:     by_value
      - .address_space:  global
        .offset:         32
        .size:           8
        .value_kind:     global_buffer
      - .address_space:  global
        .offset:         40
        .size:           8
        .value_kind:     global_buffer
      - .offset:         48
        .size:           4
        .value_kind:     by_value
      - .offset:         52
        .size:           4
        .value_kind:     by_value
      - .offset:         56
        .size:           4
        .value_kind:     by_value
      - .offset:         60
        .size:           1
        .value_kind:     by_value
      - .address_space:  global
        .offset:         64
        .size:           8
        .value_kind:     global_buffer
    .group_segment_fixed_size: 0
    .kernarg_segment_align: 8
    .kernarg_segment_size: 72
    .language:       OpenCL C
    .language_version:
      - 2
      - 0
    .max_flat_workgroup_size: 256
    .name:           _ZN4vllm3moe10topkGatingILi4ELi4ELi4ELi8ELi64Ej14__hip_bfloat16LNS0_11ScoringFuncE1EEEvPKT5_PKbPfiPT4_PiiiibPKf
    .private_segment_fixed_size: 0
    .sgpr_count:     18
    .sgpr_spill_count: 0
    .symbol:         _ZN4vllm3moe10topkGatingILi4ELi4ELi4ELi8ELi64Ej14__hip_bfloat16LNS0_11ScoringFuncE1EEEvPKT5_PKbPfiPT4_PiiiibPKf.kd
    .uniform_work_group_size: 1
    .uses_dynamic_stack: false
    .vgpr_count:     24
    .vgpr_spill_count: 0
    .wavefront_size: 32
    .workgroup_processor_mode: 1
  - .args:
      - .address_space:  global
        .offset:         0
        .size:           8
        .value_kind:     global_buffer
      - .address_space:  global
        .offset:         8
        .size:           8
        .value_kind:     global_buffer
      - .address_space:  global
        .offset:         16
        .size:           8
        .value_kind:     global_buffer
      - .offset:         24
        .size:           4
        .value_kind:     by_value
      - .address_space:  global
        .offset:         32
        .size:           8
        .value_kind:     global_buffer
      - .address_space:  global
        .offset:         40
        .size:           8
        .value_kind:     global_buffer
      - .offset:         48
        .size:           4
        .value_kind:     by_value
      - .offset:         52
        .size:           4
        .value_kind:     by_value
      - .offset:         56
        .size:           4
        .value_kind:     by_value
      - .offset:         60
        .size:           1
        .value_kind:     by_value
      - .address_space:  global
        .offset:         64
        .size:           8
        .value_kind:     global_buffer
    .group_segment_fixed_size: 0
    .kernarg_segment_align: 8
    .kernarg_segment_size: 72
    .language:       OpenCL C
    .language_version:
      - 2
      - 0
    .max_flat_workgroup_size: 128
    .name:           _ZN4vllm3moe10topkGatingILi4ELi4ELi4ELi8ELi32Ej14__hip_bfloat16LNS0_11ScoringFuncE1EEEvPKT5_PKbPfiPT4_PiiiibPKf
    .private_segment_fixed_size: 0
    .sgpr_count:     18
    .sgpr_spill_count: 0
    .symbol:         _ZN4vllm3moe10topkGatingILi4ELi4ELi4ELi8ELi32Ej14__hip_bfloat16LNS0_11ScoringFuncE1EEEvPKT5_PKbPfiPT4_PiiiibPKf.kd
    .uniform_work_group_size: 1
    .uses_dynamic_stack: false
    .vgpr_count:     24
    .vgpr_spill_count: 0
    .wavefront_size: 32
    .workgroup_processor_mode: 1
  - .args:
      - .address_space:  global
        .offset:         0
        .size:           8
        .value_kind:     global_buffer
      - .address_space:  global
        .offset:         8
        .size:           8
        .value_kind:     global_buffer
      - .address_space:  global
        .offset:         16
        .size:           8
        .value_kind:     global_buffer
      - .offset:         24
        .size:           4
        .value_kind:     by_value
      - .address_space:  global
        .offset:         32
        .size:           8
        .value_kind:     global_buffer
      - .address_space:  global
        .offset:         40
        .size:           8
        .value_kind:     global_buffer
      - .offset:         48
        .size:           4
        .value_kind:     by_value
      - .offset:         52
        .size:           4
        .value_kind:     by_value
      - .offset:         56
        .size:           4
        .value_kind:     by_value
      - .offset:         60
        .size:           1
        .value_kind:     by_value
      - .address_space:  global
        .offset:         64
        .size:           8
        .value_kind:     global_buffer
    .group_segment_fixed_size: 0
    .kernarg_segment_align: 8
    .kernarg_segment_size: 72
    .language:       OpenCL C
    .language_version:
      - 2
      - 0
    .max_flat_workgroup_size: 256
    .name:           _ZN4vllm3moe10topkGatingILi8ELi8ELi4ELi16ELi64Ej14__hip_bfloat16LNS0_11ScoringFuncE1EEEvPKT5_PKbPfiPT4_PiiiibPKf
    .private_segment_fixed_size: 0
    .sgpr_count:     19
    .sgpr_spill_count: 0
    .symbol:         _ZN4vllm3moe10topkGatingILi8ELi8ELi4ELi16ELi64Ej14__hip_bfloat16LNS0_11ScoringFuncE1EEEvPKT5_PKbPfiPT4_PiiiibPKf.kd
    .uniform_work_group_size: 1
    .uses_dynamic_stack: false
    .vgpr_count:     49
    .vgpr_spill_count: 0
    .wavefront_size: 32
    .workgroup_processor_mode: 1
  - .args:
      - .address_space:  global
        .offset:         0
        .size:           8
        .value_kind:     global_buffer
      - .address_space:  global
        .offset:         8
        .size:           8
        .value_kind:     global_buffer
      - .address_space:  global
        .offset:         16
        .size:           8
        .value_kind:     global_buffer
      - .offset:         24
        .size:           4
        .value_kind:     by_value
      - .address_space:  global
        .offset:         32
        .size:           8
        .value_kind:     global_buffer
      - .address_space:  global
        .offset:         40
        .size:           8
        .value_kind:     global_buffer
      - .offset:         48
        .size:           4
        .value_kind:     by_value
      - .offset:         52
        .size:           4
        .value_kind:     by_value
      - .offset:         56
        .size:           4
        .value_kind:     by_value
      - .offset:         60
        .size:           1
        .value_kind:     by_value
      - .address_space:  global
        .offset:         64
        .size:           8
        .value_kind:     global_buffer
    .group_segment_fixed_size: 0
    .kernarg_segment_align: 8
    .kernarg_segment_size: 72
    .language:       OpenCL C
    .language_version:
      - 2
      - 0
    .max_flat_workgroup_size: 128
    .name:           _ZN4vllm3moe10topkGatingILi8ELi8ELi4ELi16ELi32Ej14__hip_bfloat16LNS0_11ScoringFuncE1EEEvPKT5_PKbPfiPT4_PiiiibPKf
    .private_segment_fixed_size: 0
    .sgpr_count:     19
    .sgpr_spill_count: 0
    .symbol:         _ZN4vllm3moe10topkGatingILi8ELi8ELi4ELi16ELi32Ej14__hip_bfloat16LNS0_11ScoringFuncE1EEEvPKT5_PKbPfiPT4_PiiiibPKf.kd
    .uniform_work_group_size: 1
    .uses_dynamic_stack: false
    .vgpr_count:     49
    .vgpr_spill_count: 0
    .wavefront_size: 32
    .workgroup_processor_mode: 1
  - .args:
      - .address_space:  global
        .offset:         0
        .size:           8
        .value_kind:     global_buffer
      - .address_space:  global
        .offset:         8
        .size:           8
        .value_kind:     global_buffer
      - .address_space:  global
        .offset:         16
        .size:           8
        .value_kind:     global_buffer
      - .offset:         24
        .size:           4
        .value_kind:     by_value
      - .address_space:  global
        .offset:         32
        .size:           8
        .value_kind:     global_buffer
      - .address_space:  global
        .offset:         40
        .size:           8
        .value_kind:     global_buffer
      - .offset:         48
        .size:           4
        .value_kind:     by_value
      - .offset:         52
        .size:           4
        .value_kind:     by_value
      - .offset:         56
        .size:           4
        .value_kind:     by_value
      - .offset:         60
        .size:           1
        .value_kind:     by_value
      - .address_space:  global
        .offset:         64
        .size:           8
        .value_kind:     global_buffer
    .group_segment_fixed_size: 0
    .kernarg_segment_align: 8
    .kernarg_segment_size: 72
    .language:       OpenCL C
    .language_version:
      - 2
      - 0
    .max_flat_workgroup_size: 256
    .name:           _ZN4vllm3moe10topkGatingILi8ELi16ELi4ELi16ELi64Ej14__hip_bfloat16LNS0_11ScoringFuncE1EEEvPKT5_PKbPfiPT4_PiiiibPKf
    .private_segment_fixed_size: 0
    .sgpr_count:     22
    .sgpr_spill_count: 0
    .symbol:         _ZN4vllm3moe10topkGatingILi8ELi16ELi4ELi16ELi64Ej14__hip_bfloat16LNS0_11ScoringFuncE1EEEvPKT5_PKbPfiPT4_PiiiibPKf.kd
    .uniform_work_group_size: 1
    .uses_dynamic_stack: false
    .vgpr_count:     51
    .vgpr_spill_count: 0
    .wavefront_size: 32
    .workgroup_processor_mode: 1
  - .args:
      - .address_space:  global
        .offset:         0
        .size:           8
        .value_kind:     global_buffer
      - .address_space:  global
        .offset:         8
        .size:           8
        .value_kind:     global_buffer
      - .address_space:  global
        .offset:         16
        .size:           8
        .value_kind:     global_buffer
      - .offset:         24
        .size:           4
        .value_kind:     by_value
      - .address_space:  global
        .offset:         32
        .size:           8
        .value_kind:     global_buffer
      - .address_space:  global
        .offset:         40
        .size:           8
        .value_kind:     global_buffer
      - .offset:         48
        .size:           4
        .value_kind:     by_value
      - .offset:         52
        .size:           4
        .value_kind:     by_value
      - .offset:         56
        .size:           4
        .value_kind:     by_value
      - .offset:         60
        .size:           1
        .value_kind:     by_value
      - .address_space:  global
        .offset:         64
        .size:           8
        .value_kind:     global_buffer
    .group_segment_fixed_size: 0
    .kernarg_segment_align: 8
    .kernarg_segment_size: 72
    .language:       OpenCL C
    .language_version:
      - 2
      - 0
    .max_flat_workgroup_size: 128
    .name:           _ZN4vllm3moe10topkGatingILi8ELi16ELi4ELi16ELi32Ej14__hip_bfloat16LNS0_11ScoringFuncE1EEEvPKT5_PKbPfiPT4_PiiiibPKf
    .private_segment_fixed_size: 0
    .sgpr_count:     22
    .sgpr_spill_count: 0
    .symbol:         _ZN4vllm3moe10topkGatingILi8ELi16ELi4ELi16ELi32Ej14__hip_bfloat16LNS0_11ScoringFuncE1EEEvPKT5_PKbPfiPT4_PiiiibPKf.kd
    .uniform_work_group_size: 1
    .uses_dynamic_stack: false
    .vgpr_count:     51
    .vgpr_spill_count: 0
    .wavefront_size: 32
    .workgroup_processor_mode: 1
  - .args:
      - .address_space:  global
        .offset:         0
        .size:           8
        .value_kind:     global_buffer
      - .address_space:  global
        .offset:         8
        .size:           8
        .value_kind:     global_buffer
      - .address_space:  global
        .offset:         16
        .size:           8
        .value_kind:     global_buffer
      - .offset:         24
        .size:           4
        .value_kind:     by_value
      - .address_space:  global
        .offset:         32
        .size:           8
        .value_kind:     global_buffer
      - .address_space:  global
        .offset:         40
        .size:           8
        .value_kind:     global_buffer
      - .offset:         48
        .size:           4
        .value_kind:     by_value
      - .offset:         52
        .size:           4
        .value_kind:     by_value
      - .offset:         56
        .size:           4
        .value_kind:     by_value
      - .offset:         60
        .size:           1
        .value_kind:     by_value
      - .address_space:  global
        .offset:         64
        .size:           8
        .value_kind:     global_buffer
    .group_segment_fixed_size: 0
    .kernarg_segment_align: 8
    .kernarg_segment_size: 72
    .language:       OpenCL C
    .language_version:
      - 2
      - 0
    .max_flat_workgroup_size: 256
    .name:           _ZN4vllm3moe10topkGatingILi8ELi32ELi4ELi16ELi64Ej14__hip_bfloat16LNS0_11ScoringFuncE1EEEvPKT5_PKbPfiPT4_PiiiibPKf
    .private_segment_fixed_size: 0
    .sgpr_count:     22
    .sgpr_spill_count: 0
    .symbol:         _ZN4vllm3moe10topkGatingILi8ELi32ELi4ELi16ELi64Ej14__hip_bfloat16LNS0_11ScoringFuncE1EEEvPKT5_PKbPfiPT4_PiiiibPKf.kd
    .uniform_work_group_size: 1
    .uses_dynamic_stack: false
    .vgpr_count:     51
    .vgpr_spill_count: 0
    .wavefront_size: 32
    .workgroup_processor_mode: 1
  - .args:
      - .address_space:  global
        .offset:         0
        .size:           8
        .value_kind:     global_buffer
      - .address_space:  global
        .offset:         8
        .size:           8
        .value_kind:     global_buffer
      - .address_space:  global
        .offset:         16
        .size:           8
        .value_kind:     global_buffer
      - .offset:         24
        .size:           4
        .value_kind:     by_value
      - .address_space:  global
        .offset:         32
        .size:           8
        .value_kind:     global_buffer
      - .address_space:  global
        .offset:         40
        .size:           8
        .value_kind:     global_buffer
      - .offset:         48
        .size:           4
        .value_kind:     by_value
      - .offset:         52
        .size:           4
        .value_kind:     by_value
      - .offset:         56
        .size:           4
        .value_kind:     by_value
      - .offset:         60
        .size:           1
        .value_kind:     by_value
      - .address_space:  global
        .offset:         64
        .size:           8
        .value_kind:     global_buffer
    .group_segment_fixed_size: 0
    .kernarg_segment_align: 8
    .kernarg_segment_size: 72
    .language:       OpenCL C
    .language_version:
      - 2
      - 0
    .max_flat_workgroup_size: 128
    .name:           _ZN4vllm3moe10topkGatingILi8ELi32ELi4ELi16ELi32Ej14__hip_bfloat16LNS0_11ScoringFuncE1EEEvPKT5_PKbPfiPT4_PiiiibPKf
    .private_segment_fixed_size: 0
    .sgpr_count:     22
    .sgpr_spill_count: 0
    .symbol:         _ZN4vllm3moe10topkGatingILi8ELi32ELi4ELi16ELi32Ej14__hip_bfloat16LNS0_11ScoringFuncE1EEEvPKT5_PKbPfiPT4_PiiiibPKf.kd
    .uniform_work_group_size: 1
    .uses_dynamic_stack: false
    .vgpr_count:     51
    .vgpr_spill_count: 0
    .wavefront_size: 32
    .workgroup_processor_mode: 1
  - .args:
      - .address_space:  global
        .offset:         0
        .size:           8
        .value_kind:     global_buffer
      - .address_space:  global
        .offset:         8
        .size:           8
        .value_kind:     global_buffer
      - .address_space:  global
        .offset:         16
        .size:           8
        .value_kind:     global_buffer
      - .offset:         24
        .size:           4
        .value_kind:     by_value
      - .address_space:  global
        .offset:         32
        .size:           8
        .value_kind:     global_buffer
      - .address_space:  global
        .offset:         40
        .size:           8
        .value_kind:     global_buffer
      - .offset:         48
        .size:           4
        .value_kind:     by_value
      - .offset:         52
        .size:           4
        .value_kind:     by_value
      - .offset:         56
        .size:           4
        .value_kind:     by_value
      - .offset:         60
        .size:           1
        .value_kind:     by_value
      - .address_space:  global
        .offset:         64
        .size:           8
        .value_kind:     global_buffer
    .group_segment_fixed_size: 0
    .kernarg_segment_align: 8
    .kernarg_segment_size: 72
    .language:       OpenCL C
    .language_version:
      - 2
      - 0
    .max_flat_workgroup_size: 256
    .name:           _ZN4vllm3moe10topkGatingILi8ELi64ELi4ELi16ELi64Ej14__hip_bfloat16LNS0_11ScoringFuncE1EEEvPKT5_PKbPfiPT4_PiiiibPKf
    .private_segment_fixed_size: 0
    .sgpr_count:     22
    .sgpr_spill_count: 0
    .symbol:         _ZN4vllm3moe10topkGatingILi8ELi64ELi4ELi16ELi64Ej14__hip_bfloat16LNS0_11ScoringFuncE1EEEvPKT5_PKbPfiPT4_PiiiibPKf.kd
    .uniform_work_group_size: 1
    .uses_dynamic_stack: false
    .vgpr_count:     51
    .vgpr_spill_count: 0
    .wavefront_size: 32
    .workgroup_processor_mode: 1
  - .args:
      - .address_space:  global
        .offset:         0
        .size:           8
        .value_kind:     global_buffer
      - .address_space:  global
        .offset:         8
        .size:           8
        .value_kind:     global_buffer
      - .address_space:  global
        .offset:         16
        .size:           8
        .value_kind:     global_buffer
      - .offset:         24
        .size:           4
        .value_kind:     by_value
      - .address_space:  global
        .offset:         32
        .size:           8
        .value_kind:     global_buffer
      - .address_space:  global
        .offset:         40
        .size:           8
        .value_kind:     global_buffer
      - .offset:         48
        .size:           4
        .value_kind:     by_value
      - .offset:         52
        .size:           4
        .value_kind:     by_value
      - .offset:         56
        .size:           4
        .value_kind:     by_value
      - .offset:         60
        .size:           1
        .value_kind:     by_value
      - .address_space:  global
        .offset:         64
        .size:           8
        .value_kind:     global_buffer
    .group_segment_fixed_size: 0
    .kernarg_segment_align: 8
    .kernarg_segment_size: 72
    .language:       OpenCL C
    .language_version:
      - 2
      - 0
    .max_flat_workgroup_size: 128
    .name:           _ZN4vllm3moe10topkGatingILi8ELi64ELi4ELi16ELi32Ej14__hip_bfloat16LNS0_11ScoringFuncE1EEEvPKT5_PKbPfiPT4_PiiiibPKf
    .private_segment_fixed_size: 0
    .sgpr_count:     22
    .sgpr_spill_count: 0
    .symbol:         _ZN4vllm3moe10topkGatingILi8ELi64ELi4ELi16ELi32Ej14__hip_bfloat16LNS0_11ScoringFuncE1EEEvPKT5_PKbPfiPT4_PiiiibPKf.kd
    .uniform_work_group_size: 1
    .uses_dynamic_stack: false
    .vgpr_count:     51
    .vgpr_spill_count: 0
    .wavefront_size: 32
    .workgroup_processor_mode: 1
  - .args:
      - .address_space:  global
        .offset:         0
        .size:           8
        .value_kind:     global_buffer
      - .address_space:  global
        .offset:         8
        .size:           8
        .value_kind:     global_buffer
      - .address_space:  global
        .offset:         16
        .size:           8
        .value_kind:     global_buffer
      - .offset:         24
        .size:           4
        .value_kind:     by_value
      - .address_space:  global
        .offset:         32
        .size:           8
        .value_kind:     global_buffer
      - .address_space:  global
        .offset:         40
        .size:           8
        .value_kind:     global_buffer
      - .offset:         48
        .size:           4
        .value_kind:     by_value
      - .offset:         52
        .size:           4
        .value_kind:     by_value
      - .offset:         56
        .size:           4
        .value_kind:     by_value
      - .offset:         60
        .size:           1
        .value_kind:     by_value
      - .address_space:  global
        .offset:         64
        .size:           8
        .value_kind:     global_buffer
    .group_segment_fixed_size: 0
    .kernarg_segment_align: 8
    .kernarg_segment_size: 72
    .language:       OpenCL C
    .language_version:
      - 2
      - 0
    .max_flat_workgroup_size: 256
    .name:           _ZN4vllm3moe10topkGatingILi8ELi128ELi4ELi16ELi64Ej14__hip_bfloat16LNS0_11ScoringFuncE1EEEvPKT5_PKbPfiPT4_PiiiibPKf
    .private_segment_fixed_size: 0
    .sgpr_count:     22
    .sgpr_spill_count: 0
    .symbol:         _ZN4vllm3moe10topkGatingILi8ELi128ELi4ELi16ELi64Ej14__hip_bfloat16LNS0_11ScoringFuncE1EEEvPKT5_PKbPfiPT4_PiiiibPKf.kd
    .uniform_work_group_size: 1
    .uses_dynamic_stack: false
    .vgpr_count:     51
    .vgpr_spill_count: 0
    .wavefront_size: 32
    .workgroup_processor_mode: 1
  - .args:
      - .address_space:  global
        .offset:         0
        .size:           8
        .value_kind:     global_buffer
      - .address_space:  global
        .offset:         8
        .size:           8
        .value_kind:     global_buffer
      - .address_space:  global
        .offset:         16
        .size:           8
        .value_kind:     global_buffer
      - .offset:         24
        .size:           4
        .value_kind:     by_value
      - .address_space:  global
        .offset:         32
        .size:           8
        .value_kind:     global_buffer
      - .address_space:  global
        .offset:         40
        .size:           8
        .value_kind:     global_buffer
      - .offset:         48
        .size:           4
        .value_kind:     by_value
      - .offset:         52
        .size:           4
        .value_kind:     by_value
      - .offset:         56
        .size:           4
        .value_kind:     by_value
      - .offset:         60
        .size:           1
        .value_kind:     by_value
      - .address_space:  global
        .offset:         64
        .size:           8
        .value_kind:     global_buffer
    .group_segment_fixed_size: 0
    .kernarg_segment_align: 8
    .kernarg_segment_size: 72
    .language:       OpenCL C
    .language_version:
      - 2
      - 0
    .max_flat_workgroup_size: 128
    .name:           _ZN4vllm3moe10topkGatingILi8ELi128ELi4ELi16ELi32Ej14__hip_bfloat16LNS0_11ScoringFuncE1EEEvPKT5_PKbPfiPT4_PiiiibPKf
    .private_segment_fixed_size: 0
    .sgpr_count:     22
    .sgpr_spill_count: 0
    .symbol:         _ZN4vllm3moe10topkGatingILi8ELi128ELi4ELi16ELi32Ej14__hip_bfloat16LNS0_11ScoringFuncE1EEEvPKT5_PKbPfiPT4_PiiiibPKf.kd
    .uniform_work_group_size: 1
    .uses_dynamic_stack: false
    .vgpr_count:     51
    .vgpr_spill_count: 0
    .wavefront_size: 32
    .workgroup_processor_mode: 1
  - .args:
      - .address_space:  global
        .offset:         0
        .size:           8
        .value_kind:     global_buffer
      - .address_space:  global
        .offset:         8
        .size:           8
        .value_kind:     global_buffer
      - .address_space:  global
        .offset:         16
        .size:           8
        .value_kind:     global_buffer
      - .offset:         24
        .size:           4
        .value_kind:     by_value
      - .address_space:  global
        .offset:         32
        .size:           8
        .value_kind:     global_buffer
      - .address_space:  global
        .offset:         40
        .size:           8
        .value_kind:     global_buffer
      - .offset:         48
        .size:           4
        .value_kind:     by_value
      - .offset:         52
        .size:           4
        .value_kind:     by_value
      - .offset:         56
        .size:           4
        .value_kind:     by_value
      - .offset:         60
        .size:           1
        .value_kind:     by_value
      - .address_space:  global
        .offset:         64
        .size:           8
        .value_kind:     global_buffer
    .group_segment_fixed_size: 0
    .kernarg_segment_align: 8
    .kernarg_segment_size: 72
    .language:       OpenCL C
    .language_version:
      - 2
      - 0
    .max_flat_workgroup_size: 256
    .name:           _ZN4vllm3moe10topkGatingILi8ELi256ELi4ELi16ELi64Ej14__hip_bfloat16LNS0_11ScoringFuncE1EEEvPKT5_PKbPfiPT4_PiiiibPKf
    .private_segment_fixed_size: 0
    .sgpr_count:     22
    .sgpr_spill_count: 0
    .symbol:         _ZN4vllm3moe10topkGatingILi8ELi256ELi4ELi16ELi64Ej14__hip_bfloat16LNS0_11ScoringFuncE1EEEvPKT5_PKbPfiPT4_PiiiibPKf.kd
    .uniform_work_group_size: 1
    .uses_dynamic_stack: false
    .vgpr_count:     51
    .vgpr_spill_count: 0
    .wavefront_size: 32
    .workgroup_processor_mode: 1
  - .args:
      - .address_space:  global
        .offset:         0
        .size:           8
        .value_kind:     global_buffer
      - .address_space:  global
        .offset:         8
        .size:           8
        .value_kind:     global_buffer
      - .address_space:  global
        .offset:         16
        .size:           8
        .value_kind:     global_buffer
      - .offset:         24
        .size:           4
        .value_kind:     by_value
      - .address_space:  global
        .offset:         32
        .size:           8
        .value_kind:     global_buffer
      - .address_space:  global
        .offset:         40
        .size:           8
        .value_kind:     global_buffer
      - .offset:         48
        .size:           4
        .value_kind:     by_value
      - .offset:         52
        .size:           4
        .value_kind:     by_value
      - .offset:         56
        .size:           4
        .value_kind:     by_value
      - .offset:         60
        .size:           1
        .value_kind:     by_value
      - .address_space:  global
        .offset:         64
        .size:           8
        .value_kind:     global_buffer
    .group_segment_fixed_size: 0
    .kernarg_segment_align: 8
    .kernarg_segment_size: 72
    .language:       OpenCL C
    .language_version:
      - 2
      - 0
    .max_flat_workgroup_size: 128
    .name:           _ZN4vllm3moe10topkGatingILi8ELi256ELi4ELi16ELi32Ej14__hip_bfloat16LNS0_11ScoringFuncE1EEEvPKT5_PKbPfiPT4_PiiiibPKf
    .private_segment_fixed_size: 0
    .sgpr_count:     22
    .sgpr_spill_count: 0
    .symbol:         _ZN4vllm3moe10topkGatingILi8ELi256ELi4ELi16ELi32Ej14__hip_bfloat16LNS0_11ScoringFuncE1EEEvPKT5_PKbPfiPT4_PiiiibPKf.kd
    .uniform_work_group_size: 1
    .uses_dynamic_stack: false
    .vgpr_count:     51
    .vgpr_spill_count: 0
    .wavefront_size: 32
    .workgroup_processor_mode: 1
  - .args:
      - .address_space:  global
        .offset:         0
        .size:           8
        .value_kind:     global_buffer
      - .address_space:  global
        .offset:         8
        .size:           8
        .value_kind:     global_buffer
      - .address_space:  global
        .offset:         16
        .size:           8
        .value_kind:     global_buffer
      - .offset:         24
        .size:           4
        .value_kind:     by_value
      - .address_space:  global
        .offset:         32
        .size:           8
        .value_kind:     global_buffer
      - .address_space:  global
        .offset:         40
        .size:           8
        .value_kind:     global_buffer
      - .offset:         48
        .size:           4
        .value_kind:     by_value
      - .offset:         52
        .size:           4
        .value_kind:     by_value
      - .offset:         56
        .size:           4
        .value_kind:     by_value
      - .offset:         60
        .size:           1
        .value_kind:     by_value
      - .address_space:  global
        .offset:         64
        .size:           8
        .value_kind:     global_buffer
    .group_segment_fixed_size: 0
    .kernarg_segment_align: 8
    .kernarg_segment_size: 72
    .language:       OpenCL C
    .language_version:
      - 2
      - 0
    .max_flat_workgroup_size: 256
    .name:           _ZN4vllm3moe10topkGatingILi8ELi512ELi4ELi16ELi64Ej14__hip_bfloat16LNS0_11ScoringFuncE1EEEvPKT5_PKbPfiPT4_PiiiibPKf
    .private_segment_fixed_size: 0
    .sgpr_count:     22
    .sgpr_spill_count: 0
    .symbol:         _ZN4vllm3moe10topkGatingILi8ELi512ELi4ELi16ELi64Ej14__hip_bfloat16LNS0_11ScoringFuncE1EEEvPKT5_PKbPfiPT4_PiiiibPKf.kd
    .uniform_work_group_size: 1
    .uses_dynamic_stack: false
    .vgpr_count:     51
    .vgpr_spill_count: 0
    .wavefront_size: 32
    .workgroup_processor_mode: 1
  - .args:
      - .address_space:  global
        .offset:         0
        .size:           8
        .value_kind:     global_buffer
      - .address_space:  global
        .offset:         8
        .size:           8
        .value_kind:     global_buffer
      - .address_space:  global
        .offset:         16
        .size:           8
        .value_kind:     global_buffer
      - .offset:         24
        .size:           4
        .value_kind:     by_value
      - .address_space:  global
        .offset:         32
        .size:           8
        .value_kind:     global_buffer
      - .address_space:  global
        .offset:         40
        .size:           8
        .value_kind:     global_buffer
      - .offset:         48
        .size:           4
        .value_kind:     by_value
      - .offset:         52
        .size:           4
        .value_kind:     by_value
      - .offset:         56
        .size:           4
        .value_kind:     by_value
      - .offset:         60
        .size:           1
        .value_kind:     by_value
      - .address_space:  global
        .offset:         64
        .size:           8
        .value_kind:     global_buffer
    .group_segment_fixed_size: 0
    .kernarg_segment_align: 8
    .kernarg_segment_size: 72
    .language:       OpenCL C
    .language_version:
      - 2
      - 0
    .max_flat_workgroup_size: 128
    .name:           _ZN4vllm3moe10topkGatingILi16ELi512ELi4ELi16ELi32Ej14__hip_bfloat16LNS0_11ScoringFuncE1EEEvPKT5_PKbPfiPT4_PiiiibPKf
    .private_segment_fixed_size: 0
    .sgpr_count:     26
    .sgpr_spill_count: 0
    .symbol:         _ZN4vllm3moe10topkGatingILi16ELi512ELi4ELi16ELi32Ej14__hip_bfloat16LNS0_11ScoringFuncE1EEEvPKT5_PKbPfiPT4_PiiiibPKf.kd
    .uniform_work_group_size: 1
    .uses_dynamic_stack: false
    .vgpr_count:     92
    .vgpr_spill_count: 0
    .wavefront_size: 32
    .workgroup_processor_mode: 1
  - .args:
      - .address_space:  global
        .offset:         0
        .size:           8
        .value_kind:     global_buffer
      - .address_space:  global
        .offset:         8
        .size:           8
        .value_kind:     global_buffer
      - .address_space:  global
        .offset:         16
        .size:           8
        .value_kind:     global_buffer
      - .offset:         24
        .size:           4
        .value_kind:     by_value
      - .address_space:  global
        .offset:         32
        .size:           8
        .value_kind:     global_buffer
      - .address_space:  global
        .offset:         40
        .size:           8
        .value_kind:     global_buffer
      - .offset:         48
        .size:           4
        .value_kind:     by_value
      - .offset:         52
        .size:           4
        .value_kind:     by_value
      - .offset:         56
        .size:           4
        .value_kind:     by_value
      - .offset:         60
        .size:           1
        .value_kind:     by_value
      - .address_space:  global
        .offset:         64
        .size:           8
        .value_kind:     global_buffer
    .group_segment_fixed_size: 0
    .kernarg_segment_align: 8
    .kernarg_segment_size: 72
    .language:       OpenCL C
    .language_version:
      - 2
      - 0
    .max_flat_workgroup_size: 256
    .name:           _ZN4vllm3moe10topkGatingILi1ELi1ELi4ELi2ELi64El14__hip_bfloat16LNS0_11ScoringFuncE1EEEvPKT5_PKbPfiPT4_PiiiibPKf
    .private_segment_fixed_size: 0
    .sgpr_count:     18
    .sgpr_spill_count: 0
    .symbol:         _ZN4vllm3moe10topkGatingILi1ELi1ELi4ELi2ELi64El14__hip_bfloat16LNS0_11ScoringFuncE1EEEvPKT5_PKbPfiPT4_PiiiibPKf.kd
    .uniform_work_group_size: 1
    .uses_dynamic_stack: false
    .vgpr_count:     15
    .vgpr_spill_count: 0
    .wavefront_size: 32
    .workgroup_processor_mode: 1
  - .args:
      - .address_space:  global
        .offset:         0
        .size:           8
        .value_kind:     global_buffer
      - .address_space:  global
        .offset:         8
        .size:           8
        .value_kind:     global_buffer
      - .address_space:  global
        .offset:         16
        .size:           8
        .value_kind:     global_buffer
      - .offset:         24
        .size:           4
        .value_kind:     by_value
      - .address_space:  global
        .offset:         32
        .size:           8
        .value_kind:     global_buffer
      - .address_space:  global
        .offset:         40
        .size:           8
        .value_kind:     global_buffer
      - .offset:         48
        .size:           4
        .value_kind:     by_value
      - .offset:         52
        .size:           4
        .value_kind:     by_value
      - .offset:         56
        .size:           4
        .value_kind:     by_value
      - .offset:         60
        .size:           1
        .value_kind:     by_value
      - .address_space:  global
        .offset:         64
        .size:           8
        .value_kind:     global_buffer
    .group_segment_fixed_size: 0
    .kernarg_segment_align: 8
    .kernarg_segment_size: 72
    .language:       OpenCL C
    .language_version:
      - 2
      - 0
    .max_flat_workgroup_size: 128
    .name:           _ZN4vllm3moe10topkGatingILi1ELi1ELi4ELi2ELi32El14__hip_bfloat16LNS0_11ScoringFuncE1EEEvPKT5_PKbPfiPT4_PiiiibPKf
    .private_segment_fixed_size: 0
    .sgpr_count:     18
    .sgpr_spill_count: 0
    .symbol:         _ZN4vllm3moe10topkGatingILi1ELi1ELi4ELi2ELi32El14__hip_bfloat16LNS0_11ScoringFuncE1EEEvPKT5_PKbPfiPT4_PiiiibPKf.kd
    .uniform_work_group_size: 1
    .uses_dynamic_stack: false
    .vgpr_count:     15
    .vgpr_spill_count: 0
    .wavefront_size: 32
    .workgroup_processor_mode: 1
  - .args:
      - .address_space:  global
        .offset:         0
        .size:           8
        .value_kind:     global_buffer
      - .address_space:  global
        .offset:         8
        .size:           8
        .value_kind:     global_buffer
      - .address_space:  global
        .offset:         16
        .size:           8
        .value_kind:     global_buffer
      - .offset:         24
        .size:           4
        .value_kind:     by_value
      - .address_space:  global
        .offset:         32
        .size:           8
        .value_kind:     global_buffer
      - .address_space:  global
        .offset:         40
        .size:           8
        .value_kind:     global_buffer
      - .offset:         48
        .size:           4
        .value_kind:     by_value
      - .offset:         52
        .size:           4
        .value_kind:     by_value
      - .offset:         56
        .size:           4
        .value_kind:     by_value
      - .offset:         60
        .size:           1
        .value_kind:     by_value
      - .address_space:  global
        .offset:         64
        .size:           8
        .value_kind:     global_buffer
    .group_segment_fixed_size: 0
    .kernarg_segment_align: 8
    .kernarg_segment_size: 72
    .language:       OpenCL C
    .language_version:
      - 2
      - 0
    .max_flat_workgroup_size: 256
    .name:           _ZN4vllm3moe10topkGatingILi2ELi2ELi4ELi4ELi64El14__hip_bfloat16LNS0_11ScoringFuncE1EEEvPKT5_PKbPfiPT4_PiiiibPKf
    .private_segment_fixed_size: 0
    .sgpr_count:     18
    .sgpr_spill_count: 0
    .symbol:         _ZN4vllm3moe10topkGatingILi2ELi2ELi4ELi4ELi64El14__hip_bfloat16LNS0_11ScoringFuncE1EEEvPKT5_PKbPfiPT4_PiiiibPKf.kd
    .uniform_work_group_size: 1
    .uses_dynamic_stack: false
    .vgpr_count:     19
    .vgpr_spill_count: 0
    .wavefront_size: 32
    .workgroup_processor_mode: 1
  - .args:
      - .address_space:  global
        .offset:         0
        .size:           8
        .value_kind:     global_buffer
      - .address_space:  global
        .offset:         8
        .size:           8
        .value_kind:     global_buffer
      - .address_space:  global
        .offset:         16
        .size:           8
        .value_kind:     global_buffer
      - .offset:         24
        .size:           4
        .value_kind:     by_value
      - .address_space:  global
        .offset:         32
        .size:           8
        .value_kind:     global_buffer
      - .address_space:  global
        .offset:         40
        .size:           8
        .value_kind:     global_buffer
      - .offset:         48
        .size:           4
        .value_kind:     by_value
      - .offset:         52
        .size:           4
        .value_kind:     by_value
      - .offset:         56
        .size:           4
        .value_kind:     by_value
      - .offset:         60
        .size:           1
        .value_kind:     by_value
      - .address_space:  global
        .offset:         64
        .size:           8
        .value_kind:     global_buffer
    .group_segment_fixed_size: 0
    .kernarg_segment_align: 8
    .kernarg_segment_size: 72
    .language:       OpenCL C
    .language_version:
      - 2
      - 0
    .max_flat_workgroup_size: 128
    .name:           _ZN4vllm3moe10topkGatingILi2ELi2ELi4ELi4ELi32El14__hip_bfloat16LNS0_11ScoringFuncE1EEEvPKT5_PKbPfiPT4_PiiiibPKf
    .private_segment_fixed_size: 0
    .sgpr_count:     18
    .sgpr_spill_count: 0
    .symbol:         _ZN4vllm3moe10topkGatingILi2ELi2ELi4ELi4ELi32El14__hip_bfloat16LNS0_11ScoringFuncE1EEEvPKT5_PKbPfiPT4_PiiiibPKf.kd
    .uniform_work_group_size: 1
    .uses_dynamic_stack: false
    .vgpr_count:     19
    .vgpr_spill_count: 0
    .wavefront_size: 32
    .workgroup_processor_mode: 1
  - .args:
      - .address_space:  global
        .offset:         0
        .size:           8
        .value_kind:     global_buffer
      - .address_space:  global
        .offset:         8
        .size:           8
        .value_kind:     global_buffer
      - .address_space:  global
        .offset:         16
        .size:           8
        .value_kind:     global_buffer
      - .offset:         24
        .size:           4
        .value_kind:     by_value
      - .address_space:  global
        .offset:         32
        .size:           8
        .value_kind:     global_buffer
      - .address_space:  global
        .offset:         40
        .size:           8
        .value_kind:     global_buffer
      - .offset:         48
        .size:           4
        .value_kind:     by_value
      - .offset:         52
        .size:           4
        .value_kind:     by_value
      - .offset:         56
        .size:           4
        .value_kind:     by_value
      - .offset:         60
        .size:           1
        .value_kind:     by_value
      - .address_space:  global
        .offset:         64
        .size:           8
        .value_kind:     global_buffer
    .group_segment_fixed_size: 0
    .kernarg_segment_align: 8
    .kernarg_segment_size: 72
    .language:       OpenCL C
    .language_version:
      - 2
      - 0
    .max_flat_workgroup_size: 256
    .name:           _ZN4vllm3moe10topkGatingILi4ELi4ELi4ELi8ELi64El14__hip_bfloat16LNS0_11ScoringFuncE1EEEvPKT5_PKbPfiPT4_PiiiibPKf
    .private_segment_fixed_size: 0
    .sgpr_count:     18
    .sgpr_spill_count: 0
    .symbol:         _ZN4vllm3moe10topkGatingILi4ELi4ELi4ELi8ELi64El14__hip_bfloat16LNS0_11ScoringFuncE1EEEvPKT5_PKbPfiPT4_PiiiibPKf.kd
    .uniform_work_group_size: 1
    .uses_dynamic_stack: false
    .vgpr_count:     25
    .vgpr_spill_count: 0
    .wavefront_size: 32
    .workgroup_processor_mode: 1
  - .args:
      - .address_space:  global
        .offset:         0
        .size:           8
        .value_kind:     global_buffer
      - .address_space:  global
        .offset:         8
        .size:           8
        .value_kind:     global_buffer
      - .address_space:  global
        .offset:         16
        .size:           8
        .value_kind:     global_buffer
      - .offset:         24
        .size:           4
        .value_kind:     by_value
      - .address_space:  global
        .offset:         32
        .size:           8
        .value_kind:     global_buffer
      - .address_space:  global
        .offset:         40
        .size:           8
        .value_kind:     global_buffer
      - .offset:         48
        .size:           4
        .value_kind:     by_value
      - .offset:         52
        .size:           4
        .value_kind:     by_value
      - .offset:         56
        .size:           4
        .value_kind:     by_value
      - .offset:         60
        .size:           1
        .value_kind:     by_value
      - .address_space:  global
        .offset:         64
        .size:           8
        .value_kind:     global_buffer
    .group_segment_fixed_size: 0
    .kernarg_segment_align: 8
    .kernarg_segment_size: 72
    .language:       OpenCL C
    .language_version:
      - 2
      - 0
    .max_flat_workgroup_size: 128
    .name:           _ZN4vllm3moe10topkGatingILi4ELi4ELi4ELi8ELi32El14__hip_bfloat16LNS0_11ScoringFuncE1EEEvPKT5_PKbPfiPT4_PiiiibPKf
    .private_segment_fixed_size: 0
    .sgpr_count:     18
    .sgpr_spill_count: 0
    .symbol:         _ZN4vllm3moe10topkGatingILi4ELi4ELi4ELi8ELi32El14__hip_bfloat16LNS0_11ScoringFuncE1EEEvPKT5_PKbPfiPT4_PiiiibPKf.kd
    .uniform_work_group_size: 1
    .uses_dynamic_stack: false
    .vgpr_count:     25
    .vgpr_spill_count: 0
    .wavefront_size: 32
    .workgroup_processor_mode: 1
  - .args:
      - .address_space:  global
        .offset:         0
        .size:           8
        .value_kind:     global_buffer
      - .address_space:  global
        .offset:         8
        .size:           8
        .value_kind:     global_buffer
      - .address_space:  global
        .offset:         16
        .size:           8
        .value_kind:     global_buffer
      - .offset:         24
        .size:           4
        .value_kind:     by_value
      - .address_space:  global
        .offset:         32
        .size:           8
        .value_kind:     global_buffer
      - .address_space:  global
        .offset:         40
        .size:           8
        .value_kind:     global_buffer
      - .offset:         48
        .size:           4
        .value_kind:     by_value
      - .offset:         52
        .size:           4
        .value_kind:     by_value
      - .offset:         56
        .size:           4
        .value_kind:     by_value
      - .offset:         60
        .size:           1
        .value_kind:     by_value
      - .address_space:  global
        .offset:         64
        .size:           8
        .value_kind:     global_buffer
    .group_segment_fixed_size: 0
    .kernarg_segment_align: 8
    .kernarg_segment_size: 72
    .language:       OpenCL C
    .language_version:
      - 2
      - 0
    .max_flat_workgroup_size: 256
    .name:           _ZN4vllm3moe10topkGatingILi8ELi8ELi4ELi16ELi64El14__hip_bfloat16LNS0_11ScoringFuncE1EEEvPKT5_PKbPfiPT4_PiiiibPKf
    .private_segment_fixed_size: 0
    .sgpr_count:     19
    .sgpr_spill_count: 0
    .symbol:         _ZN4vllm3moe10topkGatingILi8ELi8ELi4ELi16ELi64El14__hip_bfloat16LNS0_11ScoringFuncE1EEEvPKT5_PKbPfiPT4_PiiiibPKf.kd
    .uniform_work_group_size: 1
    .uses_dynamic_stack: false
    .vgpr_count:     49
    .vgpr_spill_count: 0
    .wavefront_size: 32
    .workgroup_processor_mode: 1
  - .args:
      - .address_space:  global
        .offset:         0
        .size:           8
        .value_kind:     global_buffer
      - .address_space:  global
        .offset:         8
        .size:           8
        .value_kind:     global_buffer
      - .address_space:  global
        .offset:         16
        .size:           8
        .value_kind:     global_buffer
      - .offset:         24
        .size:           4
        .value_kind:     by_value
      - .address_space:  global
        .offset:         32
        .size:           8
        .value_kind:     global_buffer
      - .address_space:  global
        .offset:         40
        .size:           8
        .value_kind:     global_buffer
      - .offset:         48
        .size:           4
        .value_kind:     by_value
      - .offset:         52
        .size:           4
        .value_kind:     by_value
      - .offset:         56
        .size:           4
        .value_kind:     by_value
      - .offset:         60
        .size:           1
        .value_kind:     by_value
      - .address_space:  global
        .offset:         64
        .size:           8
        .value_kind:     global_buffer
    .group_segment_fixed_size: 0
    .kernarg_segment_align: 8
    .kernarg_segment_size: 72
    .language:       OpenCL C
    .language_version:
      - 2
      - 0
    .max_flat_workgroup_size: 128
    .name:           _ZN4vllm3moe10topkGatingILi8ELi8ELi4ELi16ELi32El14__hip_bfloat16LNS0_11ScoringFuncE1EEEvPKT5_PKbPfiPT4_PiiiibPKf
    .private_segment_fixed_size: 0
    .sgpr_count:     19
    .sgpr_spill_count: 0
    .symbol:         _ZN4vllm3moe10topkGatingILi8ELi8ELi4ELi16ELi32El14__hip_bfloat16LNS0_11ScoringFuncE1EEEvPKT5_PKbPfiPT4_PiiiibPKf.kd
    .uniform_work_group_size: 1
    .uses_dynamic_stack: false
    .vgpr_count:     49
    .vgpr_spill_count: 0
    .wavefront_size: 32
    .workgroup_processor_mode: 1
  - .args:
      - .address_space:  global
        .offset:         0
        .size:           8
        .value_kind:     global_buffer
      - .address_space:  global
        .offset:         8
        .size:           8
        .value_kind:     global_buffer
      - .address_space:  global
        .offset:         16
        .size:           8
        .value_kind:     global_buffer
      - .offset:         24
        .size:           4
        .value_kind:     by_value
      - .address_space:  global
        .offset:         32
        .size:           8
        .value_kind:     global_buffer
      - .address_space:  global
        .offset:         40
        .size:           8
        .value_kind:     global_buffer
      - .offset:         48
        .size:           4
        .value_kind:     by_value
      - .offset:         52
        .size:           4
        .value_kind:     by_value
      - .offset:         56
        .size:           4
        .value_kind:     by_value
      - .offset:         60
        .size:           1
        .value_kind:     by_value
      - .address_space:  global
        .offset:         64
        .size:           8
        .value_kind:     global_buffer
    .group_segment_fixed_size: 0
    .kernarg_segment_align: 8
    .kernarg_segment_size: 72
    .language:       OpenCL C
    .language_version:
      - 2
      - 0
    .max_flat_workgroup_size: 256
    .name:           _ZN4vllm3moe10topkGatingILi8ELi16ELi4ELi16ELi64El14__hip_bfloat16LNS0_11ScoringFuncE1EEEvPKT5_PKbPfiPT4_PiiiibPKf
    .private_segment_fixed_size: 0
    .sgpr_count:     22
    .sgpr_spill_count: 0
    .symbol:         _ZN4vllm3moe10topkGatingILi8ELi16ELi4ELi16ELi64El14__hip_bfloat16LNS0_11ScoringFuncE1EEEvPKT5_PKbPfiPT4_PiiiibPKf.kd
    .uniform_work_group_size: 1
    .uses_dynamic_stack: false
    .vgpr_count:     51
    .vgpr_spill_count: 0
    .wavefront_size: 32
    .workgroup_processor_mode: 1
  - .args:
      - .address_space:  global
        .offset:         0
        .size:           8
        .value_kind:     global_buffer
      - .address_space:  global
        .offset:         8
        .size:           8
        .value_kind:     global_buffer
      - .address_space:  global
        .offset:         16
        .size:           8
        .value_kind:     global_buffer
      - .offset:         24
        .size:           4
        .value_kind:     by_value
      - .address_space:  global
        .offset:         32
        .size:           8
        .value_kind:     global_buffer
      - .address_space:  global
        .offset:         40
        .size:           8
        .value_kind:     global_buffer
      - .offset:         48
        .size:           4
        .value_kind:     by_value
      - .offset:         52
        .size:           4
        .value_kind:     by_value
      - .offset:         56
        .size:           4
        .value_kind:     by_value
      - .offset:         60
        .size:           1
        .value_kind:     by_value
      - .address_space:  global
        .offset:         64
        .size:           8
        .value_kind:     global_buffer
    .group_segment_fixed_size: 0
    .kernarg_segment_align: 8
    .kernarg_segment_size: 72
    .language:       OpenCL C
    .language_version:
      - 2
      - 0
    .max_flat_workgroup_size: 128
    .name:           _ZN4vllm3moe10topkGatingILi8ELi16ELi4ELi16ELi32El14__hip_bfloat16LNS0_11ScoringFuncE1EEEvPKT5_PKbPfiPT4_PiiiibPKf
    .private_segment_fixed_size: 0
    .sgpr_count:     22
    .sgpr_spill_count: 0
    .symbol:         _ZN4vllm3moe10topkGatingILi8ELi16ELi4ELi16ELi32El14__hip_bfloat16LNS0_11ScoringFuncE1EEEvPKT5_PKbPfiPT4_PiiiibPKf.kd
    .uniform_work_group_size: 1
    .uses_dynamic_stack: false
    .vgpr_count:     51
    .vgpr_spill_count: 0
    .wavefront_size: 32
    .workgroup_processor_mode: 1
  - .args:
      - .address_space:  global
        .offset:         0
        .size:           8
        .value_kind:     global_buffer
      - .address_space:  global
        .offset:         8
        .size:           8
        .value_kind:     global_buffer
      - .address_space:  global
        .offset:         16
        .size:           8
        .value_kind:     global_buffer
      - .offset:         24
        .size:           4
        .value_kind:     by_value
      - .address_space:  global
        .offset:         32
        .size:           8
        .value_kind:     global_buffer
      - .address_space:  global
        .offset:         40
        .size:           8
        .value_kind:     global_buffer
      - .offset:         48
        .size:           4
        .value_kind:     by_value
      - .offset:         52
        .size:           4
        .value_kind:     by_value
      - .offset:         56
        .size:           4
        .value_kind:     by_value
      - .offset:         60
        .size:           1
        .value_kind:     by_value
      - .address_space:  global
        .offset:         64
        .size:           8
        .value_kind:     global_buffer
    .group_segment_fixed_size: 0
    .kernarg_segment_align: 8
    .kernarg_segment_size: 72
    .language:       OpenCL C
    .language_version:
      - 2
      - 0
    .max_flat_workgroup_size: 256
    .name:           _ZN4vllm3moe10topkGatingILi8ELi32ELi4ELi16ELi64El14__hip_bfloat16LNS0_11ScoringFuncE1EEEvPKT5_PKbPfiPT4_PiiiibPKf
    .private_segment_fixed_size: 0
    .sgpr_count:     22
    .sgpr_spill_count: 0
    .symbol:         _ZN4vllm3moe10topkGatingILi8ELi32ELi4ELi16ELi64El14__hip_bfloat16LNS0_11ScoringFuncE1EEEvPKT5_PKbPfiPT4_PiiiibPKf.kd
    .uniform_work_group_size: 1
    .uses_dynamic_stack: false
    .vgpr_count:     51
    .vgpr_spill_count: 0
    .wavefront_size: 32
    .workgroup_processor_mode: 1
  - .args:
      - .address_space:  global
        .offset:         0
        .size:           8
        .value_kind:     global_buffer
      - .address_space:  global
        .offset:         8
        .size:           8
        .value_kind:     global_buffer
      - .address_space:  global
        .offset:         16
        .size:           8
        .value_kind:     global_buffer
      - .offset:         24
        .size:           4
        .value_kind:     by_value
      - .address_space:  global
        .offset:         32
        .size:           8
        .value_kind:     global_buffer
      - .address_space:  global
        .offset:         40
        .size:           8
        .value_kind:     global_buffer
      - .offset:         48
        .size:           4
        .value_kind:     by_value
      - .offset:         52
        .size:           4
        .value_kind:     by_value
      - .offset:         56
        .size:           4
        .value_kind:     by_value
      - .offset:         60
        .size:           1
        .value_kind:     by_value
      - .address_space:  global
        .offset:         64
        .size:           8
        .value_kind:     global_buffer
    .group_segment_fixed_size: 0
    .kernarg_segment_align: 8
    .kernarg_segment_size: 72
    .language:       OpenCL C
    .language_version:
      - 2
      - 0
    .max_flat_workgroup_size: 128
    .name:           _ZN4vllm3moe10topkGatingILi8ELi32ELi4ELi16ELi32El14__hip_bfloat16LNS0_11ScoringFuncE1EEEvPKT5_PKbPfiPT4_PiiiibPKf
    .private_segment_fixed_size: 0
    .sgpr_count:     22
    .sgpr_spill_count: 0
    .symbol:         _ZN4vllm3moe10topkGatingILi8ELi32ELi4ELi16ELi32El14__hip_bfloat16LNS0_11ScoringFuncE1EEEvPKT5_PKbPfiPT4_PiiiibPKf.kd
    .uniform_work_group_size: 1
    .uses_dynamic_stack: false
    .vgpr_count:     51
    .vgpr_spill_count: 0
    .wavefront_size: 32
    .workgroup_processor_mode: 1
  - .args:
      - .address_space:  global
        .offset:         0
        .size:           8
        .value_kind:     global_buffer
      - .address_space:  global
        .offset:         8
        .size:           8
        .value_kind:     global_buffer
      - .address_space:  global
        .offset:         16
        .size:           8
        .value_kind:     global_buffer
      - .offset:         24
        .size:           4
        .value_kind:     by_value
      - .address_space:  global
        .offset:         32
        .size:           8
        .value_kind:     global_buffer
      - .address_space:  global
        .offset:         40
        .size:           8
        .value_kind:     global_buffer
      - .offset:         48
        .size:           4
        .value_kind:     by_value
      - .offset:         52
        .size:           4
        .value_kind:     by_value
      - .offset:         56
        .size:           4
        .value_kind:     by_value
      - .offset:         60
        .size:           1
        .value_kind:     by_value
      - .address_space:  global
        .offset:         64
        .size:           8
        .value_kind:     global_buffer
    .group_segment_fixed_size: 0
    .kernarg_segment_align: 8
    .kernarg_segment_size: 72
    .language:       OpenCL C
    .language_version:
      - 2
      - 0
    .max_flat_workgroup_size: 256
    .name:           _ZN4vllm3moe10topkGatingILi8ELi64ELi4ELi16ELi64El14__hip_bfloat16LNS0_11ScoringFuncE1EEEvPKT5_PKbPfiPT4_PiiiibPKf
    .private_segment_fixed_size: 0
    .sgpr_count:     22
    .sgpr_spill_count: 0
    .symbol:         _ZN4vllm3moe10topkGatingILi8ELi64ELi4ELi16ELi64El14__hip_bfloat16LNS0_11ScoringFuncE1EEEvPKT5_PKbPfiPT4_PiiiibPKf.kd
    .uniform_work_group_size: 1
    .uses_dynamic_stack: false
    .vgpr_count:     51
    .vgpr_spill_count: 0
    .wavefront_size: 32
    .workgroup_processor_mode: 1
  - .args:
      - .address_space:  global
        .offset:         0
        .size:           8
        .value_kind:     global_buffer
      - .address_space:  global
        .offset:         8
        .size:           8
        .value_kind:     global_buffer
      - .address_space:  global
        .offset:         16
        .size:           8
        .value_kind:     global_buffer
      - .offset:         24
        .size:           4
        .value_kind:     by_value
      - .address_space:  global
        .offset:         32
        .size:           8
        .value_kind:     global_buffer
      - .address_space:  global
        .offset:         40
        .size:           8
        .value_kind:     global_buffer
      - .offset:         48
        .size:           4
        .value_kind:     by_value
      - .offset:         52
        .size:           4
        .value_kind:     by_value
      - .offset:         56
        .size:           4
        .value_kind:     by_value
      - .offset:         60
        .size:           1
        .value_kind:     by_value
      - .address_space:  global
        .offset:         64
        .size:           8
        .value_kind:     global_buffer
    .group_segment_fixed_size: 0
    .kernarg_segment_align: 8
    .kernarg_segment_size: 72
    .language:       OpenCL C
    .language_version:
      - 2
      - 0
    .max_flat_workgroup_size: 128
    .name:           _ZN4vllm3moe10topkGatingILi8ELi64ELi4ELi16ELi32El14__hip_bfloat16LNS0_11ScoringFuncE1EEEvPKT5_PKbPfiPT4_PiiiibPKf
    .private_segment_fixed_size: 0
    .sgpr_count:     22
    .sgpr_spill_count: 0
    .symbol:         _ZN4vllm3moe10topkGatingILi8ELi64ELi4ELi16ELi32El14__hip_bfloat16LNS0_11ScoringFuncE1EEEvPKT5_PKbPfiPT4_PiiiibPKf.kd
    .uniform_work_group_size: 1
    .uses_dynamic_stack: false
    .vgpr_count:     51
    .vgpr_spill_count: 0
    .wavefront_size: 32
    .workgroup_processor_mode: 1
  - .args:
      - .address_space:  global
        .offset:         0
        .size:           8
        .value_kind:     global_buffer
      - .address_space:  global
        .offset:         8
        .size:           8
        .value_kind:     global_buffer
      - .address_space:  global
        .offset:         16
        .size:           8
        .value_kind:     global_buffer
      - .offset:         24
        .size:           4
        .value_kind:     by_value
      - .address_space:  global
        .offset:         32
        .size:           8
        .value_kind:     global_buffer
      - .address_space:  global
        .offset:         40
        .size:           8
        .value_kind:     global_buffer
      - .offset:         48
        .size:           4
        .value_kind:     by_value
      - .offset:         52
        .size:           4
        .value_kind:     by_value
      - .offset:         56
        .size:           4
        .value_kind:     by_value
      - .offset:         60
        .size:           1
        .value_kind:     by_value
      - .address_space:  global
        .offset:         64
        .size:           8
        .value_kind:     global_buffer
    .group_segment_fixed_size: 0
    .kernarg_segment_align: 8
    .kernarg_segment_size: 72
    .language:       OpenCL C
    .language_version:
      - 2
      - 0
    .max_flat_workgroup_size: 256
    .name:           _ZN4vllm3moe10topkGatingILi8ELi128ELi4ELi16ELi64El14__hip_bfloat16LNS0_11ScoringFuncE1EEEvPKT5_PKbPfiPT4_PiiiibPKf
    .private_segment_fixed_size: 0
    .sgpr_count:     22
    .sgpr_spill_count: 0
    .symbol:         _ZN4vllm3moe10topkGatingILi8ELi128ELi4ELi16ELi64El14__hip_bfloat16LNS0_11ScoringFuncE1EEEvPKT5_PKbPfiPT4_PiiiibPKf.kd
    .uniform_work_group_size: 1
    .uses_dynamic_stack: false
    .vgpr_count:     51
    .vgpr_spill_count: 0
    .wavefront_size: 32
    .workgroup_processor_mode: 1
  - .args:
      - .address_space:  global
        .offset:         0
        .size:           8
        .value_kind:     global_buffer
      - .address_space:  global
        .offset:         8
        .size:           8
        .value_kind:     global_buffer
      - .address_space:  global
        .offset:         16
        .size:           8
        .value_kind:     global_buffer
      - .offset:         24
        .size:           4
        .value_kind:     by_value
      - .address_space:  global
        .offset:         32
        .size:           8
        .value_kind:     global_buffer
      - .address_space:  global
        .offset:         40
        .size:           8
        .value_kind:     global_buffer
      - .offset:         48
        .size:           4
        .value_kind:     by_value
      - .offset:         52
        .size:           4
        .value_kind:     by_value
      - .offset:         56
        .size:           4
        .value_kind:     by_value
      - .offset:         60
        .size:           1
        .value_kind:     by_value
      - .address_space:  global
        .offset:         64
        .size:           8
        .value_kind:     global_buffer
    .group_segment_fixed_size: 0
    .kernarg_segment_align: 8
    .kernarg_segment_size: 72
    .language:       OpenCL C
    .language_version:
      - 2
      - 0
    .max_flat_workgroup_size: 128
    .name:           _ZN4vllm3moe10topkGatingILi8ELi128ELi4ELi16ELi32El14__hip_bfloat16LNS0_11ScoringFuncE1EEEvPKT5_PKbPfiPT4_PiiiibPKf
    .private_segment_fixed_size: 0
    .sgpr_count:     22
    .sgpr_spill_count: 0
    .symbol:         _ZN4vllm3moe10topkGatingILi8ELi128ELi4ELi16ELi32El14__hip_bfloat16LNS0_11ScoringFuncE1EEEvPKT5_PKbPfiPT4_PiiiibPKf.kd
    .uniform_work_group_size: 1
    .uses_dynamic_stack: false
    .vgpr_count:     51
    .vgpr_spill_count: 0
    .wavefront_size: 32
    .workgroup_processor_mode: 1
  - .args:
      - .address_space:  global
        .offset:         0
        .size:           8
        .value_kind:     global_buffer
      - .address_space:  global
        .offset:         8
        .size:           8
        .value_kind:     global_buffer
      - .address_space:  global
        .offset:         16
        .size:           8
        .value_kind:     global_buffer
      - .offset:         24
        .size:           4
        .value_kind:     by_value
      - .address_space:  global
        .offset:         32
        .size:           8
        .value_kind:     global_buffer
      - .address_space:  global
        .offset:         40
        .size:           8
        .value_kind:     global_buffer
      - .offset:         48
        .size:           4
        .value_kind:     by_value
      - .offset:         52
        .size:           4
        .value_kind:     by_value
      - .offset:         56
        .size:           4
        .value_kind:     by_value
      - .offset:         60
        .size:           1
        .value_kind:     by_value
      - .address_space:  global
        .offset:         64
        .size:           8
        .value_kind:     global_buffer
    .group_segment_fixed_size: 0
    .kernarg_segment_align: 8
    .kernarg_segment_size: 72
    .language:       OpenCL C
    .language_version:
      - 2
      - 0
    .max_flat_workgroup_size: 256
    .name:           _ZN4vllm3moe10topkGatingILi8ELi256ELi4ELi16ELi64El14__hip_bfloat16LNS0_11ScoringFuncE1EEEvPKT5_PKbPfiPT4_PiiiibPKf
    .private_segment_fixed_size: 0
    .sgpr_count:     22
    .sgpr_spill_count: 0
    .symbol:         _ZN4vllm3moe10topkGatingILi8ELi256ELi4ELi16ELi64El14__hip_bfloat16LNS0_11ScoringFuncE1EEEvPKT5_PKbPfiPT4_PiiiibPKf.kd
    .uniform_work_group_size: 1
    .uses_dynamic_stack: false
    .vgpr_count:     51
    .vgpr_spill_count: 0
    .wavefront_size: 32
    .workgroup_processor_mode: 1
  - .args:
      - .address_space:  global
        .offset:         0
        .size:           8
        .value_kind:     global_buffer
      - .address_space:  global
        .offset:         8
        .size:           8
        .value_kind:     global_buffer
      - .address_space:  global
        .offset:         16
        .size:           8
        .value_kind:     global_buffer
      - .offset:         24
        .size:           4
        .value_kind:     by_value
      - .address_space:  global
        .offset:         32
        .size:           8
        .value_kind:     global_buffer
      - .address_space:  global
        .offset:         40
        .size:           8
        .value_kind:     global_buffer
      - .offset:         48
        .size:           4
        .value_kind:     by_value
      - .offset:         52
        .size:           4
        .value_kind:     by_value
      - .offset:         56
        .size:           4
        .value_kind:     by_value
      - .offset:         60
        .size:           1
        .value_kind:     by_value
      - .address_space:  global
        .offset:         64
        .size:           8
        .value_kind:     global_buffer
    .group_segment_fixed_size: 0
    .kernarg_segment_align: 8
    .kernarg_segment_size: 72
    .language:       OpenCL C
    .language_version:
      - 2
      - 0
    .max_flat_workgroup_size: 128
    .name:           _ZN4vllm3moe10topkGatingILi8ELi256ELi4ELi16ELi32El14__hip_bfloat16LNS0_11ScoringFuncE1EEEvPKT5_PKbPfiPT4_PiiiibPKf
    .private_segment_fixed_size: 0
    .sgpr_count:     22
    .sgpr_spill_count: 0
    .symbol:         _ZN4vllm3moe10topkGatingILi8ELi256ELi4ELi16ELi32El14__hip_bfloat16LNS0_11ScoringFuncE1EEEvPKT5_PKbPfiPT4_PiiiibPKf.kd
    .uniform_work_group_size: 1
    .uses_dynamic_stack: false
    .vgpr_count:     51
    .vgpr_spill_count: 0
    .wavefront_size: 32
    .workgroup_processor_mode: 1
  - .args:
      - .address_space:  global
        .offset:         0
        .size:           8
        .value_kind:     global_buffer
      - .address_space:  global
        .offset:         8
        .size:           8
        .value_kind:     global_buffer
      - .address_space:  global
        .offset:         16
        .size:           8
        .value_kind:     global_buffer
      - .offset:         24
        .size:           4
        .value_kind:     by_value
      - .address_space:  global
        .offset:         32
        .size:           8
        .value_kind:     global_buffer
      - .address_space:  global
        .offset:         40
        .size:           8
        .value_kind:     global_buffer
      - .offset:         48
        .size:           4
        .value_kind:     by_value
      - .offset:         52
        .size:           4
        .value_kind:     by_value
      - .offset:         56
        .size:           4
        .value_kind:     by_value
      - .offset:         60
        .size:           1
        .value_kind:     by_value
      - .address_space:  global
        .offset:         64
        .size:           8
        .value_kind:     global_buffer
    .group_segment_fixed_size: 0
    .kernarg_segment_align: 8
    .kernarg_segment_size: 72
    .language:       OpenCL C
    .language_version:
      - 2
      - 0
    .max_flat_workgroup_size: 256
    .name:           _ZN4vllm3moe10topkGatingILi8ELi512ELi4ELi16ELi64El14__hip_bfloat16LNS0_11ScoringFuncE1EEEvPKT5_PKbPfiPT4_PiiiibPKf
    .private_segment_fixed_size: 0
    .sgpr_count:     22
    .sgpr_spill_count: 0
    .symbol:         _ZN4vllm3moe10topkGatingILi8ELi512ELi4ELi16ELi64El14__hip_bfloat16LNS0_11ScoringFuncE1EEEvPKT5_PKbPfiPT4_PiiiibPKf.kd
    .uniform_work_group_size: 1
    .uses_dynamic_stack: false
    .vgpr_count:     51
    .vgpr_spill_count: 0
    .wavefront_size: 32
    .workgroup_processor_mode: 1
  - .args:
      - .address_space:  global
        .offset:         0
        .size:           8
        .value_kind:     global_buffer
      - .address_space:  global
        .offset:         8
        .size:           8
        .value_kind:     global_buffer
      - .address_space:  global
        .offset:         16
        .size:           8
        .value_kind:     global_buffer
      - .offset:         24
        .size:           4
        .value_kind:     by_value
      - .address_space:  global
        .offset:         32
        .size:           8
        .value_kind:     global_buffer
      - .address_space:  global
        .offset:         40
        .size:           8
        .value_kind:     global_buffer
      - .offset:         48
        .size:           4
        .value_kind:     by_value
      - .offset:         52
        .size:           4
        .value_kind:     by_value
      - .offset:         56
        .size:           4
        .value_kind:     by_value
      - .offset:         60
        .size:           1
        .value_kind:     by_value
      - .address_space:  global
        .offset:         64
        .size:           8
        .value_kind:     global_buffer
    .group_segment_fixed_size: 0
    .kernarg_segment_align: 8
    .kernarg_segment_size: 72
    .language:       OpenCL C
    .language_version:
      - 2
      - 0
    .max_flat_workgroup_size: 128
    .name:           _ZN4vllm3moe10topkGatingILi16ELi512ELi4ELi16ELi32El14__hip_bfloat16LNS0_11ScoringFuncE1EEEvPKT5_PKbPfiPT4_PiiiibPKf
    .private_segment_fixed_size: 0
    .sgpr_count:     26
    .sgpr_spill_count: 0
    .symbol:         _ZN4vllm3moe10topkGatingILi16ELi512ELi4ELi16ELi32El14__hip_bfloat16LNS0_11ScoringFuncE1EEEvPKT5_PKbPfiPT4_PiiiibPKf.kd
    .uniform_work_group_size: 1
    .uses_dynamic_stack: false
    .vgpr_count:     92
    .vgpr_spill_count: 0
    .wavefront_size: 32
    .workgroup_processor_mode: 1
amdhsa.target:   amdgcn-amd-amdhsa--gfx1100
amdhsa.version:
  - 1
  - 2
...

	.end_amdgpu_metadata
